;; amdgpu-corpus repo=ROCm/rccl kind=compiled arch=gfx1100 opt=O3
	.text
	.amdgcn_target "amdgcn-amd-amdhsa--gfx1100"
	.amdhsa_code_object_version 6
	.p2align	2                               ; -- Begin function __ockl_fprintf_append_string_n
	.type	__ockl_fprintf_append_string_n,@function
__ockl_fprintf_append_string_n:         ; @__ockl_fprintf_append_string_n
; %bb.0:
	s_waitcnt vmcnt(0) expcnt(0) lgkmcnt(0)
	v_dual_mov_b32 v8, v3 :: v_dual_mov_b32 v7, v2
	v_or_b32_e32 v2, 2, v0
	v_cmp_eq_u32_e32 vcc_lo, 0, v6
	v_mbcnt_lo_u32_b32 v33, -1, 0
	s_mov_b32 s11, 0
	s_mov_b32 s0, exec_lo
	v_cndmask_b32_e32 v0, v2, v0, vcc_lo
	v_cmpx_ne_u64_e32 0, v[7:8]
	s_xor_b32 s10, exec_lo, s0
	s_cbranch_execz .LBB0_86
; %bb.1:
	s_load_b64 s[2:3], s[8:9], 0x50
	v_dual_mov_b32 v11, 2 :: v_dual_and_b32 v6, 2, v0
	v_mov_b32_e32 v10, 0
	v_and_b32_e32 v0, -3, v0
	v_mov_b32_e32 v12, 1
	s_mov_b32 s12, 0
	s_branch .LBB0_3
.LBB0_2:                                ;   in Loop: Header=BB0_3 Depth=1
	s_or_b32 exec_lo, exec_lo, s1
	v_sub_co_u32 v4, vcc_lo, v4, v29
	v_sub_co_ci_u32_e32 v5, vcc_lo, v5, v30, vcc_lo
	v_add_co_u32 v7, s0, v7, v29
	s_delay_alu instid0(VALU_DEP_1) | instskip(NEXT) | instid1(VALU_DEP_3)
	v_add_co_ci_u32_e64 v8, s0, v8, v30, s0
	v_cmp_eq_u64_e32 vcc_lo, 0, v[4:5]
	s_or_b32 s12, vcc_lo, s12
	s_delay_alu instid0(SALU_CYCLE_1)
	s_and_not1_b32 exec_lo, exec_lo, s12
	s_cbranch_execz .LBB0_85
.LBB0_3:                                ; =>This Loop Header: Depth=1
                                        ;     Child Loop BB0_6 Depth 2
                                        ;     Child Loop BB0_14 Depth 2
	;; [unrolled: 1-line block ×11, first 2 shown]
	v_cmp_gt_u64_e32 vcc_lo, 56, v[4:5]
	s_mov_b32 s1, exec_lo
                                        ; implicit-def: $vgpr2_vgpr3
                                        ; implicit-def: $sgpr4
	v_dual_cndmask_b32 v30, 0, v5 :: v_dual_cndmask_b32 v29, 56, v4
	v_cmpx_gt_u64_e32 8, v[4:5]
	s_xor_b32 s1, exec_lo, s1
	s_cbranch_execz .LBB0_9
; %bb.4:                                ;   in Loop: Header=BB0_3 Depth=1
	s_waitcnt vmcnt(0)
	v_mov_b32_e32 v2, 0
	v_mov_b32_e32 v3, 0
	s_mov_b64 s[4:5], 0
	s_mov_b32 s6, exec_lo
	v_cmpx_ne_u64_e32 0, v[4:5]
	s_cbranch_execz .LBB0_8
; %bb.5:                                ;   in Loop: Header=BB0_3 Depth=1
	v_lshlrev_b64 v[13:14], 3, v[29:30]
	v_dual_mov_b32 v2, 0 :: v_dual_mov_b32 v15, v8
	v_dual_mov_b32 v3, 0 :: v_dual_mov_b32 v14, v7
	s_mov_b32 s7, 0
	.p2align	6
.LBB0_6:                                ;   Parent Loop BB0_3 Depth=1
                                        ; =>  This Inner Loop Header: Depth=2
	flat_load_u8 v9, v[14:15]
	v_mov_b32_e32 v17, s11
	v_add_co_u32 v14, vcc_lo, v14, 1
	v_add_co_ci_u32_e32 v15, vcc_lo, 0, v15, vcc_lo
	s_waitcnt vmcnt(0) lgkmcnt(0)
	v_and_b32_e32 v16, 0xffff, v9
	s_delay_alu instid0(VALU_DEP_1) | instskip(SKIP_3) | instid1(VALU_DEP_2)
	v_lshlrev_b64 v[16:17], s4, v[16:17]
	s_add_u32 s4, s4, 8
	s_addc_u32 s5, s5, 0
	v_cmp_eq_u32_e64 s0, s4, v13
	v_or_b32_e32 v3, v17, v3
	s_delay_alu instid0(VALU_DEP_3) | instskip(NEXT) | instid1(VALU_DEP_3)
	v_or_b32_e32 v2, v16, v2
	s_or_b32 s7, s0, s7
	s_delay_alu instid0(SALU_CYCLE_1)
	s_and_not1_b32 exec_lo, exec_lo, s7
	s_cbranch_execnz .LBB0_6
; %bb.7:                                ;   in Loop: Header=BB0_3 Depth=1
	s_or_b32 exec_lo, exec_lo, s7
.LBB0_8:                                ;   in Loop: Header=BB0_3 Depth=1
	s_delay_alu instid0(SALU_CYCLE_1)
	s_or_b32 exec_lo, exec_lo, s6
	s_mov_b32 s4, 0
.LBB0_9:                                ;   in Loop: Header=BB0_3 Depth=1
	s_or_saveexec_b32 s0, s1
	v_dual_mov_b32 v9, s4 :: v_dual_mov_b32 v26, v8
	v_mov_b32_e32 v25, v7
	s_xor_b32 exec_lo, exec_lo, s0
	s_cbranch_execz .LBB0_11
; %bb.10:                               ;   in Loop: Header=BB0_3 Depth=1
	s_waitcnt vmcnt(0)
	flat_load_b64 v[2:3], v[7:8]
	v_add_co_u32 v25, vcc_lo, v7, 8
	v_add_co_ci_u32_e32 v26, vcc_lo, 0, v8, vcc_lo
	s_waitcnt vmcnt(0) lgkmcnt(0)
	v_and_b32_e32 v9, 0xff, v3
	v_and_b32_e32 v13, 0xff00, v3
	;; [unrolled: 1-line block ×4, first 2 shown]
	v_or3_b32 v2, v2, 0, 0
	s_delay_alu instid0(VALU_DEP_4) | instskip(SKIP_1) | instid1(VALU_DEP_2)
	v_or_b32_e32 v13, v9, v13
	v_add_nc_u32_e32 v9, -8, v29
	v_or3_b32 v3, v13, v14, v3
.LBB0_11:                               ;   in Loop: Header=BB0_3 Depth=1
	s_or_b32 exec_lo, exec_lo, s0
                                        ; implicit-def: $vgpr13_vgpr14
                                        ; implicit-def: $sgpr1
	s_delay_alu instid0(SALU_CYCLE_1) | instskip(NEXT) | instid1(VALU_DEP_2)
	s_mov_b32 s0, exec_lo
	v_cmpx_gt_u32_e32 8, v9
	s_xor_b32 s6, exec_lo, s0
	s_cbranch_execz .LBB0_17
; %bb.12:                               ;   in Loop: Header=BB0_3 Depth=1
	v_mov_b32_e32 v13, 0
	v_mov_b32_e32 v14, 0
	s_mov_b32 s7, exec_lo
	v_cmpx_ne_u32_e32 0, v9
	s_cbranch_execz .LBB0_16
; %bb.13:                               ;   in Loop: Header=BB0_3 Depth=1
	v_mov_b32_e32 v13, 0
	v_mov_b32_e32 v14, 0
	s_mov_b64 s[0:1], 0
	s_mov_b32 s13, 0
	s_mov_b64 s[4:5], 0
	.p2align	6
.LBB0_14:                               ;   Parent Loop BB0_3 Depth=1
                                        ; =>  This Inner Loop Header: Depth=2
	s_delay_alu instid0(SALU_CYCLE_1)
	v_add_co_u32 v15, vcc_lo, v25, s4
	v_add_co_ci_u32_e32 v16, vcc_lo, s5, v26, vcc_lo
	s_add_u32 s4, s4, 1
	s_addc_u32 s5, s5, 0
	v_cmp_eq_u32_e32 vcc_lo, s4, v9
	flat_load_u8 v15, v[15:16]
	s_waitcnt vmcnt(0) lgkmcnt(0)
	v_dual_mov_b32 v16, s11 :: v_dual_and_b32 v15, 0xffff, v15
	s_delay_alu instid0(VALU_DEP_1) | instskip(SKIP_3) | instid1(VALU_DEP_1)
	v_lshlrev_b64 v[15:16], s0, v[15:16]
	s_add_u32 s0, s0, 8
	s_addc_u32 s1, s1, 0
	s_or_b32 s13, vcc_lo, s13
	v_or_b32_e32 v14, v16, v14
	s_delay_alu instid0(VALU_DEP_2)
	v_or_b32_e32 v13, v15, v13
	s_and_not1_b32 exec_lo, exec_lo, s13
	s_cbranch_execnz .LBB0_14
; %bb.15:                               ;   in Loop: Header=BB0_3 Depth=1
	s_or_b32 exec_lo, exec_lo, s13
.LBB0_16:                               ;   in Loop: Header=BB0_3 Depth=1
	s_delay_alu instid0(SALU_CYCLE_1)
	s_or_b32 exec_lo, exec_lo, s7
	s_mov_b32 s1, 0
                                        ; implicit-def: $vgpr9
.LBB0_17:                               ;   in Loop: Header=BB0_3 Depth=1
	s_or_saveexec_b32 s0, s6
	v_mov_b32_e32 v17, s1
	s_xor_b32 exec_lo, exec_lo, s0
	s_cbranch_execz .LBB0_19
; %bb.18:                               ;   in Loop: Header=BB0_3 Depth=1
	flat_load_b64 v[13:14], v[25:26]
	v_add_co_u32 v25, vcc_lo, v25, 8
	v_add_nc_u32_e32 v17, -8, v9
	v_add_co_ci_u32_e32 v26, vcc_lo, 0, v26, vcc_lo
	s_waitcnt vmcnt(0) lgkmcnt(0)
	v_and_b32_e32 v15, 0xff, v14
	v_and_b32_e32 v16, 0xff00, v14
	;; [unrolled: 1-line block ×4, first 2 shown]
	v_or3_b32 v13, v13, 0, 0
	s_delay_alu instid0(VALU_DEP_4) | instskip(NEXT) | instid1(VALU_DEP_1)
	v_or_b32_e32 v15, v15, v16
	v_or3_b32 v14, v15, v18, v14
.LBB0_19:                               ;   in Loop: Header=BB0_3 Depth=1
	s_or_b32 exec_lo, exec_lo, s0
                                        ; implicit-def: $sgpr1
	s_delay_alu instid0(SALU_CYCLE_1)
	s_mov_b32 s0, exec_lo
	v_cmpx_gt_u32_e32 8, v17
	s_xor_b32 s6, exec_lo, s0
	s_cbranch_execz .LBB0_25
; %bb.20:                               ;   in Loop: Header=BB0_3 Depth=1
	v_mov_b32_e32 v15, 0
	v_mov_b32_e32 v16, 0
	s_mov_b32 s7, exec_lo
	v_cmpx_ne_u32_e32 0, v17
	s_cbranch_execz .LBB0_24
; %bb.21:                               ;   in Loop: Header=BB0_3 Depth=1
	v_mov_b32_e32 v15, 0
	v_mov_b32_e32 v16, 0
	s_mov_b64 s[0:1], 0
	s_mov_b32 s13, 0
	s_mov_b64 s[4:5], 0
	.p2align	6
.LBB0_22:                               ;   Parent Loop BB0_3 Depth=1
                                        ; =>  This Inner Loop Header: Depth=2
	s_delay_alu instid0(SALU_CYCLE_1)
	v_add_co_u32 v18, vcc_lo, v25, s4
	v_add_co_ci_u32_e32 v19, vcc_lo, s5, v26, vcc_lo
	s_add_u32 s4, s4, 1
	s_addc_u32 s5, s5, 0
	v_cmp_eq_u32_e32 vcc_lo, s4, v17
	flat_load_u8 v9, v[18:19]
	s_waitcnt vmcnt(0) lgkmcnt(0)
	v_dual_mov_b32 v19, s11 :: v_dual_and_b32 v18, 0xffff, v9
	s_delay_alu instid0(VALU_DEP_1) | instskip(SKIP_3) | instid1(VALU_DEP_1)
	v_lshlrev_b64 v[18:19], s0, v[18:19]
	s_add_u32 s0, s0, 8
	s_addc_u32 s1, s1, 0
	s_or_b32 s13, vcc_lo, s13
	v_or_b32_e32 v16, v19, v16
	s_delay_alu instid0(VALU_DEP_2)
	v_or_b32_e32 v15, v18, v15
	s_and_not1_b32 exec_lo, exec_lo, s13
	s_cbranch_execnz .LBB0_22
; %bb.23:                               ;   in Loop: Header=BB0_3 Depth=1
	s_or_b32 exec_lo, exec_lo, s13
.LBB0_24:                               ;   in Loop: Header=BB0_3 Depth=1
	s_delay_alu instid0(SALU_CYCLE_1)
	s_or_b32 exec_lo, exec_lo, s7
	s_mov_b32 s1, 0
                                        ; implicit-def: $vgpr17
.LBB0_25:                               ;   in Loop: Header=BB0_3 Depth=1
	s_or_saveexec_b32 s0, s6
	v_mov_b32_e32 v9, s1
	s_xor_b32 exec_lo, exec_lo, s0
	s_cbranch_execz .LBB0_27
; %bb.26:                               ;   in Loop: Header=BB0_3 Depth=1
	flat_load_b64 v[15:16], v[25:26]
	v_add_co_u32 v25, vcc_lo, v25, 8
	v_add_co_ci_u32_e32 v26, vcc_lo, 0, v26, vcc_lo
	s_waitcnt vmcnt(0) lgkmcnt(0)
	v_and_b32_e32 v9, 0xff, v16
	v_and_b32_e32 v18, 0xff00, v16
	;; [unrolled: 1-line block ×4, first 2 shown]
	v_or3_b32 v15, v15, 0, 0
	s_delay_alu instid0(VALU_DEP_4) | instskip(SKIP_1) | instid1(VALU_DEP_2)
	v_or_b32_e32 v18, v9, v18
	v_add_nc_u32_e32 v9, -8, v17
	v_or3_b32 v16, v18, v19, v16
.LBB0_27:                               ;   in Loop: Header=BB0_3 Depth=1
	s_or_b32 exec_lo, exec_lo, s0
                                        ; implicit-def: $vgpr17_vgpr18
                                        ; implicit-def: $sgpr1
	s_delay_alu instid0(SALU_CYCLE_1) | instskip(NEXT) | instid1(VALU_DEP_1)
	s_mov_b32 s0, exec_lo
	v_cmpx_gt_u32_e32 8, v9
	s_xor_b32 s6, exec_lo, s0
	s_cbranch_execz .LBB0_33
; %bb.28:                               ;   in Loop: Header=BB0_3 Depth=1
	v_mov_b32_e32 v17, 0
	v_mov_b32_e32 v18, 0
	s_mov_b32 s7, exec_lo
	v_cmpx_ne_u32_e32 0, v9
	s_cbranch_execz .LBB0_32
; %bb.29:                               ;   in Loop: Header=BB0_3 Depth=1
	v_mov_b32_e32 v17, 0
	v_mov_b32_e32 v18, 0
	s_mov_b64 s[0:1], 0
	s_mov_b32 s13, 0
	s_mov_b64 s[4:5], 0
	.p2align	6
.LBB0_30:                               ;   Parent Loop BB0_3 Depth=1
                                        ; =>  This Inner Loop Header: Depth=2
	s_delay_alu instid0(SALU_CYCLE_1)
	v_add_co_u32 v19, vcc_lo, v25, s4
	v_add_co_ci_u32_e32 v20, vcc_lo, s5, v26, vcc_lo
	s_add_u32 s4, s4, 1
	s_addc_u32 s5, s5, 0
	v_cmp_eq_u32_e32 vcc_lo, s4, v9
	flat_load_u8 v19, v[19:20]
	s_waitcnt vmcnt(0) lgkmcnt(0)
	v_dual_mov_b32 v20, s11 :: v_dual_and_b32 v19, 0xffff, v19
	s_delay_alu instid0(VALU_DEP_1) | instskip(SKIP_3) | instid1(VALU_DEP_1)
	v_lshlrev_b64 v[19:20], s0, v[19:20]
	s_add_u32 s0, s0, 8
	s_addc_u32 s1, s1, 0
	s_or_b32 s13, vcc_lo, s13
	v_or_b32_e32 v18, v20, v18
	s_delay_alu instid0(VALU_DEP_2)
	v_or_b32_e32 v17, v19, v17
	s_and_not1_b32 exec_lo, exec_lo, s13
	s_cbranch_execnz .LBB0_30
; %bb.31:                               ;   in Loop: Header=BB0_3 Depth=1
	s_or_b32 exec_lo, exec_lo, s13
.LBB0_32:                               ;   in Loop: Header=BB0_3 Depth=1
	s_delay_alu instid0(SALU_CYCLE_1)
	s_or_b32 exec_lo, exec_lo, s7
	s_mov_b32 s1, 0
                                        ; implicit-def: $vgpr9
.LBB0_33:                               ;   in Loop: Header=BB0_3 Depth=1
	s_or_saveexec_b32 s0, s6
	v_mov_b32_e32 v21, s1
	s_xor_b32 exec_lo, exec_lo, s0
	s_cbranch_execz .LBB0_35
; %bb.34:                               ;   in Loop: Header=BB0_3 Depth=1
	flat_load_b64 v[17:18], v[25:26]
	v_add_co_u32 v25, vcc_lo, v25, 8
	v_add_nc_u32_e32 v21, -8, v9
	v_add_co_ci_u32_e32 v26, vcc_lo, 0, v26, vcc_lo
	s_waitcnt vmcnt(0) lgkmcnt(0)
	v_and_b32_e32 v19, 0xff, v18
	v_and_b32_e32 v20, 0xff00, v18
	;; [unrolled: 1-line block ×4, first 2 shown]
	v_or3_b32 v17, v17, 0, 0
	s_delay_alu instid0(VALU_DEP_4) | instskip(NEXT) | instid1(VALU_DEP_1)
	v_or_b32_e32 v19, v19, v20
	v_or3_b32 v18, v19, v22, v18
.LBB0_35:                               ;   in Loop: Header=BB0_3 Depth=1
	s_or_b32 exec_lo, exec_lo, s0
                                        ; implicit-def: $sgpr1
	s_delay_alu instid0(SALU_CYCLE_1)
	s_mov_b32 s0, exec_lo
	v_cmpx_gt_u32_e32 8, v21
	s_xor_b32 s6, exec_lo, s0
	s_cbranch_execz .LBB0_41
; %bb.36:                               ;   in Loop: Header=BB0_3 Depth=1
	v_mov_b32_e32 v19, 0
	v_mov_b32_e32 v20, 0
	s_mov_b32 s7, exec_lo
	v_cmpx_ne_u32_e32 0, v21
	s_cbranch_execz .LBB0_40
; %bb.37:                               ;   in Loop: Header=BB0_3 Depth=1
	v_mov_b32_e32 v19, 0
	v_mov_b32_e32 v20, 0
	s_mov_b64 s[0:1], 0
	s_mov_b32 s13, 0
	s_mov_b64 s[4:5], 0
	.p2align	6
.LBB0_38:                               ;   Parent Loop BB0_3 Depth=1
                                        ; =>  This Inner Loop Header: Depth=2
	s_delay_alu instid0(SALU_CYCLE_1)
	v_add_co_u32 v22, vcc_lo, v25, s4
	v_add_co_ci_u32_e32 v23, vcc_lo, s5, v26, vcc_lo
	s_add_u32 s4, s4, 1
	s_addc_u32 s5, s5, 0
	v_cmp_eq_u32_e32 vcc_lo, s4, v21
	flat_load_u8 v9, v[22:23]
	s_waitcnt vmcnt(0) lgkmcnt(0)
	v_dual_mov_b32 v23, s11 :: v_dual_and_b32 v22, 0xffff, v9
	s_delay_alu instid0(VALU_DEP_1) | instskip(SKIP_3) | instid1(VALU_DEP_1)
	v_lshlrev_b64 v[22:23], s0, v[22:23]
	s_add_u32 s0, s0, 8
	s_addc_u32 s1, s1, 0
	s_or_b32 s13, vcc_lo, s13
	v_or_b32_e32 v20, v23, v20
	s_delay_alu instid0(VALU_DEP_2)
	v_or_b32_e32 v19, v22, v19
	s_and_not1_b32 exec_lo, exec_lo, s13
	s_cbranch_execnz .LBB0_38
; %bb.39:                               ;   in Loop: Header=BB0_3 Depth=1
	s_or_b32 exec_lo, exec_lo, s13
.LBB0_40:                               ;   in Loop: Header=BB0_3 Depth=1
	s_delay_alu instid0(SALU_CYCLE_1)
	s_or_b32 exec_lo, exec_lo, s7
	s_mov_b32 s1, 0
                                        ; implicit-def: $vgpr21
.LBB0_41:                               ;   in Loop: Header=BB0_3 Depth=1
	s_or_saveexec_b32 s0, s6
	v_mov_b32_e32 v9, s1
	s_xor_b32 exec_lo, exec_lo, s0
	s_cbranch_execz .LBB0_43
; %bb.42:                               ;   in Loop: Header=BB0_3 Depth=1
	flat_load_b64 v[19:20], v[25:26]
	v_add_co_u32 v25, vcc_lo, v25, 8
	v_add_co_ci_u32_e32 v26, vcc_lo, 0, v26, vcc_lo
	s_waitcnt vmcnt(0) lgkmcnt(0)
	v_and_b32_e32 v9, 0xff, v20
	v_and_b32_e32 v22, 0xff00, v20
	;; [unrolled: 1-line block ×4, first 2 shown]
	v_or3_b32 v19, v19, 0, 0
	s_delay_alu instid0(VALU_DEP_4) | instskip(SKIP_1) | instid1(VALU_DEP_2)
	v_or_b32_e32 v22, v9, v22
	v_add_nc_u32_e32 v9, -8, v21
	v_or3_b32 v20, v22, v23, v20
.LBB0_43:                               ;   in Loop: Header=BB0_3 Depth=1
	s_or_b32 exec_lo, exec_lo, s0
                                        ; implicit-def: $vgpr21_vgpr22
                                        ; implicit-def: $sgpr1
	s_delay_alu instid0(SALU_CYCLE_1) | instskip(NEXT) | instid1(VALU_DEP_1)
	s_mov_b32 s0, exec_lo
	v_cmpx_gt_u32_e32 8, v9
	s_xor_b32 s6, exec_lo, s0
	s_cbranch_execz .LBB0_49
; %bb.44:                               ;   in Loop: Header=BB0_3 Depth=1
	v_mov_b32_e32 v21, 0
	v_mov_b32_e32 v22, 0
	s_mov_b32 s7, exec_lo
	v_cmpx_ne_u32_e32 0, v9
	s_cbranch_execz .LBB0_48
; %bb.45:                               ;   in Loop: Header=BB0_3 Depth=1
	v_mov_b32_e32 v21, 0
	v_mov_b32_e32 v22, 0
	s_mov_b64 s[0:1], 0
	s_mov_b32 s13, 0
	s_mov_b64 s[4:5], 0
	.p2align	6
.LBB0_46:                               ;   Parent Loop BB0_3 Depth=1
                                        ; =>  This Inner Loop Header: Depth=2
	s_delay_alu instid0(SALU_CYCLE_1)
	v_add_co_u32 v23, vcc_lo, v25, s4
	v_add_co_ci_u32_e32 v24, vcc_lo, s5, v26, vcc_lo
	s_add_u32 s4, s4, 1
	s_addc_u32 s5, s5, 0
	v_cmp_eq_u32_e32 vcc_lo, s4, v9
	flat_load_u8 v23, v[23:24]
	s_waitcnt vmcnt(0) lgkmcnt(0)
	v_dual_mov_b32 v24, s11 :: v_dual_and_b32 v23, 0xffff, v23
	s_delay_alu instid0(VALU_DEP_1) | instskip(SKIP_3) | instid1(VALU_DEP_1)
	v_lshlrev_b64 v[23:24], s0, v[23:24]
	s_add_u32 s0, s0, 8
	s_addc_u32 s1, s1, 0
	s_or_b32 s13, vcc_lo, s13
	v_or_b32_e32 v22, v24, v22
	s_delay_alu instid0(VALU_DEP_2)
	v_or_b32_e32 v21, v23, v21
	s_and_not1_b32 exec_lo, exec_lo, s13
	s_cbranch_execnz .LBB0_46
; %bb.47:                               ;   in Loop: Header=BB0_3 Depth=1
	s_or_b32 exec_lo, exec_lo, s13
.LBB0_48:                               ;   in Loop: Header=BB0_3 Depth=1
	s_delay_alu instid0(SALU_CYCLE_1)
	s_or_b32 exec_lo, exec_lo, s7
	s_mov_b32 s1, 0
                                        ; implicit-def: $vgpr9
.LBB0_49:                               ;   in Loop: Header=BB0_3 Depth=1
	s_or_saveexec_b32 s0, s6
	v_mov_b32_e32 v27, s1
	s_xor_b32 exec_lo, exec_lo, s0
	s_cbranch_execz .LBB0_51
; %bb.50:                               ;   in Loop: Header=BB0_3 Depth=1
	flat_load_b64 v[21:22], v[25:26]
	v_add_co_u32 v25, vcc_lo, v25, 8
	v_add_nc_u32_e32 v27, -8, v9
	v_add_co_ci_u32_e32 v26, vcc_lo, 0, v26, vcc_lo
	s_waitcnt vmcnt(0) lgkmcnt(0)
	v_and_b32_e32 v23, 0xff, v22
	v_and_b32_e32 v24, 0xff00, v22
	;; [unrolled: 1-line block ×4, first 2 shown]
	v_or3_b32 v21, v21, 0, 0
	s_delay_alu instid0(VALU_DEP_4) | instskip(NEXT) | instid1(VALU_DEP_1)
	v_or_b32_e32 v23, v23, v24
	v_or3_b32 v22, v23, v28, v22
.LBB0_51:                               ;   in Loop: Header=BB0_3 Depth=1
	s_or_b32 exec_lo, exec_lo, s0
	s_delay_alu instid0(SALU_CYCLE_1)
	s_mov_b32 s0, exec_lo
	v_cmpx_gt_u32_e32 8, v27
	s_xor_b32 s4, exec_lo, s0
	s_cbranch_execz .LBB0_57
; %bb.52:                               ;   in Loop: Header=BB0_3 Depth=1
	v_mov_b32_e32 v23, 0
	v_mov_b32_e32 v24, 0
	s_mov_b32 s5, exec_lo
	v_cmpx_ne_u32_e32 0, v27
	s_cbranch_execz .LBB0_56
; %bb.53:                               ;   in Loop: Header=BB0_3 Depth=1
	v_mov_b32_e32 v23, 0
	v_mov_b32_e32 v24, 0
	s_mov_b64 s[0:1], 0
	s_mov_b32 s6, 0
	.p2align	6
.LBB0_54:                               ;   Parent Loop BB0_3 Depth=1
                                        ; =>  This Inner Loop Header: Depth=2
	flat_load_u8 v9, v[25:26]
	v_dual_mov_b32 v32, s11 :: v_dual_add_nc_u32 v27, -1, v27
	v_add_co_u32 v25, vcc_lo, v25, 1
	v_add_co_ci_u32_e32 v26, vcc_lo, 0, v26, vcc_lo
	s_delay_alu instid0(VALU_DEP_3) | instskip(SKIP_2) | instid1(VALU_DEP_1)
	v_cmp_eq_u32_e32 vcc_lo, 0, v27
	s_waitcnt vmcnt(0) lgkmcnt(0)
	v_and_b32_e32 v31, 0xffff, v9
	v_lshlrev_b64 v[31:32], s0, v[31:32]
	s_add_u32 s0, s0, 8
	s_addc_u32 s1, s1, 0
	s_or_b32 s6, vcc_lo, s6
	s_delay_alu instid0(VALU_DEP_1) | instskip(NEXT) | instid1(VALU_DEP_2)
	v_or_b32_e32 v24, v32, v24
	v_or_b32_e32 v23, v31, v23
	s_and_not1_b32 exec_lo, exec_lo, s6
	s_cbranch_execnz .LBB0_54
; %bb.55:                               ;   in Loop: Header=BB0_3 Depth=1
	s_or_b32 exec_lo, exec_lo, s6
.LBB0_56:                               ;   in Loop: Header=BB0_3 Depth=1
	s_delay_alu instid0(SALU_CYCLE_1)
	s_or_b32 exec_lo, exec_lo, s5
                                        ; implicit-def: $vgpr25_vgpr26
.LBB0_57:                               ;   in Loop: Header=BB0_3 Depth=1
	s_and_not1_saveexec_b32 s0, s4
	s_cbranch_execz .LBB0_59
; %bb.58:                               ;   in Loop: Header=BB0_3 Depth=1
	flat_load_b64 v[23:24], v[25:26]
	s_waitcnt vmcnt(0) lgkmcnt(0)
	v_and_b32_e32 v9, 0xff, v24
	v_and_b32_e32 v25, 0xff00, v24
	;; [unrolled: 1-line block ×4, first 2 shown]
	v_or3_b32 v23, v23, 0, 0
	s_delay_alu instid0(VALU_DEP_4) | instskip(NEXT) | instid1(VALU_DEP_1)
	v_or_b32_e32 v9, v9, v25
	v_or3_b32 v24, v9, v26, v24
.LBB0_59:                               ;   in Loop: Header=BB0_3 Depth=1
	s_or_b32 exec_lo, exec_lo, s0
	v_readfirstlane_b32 s0, v33
	v_mov_b32_e32 v31, 0
	v_mov_b32_e32 v32, 0
	s_delay_alu instid0(VALU_DEP_3) | instskip(NEXT) | instid1(VALU_DEP_1)
	v_cmp_eq_u32_e64 s0, s0, v33
	s_and_saveexec_b32 s1, s0
	s_cbranch_execz .LBB0_65
; %bb.60:                               ;   in Loop: Header=BB0_3 Depth=1
	s_waitcnt lgkmcnt(0)
	global_load_b64 v[27:28], v10, s[2:3] offset:24 glc
	s_waitcnt vmcnt(0)
	buffer_gl1_inv
	buffer_gl0_inv
	s_clause 0x1
	global_load_b64 v[25:26], v10, s[2:3] offset:40
	global_load_b64 v[31:32], v10, s[2:3]
	s_mov_b32 s4, exec_lo
	s_waitcnt vmcnt(1)
	v_and_b32_e32 v9, v26, v28
	v_and_b32_e32 v25, v25, v27
	s_delay_alu instid0(VALU_DEP_2) | instskip(NEXT) | instid1(VALU_DEP_2)
	v_mul_lo_u32 v9, v9, 24
	v_mul_hi_u32 v26, v25, 24
	v_mul_lo_u32 v25, v25, 24
	s_delay_alu instid0(VALU_DEP_2) | instskip(SKIP_1) | instid1(VALU_DEP_2)
	v_add_nc_u32_e32 v9, v26, v9
	s_waitcnt vmcnt(0)
	v_add_co_u32 v25, vcc_lo, v31, v25
	s_delay_alu instid0(VALU_DEP_2)
	v_add_co_ci_u32_e32 v26, vcc_lo, v32, v9, vcc_lo
	global_load_b64 v[25:26], v[25:26], off glc
	s_waitcnt vmcnt(0)
	global_atomic_cmpswap_b64 v[31:32], v10, v[25:28], s[2:3] offset:24 glc
	s_waitcnt vmcnt(0)
	buffer_gl1_inv
	buffer_gl0_inv
	v_cmpx_ne_u64_e64 v[31:32], v[27:28]
	s_cbranch_execz .LBB0_64
; %bb.61:                               ;   in Loop: Header=BB0_3 Depth=1
	s_mov_b32 s5, 0
	.p2align	6
.LBB0_62:                               ;   Parent Loop BB0_3 Depth=1
                                        ; =>  This Inner Loop Header: Depth=2
	s_sleep 1
	s_clause 0x1
	global_load_b64 v[25:26], v10, s[2:3] offset:40
	global_load_b64 v[34:35], v10, s[2:3]
	v_dual_mov_b32 v27, v31 :: v_dual_mov_b32 v28, v32
	s_waitcnt vmcnt(1)
	s_delay_alu instid0(VALU_DEP_1) | instskip(SKIP_1) | instid1(VALU_DEP_1)
	v_and_b32_e32 v9, v25, v27
	s_waitcnt vmcnt(0)
	v_mad_u64_u32 v[31:32], null, v9, 24, v[34:35]
	s_delay_alu instid0(VALU_DEP_1) | instskip(NEXT) | instid1(VALU_DEP_1)
	v_dual_mov_b32 v9, v32 :: v_dual_and_b32 v34, v26, v28
	v_mad_u64_u32 v[25:26], null, v34, 24, v[9:10]
	s_delay_alu instid0(VALU_DEP_1)
	v_mov_b32_e32 v32, v25
	global_load_b64 v[25:26], v[31:32], off glc
	s_waitcnt vmcnt(0)
	global_atomic_cmpswap_b64 v[31:32], v10, v[25:28], s[2:3] offset:24 glc
	s_waitcnt vmcnt(0)
	buffer_gl1_inv
	buffer_gl0_inv
	v_cmp_eq_u64_e32 vcc_lo, v[31:32], v[27:28]
	s_or_b32 s5, vcc_lo, s5
	s_delay_alu instid0(SALU_CYCLE_1)
	s_and_not1_b32 exec_lo, exec_lo, s5
	s_cbranch_execnz .LBB0_62
; %bb.63:                               ;   in Loop: Header=BB0_3 Depth=1
	s_or_b32 exec_lo, exec_lo, s5
.LBB0_64:                               ;   in Loop: Header=BB0_3 Depth=1
	s_delay_alu instid0(SALU_CYCLE_1)
	s_or_b32 exec_lo, exec_lo, s4
.LBB0_65:                               ;   in Loop: Header=BB0_3 Depth=1
	s_delay_alu instid0(SALU_CYCLE_1)
	s_or_b32 exec_lo, exec_lo, s1
	s_waitcnt lgkmcnt(0)
	s_clause 0x1
	global_load_b64 v[34:35], v10, s[2:3] offset:40
	global_load_b128 v[25:28], v10, s[2:3]
	v_readfirstlane_b32 s4, v31
	v_readfirstlane_b32 s5, v32
	s_mov_b32 s1, exec_lo
	s_waitcnt vmcnt(1)
	v_readfirstlane_b32 s6, v34
	v_readfirstlane_b32 s7, v35
	s_delay_alu instid0(VALU_DEP_1) | instskip(NEXT) | instid1(SALU_CYCLE_1)
	s_and_b64 s[6:7], s[4:5], s[6:7]
	s_mul_i32 s13, s7, 24
	s_mul_hi_u32 s14, s6, 24
	s_mul_i32 s15, s6, 24
	s_add_i32 s14, s14, s13
	s_waitcnt vmcnt(0)
	v_add_co_u32 v31, vcc_lo, v25, s15
	v_add_co_ci_u32_e32 v32, vcc_lo, s14, v26, vcc_lo
	s_and_saveexec_b32 s13, s0
	s_cbranch_execz .LBB0_67
; %bb.66:                               ;   in Loop: Header=BB0_3 Depth=1
	v_mov_b32_e32 v9, s1
	global_store_b128 v[31:32], v[9:12], off offset:8
.LBB0_67:                               ;   in Loop: Header=BB0_3 Depth=1
	s_or_b32 exec_lo, exec_lo, s13
	v_cmp_lt_u64_e32 vcc_lo, 56, v[4:5]
	v_or_b32_e32 v9, 0, v1
	v_or_b32_e32 v34, v0, v6
	v_lshl_add_u32 v35, v29, 2, 28
	s_lshl_b64 s[6:7], s[6:7], 12
	s_delay_alu instid0(SALU_CYCLE_1) | instskip(NEXT) | instid1(VALU_DEP_1)
	v_add_co_u32 v27, s1, v27, s6
	v_add_co_ci_u32_e64 v28, s1, s7, v28, s1
	v_dual_cndmask_b32 v1, v9, v1 :: v_dual_cndmask_b32 v0, v34, v0
	v_and_b32_e32 v9, 0x1e0, v35
	v_lshlrev_b32_e32 v34, 6, v33
	v_readfirstlane_b32 s6, v27
	v_readfirstlane_b32 s7, v28
	s_delay_alu instid0(VALU_DEP_4)
	v_and_or_b32 v0, 0xffffff1f, v0, v9
	s_clause 0x3
	global_store_b128 v34, v[0:3], s[6:7]
	global_store_b128 v34, v[13:16], s[6:7] offset:16
	global_store_b128 v34, v[17:20], s[6:7] offset:32
	;; [unrolled: 1-line block ×3, first 2 shown]
	s_and_saveexec_b32 s1, s0
	s_cbranch_execz .LBB0_75
; %bb.68:                               ;   in Loop: Header=BB0_3 Depth=1
	s_clause 0x1
	global_load_b64 v[17:18], v10, s[2:3] offset:32 glc
	global_load_b64 v[0:1], v10, s[2:3] offset:40
	v_dual_mov_b32 v15, s4 :: v_dual_mov_b32 v16, s5
	s_waitcnt vmcnt(0)
	v_readfirstlane_b32 s6, v0
	v_readfirstlane_b32 s7, v1
	s_delay_alu instid0(VALU_DEP_1) | instskip(NEXT) | instid1(SALU_CYCLE_1)
	s_and_b64 s[6:7], s[6:7], s[4:5]
	s_mul_i32 s7, s7, 24
	s_mul_hi_u32 s13, s6, 24
	s_mul_i32 s6, s6, 24
	s_add_i32 s13, s13, s7
	v_add_co_u32 v13, vcc_lo, v25, s6
	v_add_co_ci_u32_e32 v14, vcc_lo, s13, v26, vcc_lo
	s_mov_b32 s6, exec_lo
	global_store_b64 v[13:14], v[17:18], off
	s_waitcnt_vscnt null, 0x0
	global_atomic_cmpswap_b64 v[2:3], v10, v[15:18], s[2:3] offset:32 glc
	s_waitcnt vmcnt(0)
	v_cmpx_ne_u64_e64 v[2:3], v[17:18]
	s_cbranch_execz .LBB0_71
; %bb.69:                               ;   in Loop: Header=BB0_3 Depth=1
	s_mov_b32 s7, 0
.LBB0_70:                               ;   Parent Loop BB0_3 Depth=1
                                        ; =>  This Inner Loop Header: Depth=2
	v_dual_mov_b32 v0, s4 :: v_dual_mov_b32 v1, s5
	s_sleep 1
	global_store_b64 v[13:14], v[2:3], off
	s_waitcnt_vscnt null, 0x0
	global_atomic_cmpswap_b64 v[0:1], v10, v[0:3], s[2:3] offset:32 glc
	s_waitcnt vmcnt(0)
	v_cmp_eq_u64_e32 vcc_lo, v[0:1], v[2:3]
	v_dual_mov_b32 v3, v1 :: v_dual_mov_b32 v2, v0
	s_or_b32 s7, vcc_lo, s7
	s_delay_alu instid0(SALU_CYCLE_1)
	s_and_not1_b32 exec_lo, exec_lo, s7
	s_cbranch_execnz .LBB0_70
.LBB0_71:                               ;   in Loop: Header=BB0_3 Depth=1
	s_or_b32 exec_lo, exec_lo, s6
	global_load_b64 v[0:1], v10, s[2:3] offset:16
	s_mov_b32 s7, exec_lo
	s_mov_b32 s6, exec_lo
	v_mbcnt_lo_u32_b32 v2, s7, 0
	s_delay_alu instid0(VALU_DEP_1)
	v_cmpx_eq_u32_e32 0, v2
	s_cbranch_execz .LBB0_73
; %bb.72:                               ;   in Loop: Header=BB0_3 Depth=1
	s_bcnt1_i32_b32 s7, s7
	s_delay_alu instid0(SALU_CYCLE_1)
	v_mov_b32_e32 v9, s7
	s_waitcnt vmcnt(0)
	global_atomic_add_u64 v[0:1], v[9:10], off offset:8
.LBB0_73:                               ;   in Loop: Header=BB0_3 Depth=1
	s_or_b32 exec_lo, exec_lo, s6
	s_waitcnt vmcnt(0)
	global_load_b64 v[2:3], v[0:1], off offset:16
	s_waitcnt vmcnt(0)
	v_cmp_eq_u64_e32 vcc_lo, 0, v[2:3]
	s_cbranch_vccnz .LBB0_75
; %bb.74:                               ;   in Loop: Header=BB0_3 Depth=1
	global_load_b32 v9, v[0:1], off offset:24
	s_waitcnt vmcnt(0)
	v_and_b32_e32 v0, 0xffffff, v9
	s_waitcnt_vscnt null, 0x0
	global_store_b64 v[2:3], v[9:10], off
	v_readfirstlane_b32 m0, v0
	s_sendmsg sendmsg(MSG_INTERRUPT)
.LBB0_75:                               ;   in Loop: Header=BB0_3 Depth=1
	s_or_b32 exec_lo, exec_lo, s1
	v_add_co_u32 v0, vcc_lo, v27, v34
	v_add_co_ci_u32_e32 v1, vcc_lo, 0, v28, vcc_lo
	s_branch .LBB0_79
	.p2align	6
.LBB0_76:                               ;   in Loop: Header=BB0_79 Depth=2
	s_or_b32 exec_lo, exec_lo, s1
	s_delay_alu instid0(VALU_DEP_1) | instskip(NEXT) | instid1(VALU_DEP_1)
	v_readfirstlane_b32 s1, v2
	s_cmp_eq_u32 s1, 0
	s_cbranch_scc1 .LBB0_78
; %bb.77:                               ;   in Loop: Header=BB0_79 Depth=2
	s_sleep 1
	s_cbranch_execnz .LBB0_79
	s_branch .LBB0_81
	.p2align	6
.LBB0_78:                               ;   in Loop: Header=BB0_3 Depth=1
	s_branch .LBB0_81
.LBB0_79:                               ;   Parent Loop BB0_3 Depth=1
                                        ; =>  This Inner Loop Header: Depth=2
	v_mov_b32_e32 v2, 1
	s_and_saveexec_b32 s1, s0
	s_cbranch_execz .LBB0_76
; %bb.80:                               ;   in Loop: Header=BB0_79 Depth=2
	global_load_b32 v2, v[31:32], off offset:20 glc
	s_waitcnt vmcnt(0)
	buffer_gl1_inv
	buffer_gl0_inv
	v_and_b32_e32 v2, 1, v2
	s_branch .LBB0_76
.LBB0_81:                               ;   in Loop: Header=BB0_3 Depth=1
	global_load_b128 v[0:3], v[0:1], off
	s_and_saveexec_b32 s1, s0
	s_cbranch_execz .LBB0_2
; %bb.82:                               ;   in Loop: Header=BB0_3 Depth=1
	s_clause 0x2
	global_load_b64 v[2:3], v10, s[2:3] offset:40
	global_load_b64 v[17:18], v10, s[2:3] offset:24 glc
	global_load_b64 v[15:16], v10, s[2:3]
	s_waitcnt vmcnt(2)
	v_add_co_u32 v9, vcc_lo, v2, 1
	v_add_co_ci_u32_e32 v19, vcc_lo, 0, v3, vcc_lo
	s_delay_alu instid0(VALU_DEP_2) | instskip(NEXT) | instid1(VALU_DEP_2)
	v_add_co_u32 v13, vcc_lo, v9, s4
	v_add_co_ci_u32_e32 v14, vcc_lo, s5, v19, vcc_lo
	s_delay_alu instid0(VALU_DEP_1) | instskip(SKIP_1) | instid1(VALU_DEP_1)
	v_cmp_eq_u64_e32 vcc_lo, 0, v[13:14]
	v_dual_cndmask_b32 v14, v14, v19 :: v_dual_cndmask_b32 v13, v13, v9
	v_and_b32_e32 v3, v14, v3
	s_delay_alu instid0(VALU_DEP_2) | instskip(NEXT) | instid1(VALU_DEP_2)
	v_and_b32_e32 v2, v13, v2
	v_mul_lo_u32 v3, v3, 24
	s_delay_alu instid0(VALU_DEP_2) | instskip(SKIP_1) | instid1(VALU_DEP_2)
	v_mul_hi_u32 v9, v2, 24
	v_mul_lo_u32 v2, v2, 24
	v_add_nc_u32_e32 v3, v9, v3
	s_waitcnt vmcnt(0)
	s_delay_alu instid0(VALU_DEP_2) | instskip(SKIP_1) | instid1(VALU_DEP_3)
	v_add_co_u32 v2, vcc_lo, v15, v2
	v_mov_b32_e32 v15, v17
	v_add_co_ci_u32_e32 v3, vcc_lo, v16, v3, vcc_lo
	v_mov_b32_e32 v16, v18
	global_store_b64 v[2:3], v[17:18], off
	s_waitcnt_vscnt null, 0x0
	global_atomic_cmpswap_b64 v[15:16], v10, v[13:16], s[2:3] offset:24 glc
	s_waitcnt vmcnt(0)
	v_cmp_ne_u64_e32 vcc_lo, v[15:16], v[17:18]
	s_and_b32 exec_lo, exec_lo, vcc_lo
	s_cbranch_execz .LBB0_2
; %bb.83:                               ;   in Loop: Header=BB0_3 Depth=1
	s_mov_b32 s0, 0
.LBB0_84:                               ;   Parent Loop BB0_3 Depth=1
                                        ; =>  This Inner Loop Header: Depth=2
	s_sleep 1
	global_store_b64 v[2:3], v[15:16], off
	s_waitcnt_vscnt null, 0x0
	global_atomic_cmpswap_b64 v[17:18], v10, v[13:16], s[2:3] offset:24 glc
	s_waitcnt vmcnt(0)
	v_cmp_eq_u64_e32 vcc_lo, v[17:18], v[15:16]
	v_dual_mov_b32 v15, v17 :: v_dual_mov_b32 v16, v18
	s_or_b32 s0, vcc_lo, s0
	s_delay_alu instid0(SALU_CYCLE_1)
	s_and_not1_b32 exec_lo, exec_lo, s0
	s_cbranch_execnz .LBB0_84
	s_branch .LBB0_2
.LBB0_85:
	s_or_b32 exec_lo, exec_lo, s12
                                        ; implicit-def: $vgpr0
                                        ; implicit-def: $vgpr33
                                        ; implicit-def: $vgpr1
.LBB0_86:
	s_and_not1_saveexec_b32 s1, s10
	s_cbranch_execz .LBB0_108
; %bb.87:
	s_load_b64 s[2:3], s[8:9], 0x50
	v_readfirstlane_b32 s0, v33
	v_mov_b32_e32 v8, 0
	v_mov_b32_e32 v9, 0
	s_delay_alu instid0(VALU_DEP_3) | instskip(NEXT) | instid1(VALU_DEP_1)
	v_cmp_eq_u32_e64 s0, s0, v33
	s_and_saveexec_b32 s4, s0
	s_cbranch_execz .LBB0_93
; %bb.88:
	s_waitcnt vmcnt(0)
	v_mov_b32_e32 v2, 0
	s_mov_b32 s5, exec_lo
	s_waitcnt lgkmcnt(0)
	global_load_b64 v[5:6], v2, s[2:3] offset:24 glc
	s_waitcnt vmcnt(0)
	buffer_gl1_inv
	buffer_gl0_inv
	s_clause 0x1
	global_load_b64 v[3:4], v2, s[2:3] offset:40
	global_load_b64 v[7:8], v2, s[2:3]
	s_waitcnt vmcnt(1)
	v_and_b32_e32 v3, v3, v5
	v_and_b32_e32 v4, v4, v6
	s_delay_alu instid0(VALU_DEP_2) | instskip(NEXT) | instid1(VALU_DEP_2)
	v_mul_hi_u32 v9, v3, 24
	v_mul_lo_u32 v4, v4, 24
	v_mul_lo_u32 v3, v3, 24
	s_delay_alu instid0(VALU_DEP_2) | instskip(SKIP_1) | instid1(VALU_DEP_2)
	v_add_nc_u32_e32 v4, v9, v4
	s_waitcnt vmcnt(0)
	v_add_co_u32 v3, vcc_lo, v7, v3
	s_delay_alu instid0(VALU_DEP_2)
	v_add_co_ci_u32_e32 v4, vcc_lo, v8, v4, vcc_lo
	global_load_b64 v[3:4], v[3:4], off glc
	s_waitcnt vmcnt(0)
	global_atomic_cmpswap_b64 v[8:9], v2, v[3:6], s[2:3] offset:24 glc
	s_waitcnt vmcnt(0)
	buffer_gl1_inv
	buffer_gl0_inv
	v_cmpx_ne_u64_e64 v[8:9], v[5:6]
	s_cbranch_execz .LBB0_92
; %bb.89:
	s_mov_b32 s6, 0
	.p2align	6
.LBB0_90:                               ; =>This Inner Loop Header: Depth=1
	s_sleep 1
	s_clause 0x1
	global_load_b64 v[3:4], v2, s[2:3] offset:40
	global_load_b64 v[10:11], v2, s[2:3]
	v_dual_mov_b32 v5, v8 :: v_dual_mov_b32 v6, v9
	s_waitcnt vmcnt(1)
	s_delay_alu instid0(VALU_DEP_1) | instskip(NEXT) | instid1(VALU_DEP_2)
	v_and_b32_e32 v3, v3, v5
	v_and_b32_e32 v4, v4, v6
	s_waitcnt vmcnt(0)
	s_delay_alu instid0(VALU_DEP_2) | instskip(NEXT) | instid1(VALU_DEP_1)
	v_mad_u64_u32 v[7:8], null, v3, 24, v[10:11]
	v_mov_b32_e32 v3, v8
	s_delay_alu instid0(VALU_DEP_1)
	v_mad_u64_u32 v[8:9], null, v4, 24, v[3:4]
	global_load_b64 v[3:4], v[7:8], off glc
	s_waitcnt vmcnt(0)
	global_atomic_cmpswap_b64 v[8:9], v2, v[3:6], s[2:3] offset:24 glc
	s_waitcnt vmcnt(0)
	buffer_gl1_inv
	buffer_gl0_inv
	v_cmp_eq_u64_e32 vcc_lo, v[8:9], v[5:6]
	s_or_b32 s6, vcc_lo, s6
	s_delay_alu instid0(SALU_CYCLE_1)
	s_and_not1_b32 exec_lo, exec_lo, s6
	s_cbranch_execnz .LBB0_90
; %bb.91:
	s_or_b32 exec_lo, exec_lo, s6
.LBB0_92:
	s_delay_alu instid0(SALU_CYCLE_1)
	s_or_b32 exec_lo, exec_lo, s5
.LBB0_93:
	s_delay_alu instid0(SALU_CYCLE_1)
	s_or_b32 exec_lo, exec_lo, s4
	s_waitcnt vmcnt(0)
	v_mov_b32_e32 v2, 0
	v_readfirstlane_b32 s4, v8
	v_readfirstlane_b32 s5, v9
	s_mov_b32 s8, exec_lo
	s_waitcnt lgkmcnt(0)
	s_clause 0x1
	global_load_b64 v[10:11], v2, s[2:3] offset:40
	global_load_b128 v[4:7], v2, s[2:3]
	s_waitcnt vmcnt(1)
	v_readfirstlane_b32 s6, v10
	v_readfirstlane_b32 s7, v11
	s_delay_alu instid0(VALU_DEP_1) | instskip(NEXT) | instid1(SALU_CYCLE_1)
	s_and_b64 s[6:7], s[4:5], s[6:7]
	s_mul_i32 s9, s7, 24
	s_mul_hi_u32 s10, s6, 24
	s_mul_i32 s11, s6, 24
	s_add_i32 s10, s10, s9
	s_waitcnt vmcnt(0)
	v_add_co_u32 v8, vcc_lo, v4, s11
	v_add_co_ci_u32_e32 v9, vcc_lo, s10, v5, vcc_lo
	s_and_saveexec_b32 s9, s0
	s_cbranch_execz .LBB0_95
; %bb.94:
	v_dual_mov_b32 v10, s8 :: v_dual_mov_b32 v11, v2
	v_dual_mov_b32 v12, 2 :: v_dual_mov_b32 v13, 1
	global_store_b128 v[8:9], v[10:13], off offset:8
.LBB0_95:
	s_or_b32 exec_lo, exec_lo, s9
	s_lshl_b64 s[6:7], s[6:7], 12
	s_mov_b32 s8, 0
	v_add_co_u32 v6, vcc_lo, v6, s6
	v_add_co_ci_u32_e32 v7, vcc_lo, s7, v7, vcc_lo
	s_mov_b32 s11, s8
	s_mov_b32 s9, s8
	;; [unrolled: 1-line block ×3, first 2 shown]
	v_and_or_b32 v0, 0xffffff1f, v0, 32
	v_dual_mov_b32 v3, v2 :: v_dual_lshlrev_b32 v14, 6, v33
	v_readfirstlane_b32 s6, v6
	v_readfirstlane_b32 s7, v7
	v_dual_mov_b32 v13, s11 :: v_dual_mov_b32 v12, s10
	v_dual_mov_b32 v11, s9 :: v_dual_mov_b32 v10, s8
	s_clause 0x3
	global_store_b128 v14, v[0:3], s[6:7]
	global_store_b128 v14, v[10:13], s[6:7] offset:16
	global_store_b128 v14, v[10:13], s[6:7] offset:32
	;; [unrolled: 1-line block ×3, first 2 shown]
	s_and_saveexec_b32 s6, s0
	s_cbranch_execz .LBB0_102
; %bb.96:
	v_mov_b32_e32 v6, 0
	s_mov_b32 s7, exec_lo
	s_clause 0x1
	global_load_b64 v[12:13], v6, s[2:3] offset:32 glc
	global_load_b64 v[0:1], v6, s[2:3] offset:40
	v_dual_mov_b32 v11, s5 :: v_dual_mov_b32 v10, s4
	s_waitcnt vmcnt(0)
	v_and_b32_e32 v1, s5, v1
	v_and_b32_e32 v0, s4, v0
	s_delay_alu instid0(VALU_DEP_2) | instskip(NEXT) | instid1(VALU_DEP_2)
	v_mul_lo_u32 v1, v1, 24
	v_mul_hi_u32 v2, v0, 24
	v_mul_lo_u32 v0, v0, 24
	s_delay_alu instid0(VALU_DEP_2) | instskip(NEXT) | instid1(VALU_DEP_2)
	v_add_nc_u32_e32 v1, v2, v1
	v_add_co_u32 v4, vcc_lo, v4, v0
	s_delay_alu instid0(VALU_DEP_2)
	v_add_co_ci_u32_e32 v5, vcc_lo, v5, v1, vcc_lo
	global_store_b64 v[4:5], v[12:13], off
	s_waitcnt_vscnt null, 0x0
	global_atomic_cmpswap_b64 v[2:3], v6, v[10:13], s[2:3] offset:32 glc
	s_waitcnt vmcnt(0)
	v_cmpx_ne_u64_e64 v[2:3], v[12:13]
	s_cbranch_execz .LBB0_98
.LBB0_97:                               ; =>This Inner Loop Header: Depth=1
	v_dual_mov_b32 v0, s4 :: v_dual_mov_b32 v1, s5
	s_sleep 1
	global_store_b64 v[4:5], v[2:3], off
	s_waitcnt_vscnt null, 0x0
	global_atomic_cmpswap_b64 v[0:1], v6, v[0:3], s[2:3] offset:32 glc
	s_waitcnt vmcnt(0)
	v_cmp_eq_u64_e32 vcc_lo, v[0:1], v[2:3]
	v_dual_mov_b32 v3, v1 :: v_dual_mov_b32 v2, v0
	s_or_b32 s8, vcc_lo, s8
	s_delay_alu instid0(SALU_CYCLE_1)
	s_and_not1_b32 exec_lo, exec_lo, s8
	s_cbranch_execnz .LBB0_97
.LBB0_98:
	s_or_b32 exec_lo, exec_lo, s7
	v_mov_b32_e32 v3, 0
	s_mov_b32 s8, exec_lo
	s_mov_b32 s7, exec_lo
	v_mbcnt_lo_u32_b32 v2, s8, 0
	global_load_b64 v[0:1], v3, s[2:3] offset:16
	v_cmpx_eq_u32_e32 0, v2
	s_cbranch_execz .LBB0_100
; %bb.99:
	s_bcnt1_i32_b32 s8, s8
	s_delay_alu instid0(SALU_CYCLE_1)
	v_mov_b32_e32 v2, s8
	s_waitcnt vmcnt(0)
	global_atomic_add_u64 v[0:1], v[2:3], off offset:8
.LBB0_100:
	s_or_b32 exec_lo, exec_lo, s7
	s_waitcnt vmcnt(0)
	global_load_b64 v[2:3], v[0:1], off offset:16
	s_waitcnt vmcnt(0)
	v_cmp_eq_u64_e32 vcc_lo, 0, v[2:3]
	s_cbranch_vccnz .LBB0_102
; %bb.101:
	global_load_b32 v0, v[0:1], off offset:24
	s_waitcnt vmcnt(0)
	v_dual_mov_b32 v1, 0 :: v_dual_and_b32 v4, 0xffffff, v0
	s_waitcnt_vscnt null, 0x0
	global_store_b64 v[2:3], v[0:1], off
	v_readfirstlane_b32 m0, v4
	s_sendmsg sendmsg(MSG_INTERRUPT)
.LBB0_102:
	s_or_b32 exec_lo, exec_lo, s6
	s_branch .LBB0_106
	.p2align	6
.LBB0_103:                              ;   in Loop: Header=BB0_106 Depth=1
	s_or_b32 exec_lo, exec_lo, s6
	s_delay_alu instid0(VALU_DEP_1) | instskip(NEXT) | instid1(VALU_DEP_1)
	v_readfirstlane_b32 s6, v0
	s_cmp_eq_u32 s6, 0
	s_cbranch_scc1 .LBB0_105
; %bb.104:                              ;   in Loop: Header=BB0_106 Depth=1
	s_sleep 1
	s_cbranch_execnz .LBB0_106
	s_branch .LBB0_109
	.p2align	6
.LBB0_105:
	s_branch .LBB0_109
.LBB0_106:                              ; =>This Inner Loop Header: Depth=1
	v_mov_b32_e32 v0, 1
	s_and_saveexec_b32 s6, s0
	s_cbranch_execz .LBB0_103
; %bb.107:                              ;   in Loop: Header=BB0_106 Depth=1
	global_load_b32 v0, v[8:9], off offset:20 glc
	s_waitcnt vmcnt(0)
	buffer_gl1_inv
	buffer_gl0_inv
	v_and_b32_e32 v0, 1, v0
	s_branch .LBB0_103
.LBB0_108:
	s_or_b32 exec_lo, exec_lo, s1
	s_waitcnt vmcnt(0) lgkmcnt(0)
	s_setpc_b64 s[30:31]
.LBB0_109:
	s_and_saveexec_b32 s6, s0
	s_cbranch_execz .LBB0_113
; %bb.110:
	v_mov_b32_e32 v6, 0
	s_clause 0x2
	global_load_b64 v[2:3], v6, s[2:3] offset:40
	global_load_b64 v[7:8], v6, s[2:3] offset:24 glc
	global_load_b64 v[4:5], v6, s[2:3]
	s_waitcnt vmcnt(2)
	v_add_co_u32 v9, vcc_lo, v2, 1
	v_add_co_ci_u32_e32 v10, vcc_lo, 0, v3, vcc_lo
	s_delay_alu instid0(VALU_DEP_2) | instskip(NEXT) | instid1(VALU_DEP_2)
	v_add_co_u32 v0, vcc_lo, v9, s4
	v_add_co_ci_u32_e32 v1, vcc_lo, s5, v10, vcc_lo
	s_delay_alu instid0(VALU_DEP_1) | instskip(SKIP_1) | instid1(VALU_DEP_1)
	v_cmp_eq_u64_e32 vcc_lo, 0, v[0:1]
	v_dual_cndmask_b32 v1, v1, v10 :: v_dual_cndmask_b32 v0, v0, v9
	v_and_b32_e32 v3, v1, v3
	s_delay_alu instid0(VALU_DEP_2) | instskip(NEXT) | instid1(VALU_DEP_2)
	v_and_b32_e32 v2, v0, v2
	v_mul_lo_u32 v3, v3, 24
	s_delay_alu instid0(VALU_DEP_2) | instskip(SKIP_1) | instid1(VALU_DEP_2)
	v_mul_hi_u32 v9, v2, 24
	v_mul_lo_u32 v2, v2, 24
	v_add_nc_u32_e32 v3, v9, v3
	s_waitcnt vmcnt(0)
	s_delay_alu instid0(VALU_DEP_2) | instskip(SKIP_1) | instid1(VALU_DEP_3)
	v_add_co_u32 v4, vcc_lo, v4, v2
	v_mov_b32_e32 v2, v7
	v_add_co_ci_u32_e32 v5, vcc_lo, v5, v3, vcc_lo
	v_mov_b32_e32 v3, v8
	global_store_b64 v[4:5], v[7:8], off
	s_waitcnt_vscnt null, 0x0
	global_atomic_cmpswap_b64 v[2:3], v6, v[0:3], s[2:3] offset:24 glc
	s_waitcnt vmcnt(0)
	v_cmp_ne_u64_e32 vcc_lo, v[2:3], v[7:8]
	s_and_b32 exec_lo, exec_lo, vcc_lo
	s_cbranch_execz .LBB0_113
; %bb.111:
	s_mov_b32 s0, 0
.LBB0_112:                              ; =>This Inner Loop Header: Depth=1
	s_sleep 1
	global_store_b64 v[4:5], v[2:3], off
	s_waitcnt_vscnt null, 0x0
	global_atomic_cmpswap_b64 v[7:8], v6, v[0:3], s[2:3] offset:24 glc
	s_waitcnt vmcnt(0)
	v_cmp_eq_u64_e32 vcc_lo, v[7:8], v[2:3]
	v_dual_mov_b32 v2, v7 :: v_dual_mov_b32 v3, v8
	s_or_b32 s0, vcc_lo, s0
	s_delay_alu instid0(SALU_CYCLE_1)
	s_and_not1_b32 exec_lo, exec_lo, s0
	s_cbranch_execnz .LBB0_112
.LBB0_113:
	s_or_b32 exec_lo, exec_lo, s6
	s_delay_alu instid0(SALU_CYCLE_1)
	s_or_b32 exec_lo, exec_lo, s1
	s_waitcnt lgkmcnt(0)
	s_setpc_b64 s[30:31]
.Lfunc_end0:
	.size	__ockl_fprintf_append_string_n, .Lfunc_end0-__ockl_fprintf_append_string_n
                                        ; -- End function
	.section	.AMDGPU.csdata,"",@progbits
; Function info:
; codeLenInByte = 4740
; NumSgprs: 34
; NumVgprs: 36
; ScratchSize: 0
; MemoryBound: 0
	.text
	.p2align	2                               ; -- Begin function __assert_fail
	.type	__assert_fail,@function
__assert_fail:                          ; @__assert_fail
; %bb.0:
	s_waitcnt vmcnt(0) expcnt(0) lgkmcnt(0)
	s_mov_b32 s20, s33
	s_mov_b32 s33, s32
	s_or_saveexec_b32 s0, -1
	scratch_store_b32 off, v40, s33 offset:48 ; 4-byte Folded Spill
	s_mov_b32 exec_lo, s0
	v_writelane_b32 v40, s30, 0
	s_add_i32 s32, s32, 64
	v_writelane_b32 v40, s31, 1
	s_getpc_b64 s[0:1]
	s_add_u32 s0, s0, __const.__assert_fail.fmt@rel32@lo+4
	s_addc_u32 s1, s1, __const.__assert_fail.fmt@rel32@hi+12
	s_getpc_b64 s[2:3]
	s_add_u32 s2, s2, __const.__assert_fail.fmt@rel32@lo+20
	s_addc_u32 s3, s3, __const.__assert_fail.fmt@rel32@hi+28
	v_mbcnt_lo_u32_b32 v35, -1, 0
	s_clause 0x1
	s_load_b128 s[4:7], s[0:1], 0x0
	s_load_b128 s[12:15], s[2:3], 0x0
	s_load_b64 s[2:3], s[8:9], 0x50
	v_dual_mov_b32 v5, v1 :: v_dual_mov_b32 v4, v0
	v_mov_b32_e32 v14, 0x73256020
	v_readfirstlane_b32 s0, v35
	v_mov_b32_e32 v0, 0
	v_dual_mov_b32 v2, 0 :: v_dual_mov_b32 v3, 0xa2e
	v_mov_b32_e32 v15, 0x61662027
	v_dual_mov_b32 v16, 0x64656c69 :: v_dual_mov_b32 v1, 0
	v_cmp_eq_u32_e64 s0, s0, v35
	s_waitcnt lgkmcnt(0)
	v_dual_mov_b32 v9, s7 :: v_dual_mov_b32 v8, s6
	v_dual_mov_b32 v7, s5 :: v_dual_mov_b32 v6, s4
	;; [unrolled: 1-line block ×4, first 2 shown]
	s_clause 0x4
	scratch_store_b128 off, v[6:9], s33
	scratch_store_b128 off, v[10:13], s33 offset:16
	scratch_store_b8 off, v2, s33 offset:46
	scratch_store_b16 off, v3, s33 offset:44
	scratch_store_b96 off, v[14:16], s33 offset:32
	s_and_saveexec_b32 s1, s0
	s_cbranch_execz .LBB1_6
; %bb.1:
	global_load_b64 v[8:9], v2, s[2:3] offset:24 glc
	s_waitcnt vmcnt(0)
	buffer_gl1_inv
	buffer_gl0_inv
	s_clause 0x1
	global_load_b64 v[0:1], v2, s[2:3] offset:40
	global_load_b64 v[6:7], v2, s[2:3]
	s_mov_b32 s4, exec_lo
	s_waitcnt vmcnt(1)
	v_and_b32_e32 v1, v1, v9
	v_and_b32_e32 v0, v0, v8
	s_delay_alu instid0(VALU_DEP_2) | instskip(NEXT) | instid1(VALU_DEP_2)
	v_mul_lo_u32 v1, v1, 24
	v_mul_hi_u32 v3, v0, 24
	v_mul_lo_u32 v0, v0, 24
	s_delay_alu instid0(VALU_DEP_2) | instskip(SKIP_1) | instid1(VALU_DEP_2)
	v_add_nc_u32_e32 v1, v3, v1
	s_waitcnt vmcnt(0)
	v_add_co_u32 v0, vcc_lo, v6, v0
	s_delay_alu instid0(VALU_DEP_2)
	v_add_co_ci_u32_e32 v1, vcc_lo, v7, v1, vcc_lo
	global_load_b64 v[6:7], v[0:1], off glc
	s_waitcnt vmcnt(0)
	global_atomic_cmpswap_b64 v[0:1], v2, v[6:9], s[2:3] offset:24 glc
	s_waitcnt vmcnt(0)
	buffer_gl1_inv
	buffer_gl0_inv
	v_cmpx_ne_u64_e64 v[0:1], v[8:9]
	s_cbranch_execz .LBB1_5
; %bb.2:
	s_mov_b32 s5, 0
	.p2align	6
.LBB1_3:                                ; =>This Inner Loop Header: Depth=1
	s_sleep 1
	s_clause 0x1
	global_load_b64 v[6:7], v2, s[2:3] offset:40
	global_load_b64 v[10:11], v2, s[2:3]
	v_dual_mov_b32 v9, v1 :: v_dual_mov_b32 v8, v0
	s_waitcnt vmcnt(1)
	s_delay_alu instid0(VALU_DEP_1) | instskip(SKIP_1) | instid1(VALU_DEP_1)
	v_and_b32_e32 v3, v6, v8
	s_waitcnt vmcnt(0)
	v_mad_u64_u32 v[0:1], null, v3, 24, v[10:11]
	v_and_b32_e32 v3, v7, v9
	s_delay_alu instid0(VALU_DEP_1) | instskip(NEXT) | instid1(VALU_DEP_1)
	v_mad_u64_u32 v[6:7], null, v3, 24, v[1:2]
	v_mov_b32_e32 v1, v6
	global_load_b64 v[6:7], v[0:1], off glc
	s_waitcnt vmcnt(0)
	global_atomic_cmpswap_b64 v[0:1], v2, v[6:9], s[2:3] offset:24 glc
	s_waitcnt vmcnt(0)
	buffer_gl1_inv
	buffer_gl0_inv
	v_cmp_eq_u64_e32 vcc_lo, v[0:1], v[8:9]
	s_or_b32 s5, vcc_lo, s5
	s_delay_alu instid0(SALU_CYCLE_1)
	s_and_not1_b32 exec_lo, exec_lo, s5
	s_cbranch_execnz .LBB1_3
; %bb.4:
	s_or_b32 exec_lo, exec_lo, s5
.LBB1_5:
	s_delay_alu instid0(SALU_CYCLE_1)
	s_or_b32 exec_lo, exec_lo, s4
.LBB1_6:
	s_delay_alu instid0(SALU_CYCLE_1)
	s_or_b32 exec_lo, exec_lo, s1
	s_clause 0x1
	global_load_b64 v[10:11], v2, s[2:3] offset:40
	global_load_b128 v[6:9], v2, s[2:3]
	v_readfirstlane_b32 s4, v0
	v_readfirstlane_b32 s5, v1
	s_mov_b32 s1, exec_lo
	s_waitcnt vmcnt(1)
	v_readfirstlane_b32 s6, v10
	v_readfirstlane_b32 s7, v11
	s_delay_alu instid0(VALU_DEP_1) | instskip(NEXT) | instid1(SALU_CYCLE_1)
	s_and_b64 s[6:7], s[4:5], s[6:7]
	s_mul_i32 s10, s7, 24
	s_mul_hi_u32 s11, s6, 24
	s_mul_i32 s12, s6, 24
	s_add_i32 s11, s11, s10
	s_waitcnt vmcnt(0)
	v_add_co_u32 v10, vcc_lo, v6, s12
	v_add_co_ci_u32_e32 v11, vcc_lo, s11, v7, vcc_lo
	s_and_saveexec_b32 s10, s0
	s_cbranch_execz .LBB1_8
; %bb.7:
	v_dual_mov_b32 v0, s1 :: v_dual_mov_b32 v1, 0
	v_dual_mov_b32 v2, 2 :: v_dual_mov_b32 v3, 1
	global_store_b128 v[10:11], v[0:3], off offset:8
.LBB1_8:
	s_or_b32 exec_lo, exec_lo, s10
	s_lshl_b64 s[6:7], s[6:7], 12
	v_dual_mov_b32 v1, 0 :: v_dual_lshlrev_b32 v34, 6, v35
	v_add_co_u32 v8, vcc_lo, v8, s6
	v_add_co_ci_u32_e32 v9, vcc_lo, s7, v9, vcc_lo
	s_mov_b32 s12, 0
	s_delay_alu instid0(VALU_DEP_2)
	v_add_co_u32 v12, vcc_lo, v8, v34
	s_mov_b32 s15, s12
	s_mov_b32 s13, s12
	;; [unrolled: 1-line block ×3, first 2 shown]
	v_dual_mov_b32 v0, 33 :: v_dual_mov_b32 v3, v1
	v_dual_mov_b32 v2, 1 :: v_dual_mov_b32 v17, s15
	v_readfirstlane_b32 s6, v8
	v_readfirstlane_b32 s7, v9
	v_add_co_ci_u32_e32 v13, vcc_lo, 0, v9, vcc_lo
	v_dual_mov_b32 v16, s14 :: v_dual_mov_b32 v15, s13
	v_mov_b32_e32 v14, s12
	s_clause 0x3
	global_store_b128 v34, v[0:3], s[6:7]
	global_store_b128 v34, v[14:17], s[6:7] offset:16
	global_store_b128 v34, v[14:17], s[6:7] offset:32
	;; [unrolled: 1-line block ×3, first 2 shown]
	s_and_saveexec_b32 s1, s0
	s_cbranch_execz .LBB1_16
; %bb.9:
	s_clause 0x1
	global_load_b64 v[16:17], v1, s[2:3] offset:32 glc
	global_load_b64 v[2:3], v1, s[2:3] offset:40
	v_mov_b32_e32 v14, s4
	s_mov_b32 s6, exec_lo
	s_waitcnt vmcnt(0)
	v_dual_mov_b32 v15, s5 :: v_dual_and_b32 v0, s5, v3
	v_and_b32_e32 v2, s4, v2
	s_delay_alu instid0(VALU_DEP_2) | instskip(NEXT) | instid1(VALU_DEP_2)
	v_mul_lo_u32 v0, v0, 24
	v_mul_hi_u32 v3, v2, 24
	v_mul_lo_u32 v2, v2, 24
	s_delay_alu instid0(VALU_DEP_2) | instskip(NEXT) | instid1(VALU_DEP_2)
	v_add_nc_u32_e32 v0, v3, v0
	v_add_co_u32 v2, vcc_lo, v6, v2
	s_delay_alu instid0(VALU_DEP_2)
	v_add_co_ci_u32_e32 v3, vcc_lo, v7, v0, vcc_lo
	global_store_b64 v[2:3], v[16:17], off
	s_waitcnt_vscnt null, 0x0
	global_atomic_cmpswap_b64 v[8:9], v1, v[14:17], s[2:3] offset:32 glc
	s_waitcnt vmcnt(0)
	v_cmpx_ne_u64_e64 v[8:9], v[16:17]
	s_cbranch_execz .LBB1_12
; %bb.10:
	s_mov_b32 s7, 0
.LBB1_11:                               ; =>This Inner Loop Header: Depth=1
	v_dual_mov_b32 v6, s4 :: v_dual_mov_b32 v7, s5
	s_sleep 1
	global_store_b64 v[2:3], v[8:9], off
	s_waitcnt_vscnt null, 0x0
	global_atomic_cmpswap_b64 v[6:7], v1, v[6:9], s[2:3] offset:32 glc
	s_waitcnt vmcnt(0)
	v_cmp_eq_u64_e32 vcc_lo, v[6:7], v[8:9]
	v_dual_mov_b32 v9, v7 :: v_dual_mov_b32 v8, v6
	s_or_b32 s7, vcc_lo, s7
	s_delay_alu instid0(SALU_CYCLE_1)
	s_and_not1_b32 exec_lo, exec_lo, s7
	s_cbranch_execnz .LBB1_11
.LBB1_12:
	s_or_b32 exec_lo, exec_lo, s6
	v_mov_b32_e32 v3, 0
	s_mov_b32 s7, exec_lo
	s_mov_b32 s6, exec_lo
	v_mbcnt_lo_u32_b32 v2, s7, 0
	global_load_b64 v[0:1], v3, s[2:3] offset:16
	v_cmpx_eq_u32_e32 0, v2
	s_cbranch_execz .LBB1_14
; %bb.13:
	s_bcnt1_i32_b32 s7, s7
	s_delay_alu instid0(SALU_CYCLE_1)
	v_mov_b32_e32 v2, s7
	s_waitcnt vmcnt(0)
	global_atomic_add_u64 v[0:1], v[2:3], off offset:8
.LBB1_14:
	s_or_b32 exec_lo, exec_lo, s6
	s_waitcnt vmcnt(0)
	global_load_b64 v[2:3], v[0:1], off offset:16
	s_waitcnt vmcnt(0)
	v_cmp_eq_u64_e32 vcc_lo, 0, v[2:3]
	s_cbranch_vccnz .LBB1_16
; %bb.15:
	global_load_b32 v0, v[0:1], off offset:24
	s_waitcnt vmcnt(0)
	v_dual_mov_b32 v1, 0 :: v_dual_and_b32 v6, 0xffffff, v0
	s_waitcnt_vscnt null, 0x0
	global_store_b64 v[2:3], v[0:1], off
	v_readfirstlane_b32 m0, v6
	s_sendmsg sendmsg(MSG_INTERRUPT)
.LBB1_16:
	s_or_b32 exec_lo, exec_lo, s1
	s_branch .LBB1_20
	.p2align	6
.LBB1_17:                               ;   in Loop: Header=BB1_20 Depth=1
	s_or_b32 exec_lo, exec_lo, s1
	s_delay_alu instid0(VALU_DEP_1) | instskip(NEXT) | instid1(VALU_DEP_1)
	v_readfirstlane_b32 s1, v0
	s_cmp_eq_u32 s1, 0
	s_cbranch_scc1 .LBB1_19
; %bb.18:                               ;   in Loop: Header=BB1_20 Depth=1
	s_sleep 1
	s_cbranch_execnz .LBB1_20
	s_branch .LBB1_22
	.p2align	6
.LBB1_19:
	s_branch .LBB1_22
.LBB1_20:                               ; =>This Inner Loop Header: Depth=1
	v_mov_b32_e32 v0, 1
	s_and_saveexec_b32 s1, s0
	s_cbranch_execz .LBB1_17
; %bb.21:                               ;   in Loop: Header=BB1_20 Depth=1
	global_load_b32 v0, v[10:11], off offset:20 glc
	s_waitcnt vmcnt(0)
	buffer_gl1_inv
	buffer_gl0_inv
	v_and_b32_e32 v0, 1, v0
	s_branch .LBB1_17
.LBB1_22:
	global_load_b64 v[6:7], v[12:13], off
	s_and_saveexec_b32 s1, s0
	s_cbranch_execz .LBB1_26
; %bb.23:
	v_mov_b32_e32 v10, 0
	s_clause 0x2
	global_load_b64 v[2:3], v10, s[2:3] offset:40
	global_load_b64 v[11:12], v10, s[2:3] offset:24 glc
	global_load_b64 v[8:9], v10, s[2:3]
	s_waitcnt vmcnt(2)
	v_add_co_u32 v13, vcc_lo, v2, 1
	v_add_co_ci_u32_e32 v14, vcc_lo, 0, v3, vcc_lo
	s_delay_alu instid0(VALU_DEP_2) | instskip(NEXT) | instid1(VALU_DEP_2)
	v_add_co_u32 v0, vcc_lo, v13, s4
	v_add_co_ci_u32_e32 v1, vcc_lo, s5, v14, vcc_lo
	s_delay_alu instid0(VALU_DEP_1) | instskip(SKIP_1) | instid1(VALU_DEP_1)
	v_cmp_eq_u64_e32 vcc_lo, 0, v[0:1]
	v_dual_cndmask_b32 v1, v1, v14 :: v_dual_cndmask_b32 v0, v0, v13
	v_and_b32_e32 v3, v1, v3
	s_delay_alu instid0(VALU_DEP_2) | instskip(NEXT) | instid1(VALU_DEP_2)
	v_and_b32_e32 v2, v0, v2
	v_mul_lo_u32 v3, v3, 24
	s_delay_alu instid0(VALU_DEP_2) | instskip(SKIP_1) | instid1(VALU_DEP_2)
	v_mul_hi_u32 v13, v2, 24
	v_mul_lo_u32 v2, v2, 24
	v_add_nc_u32_e32 v3, v13, v3
	s_waitcnt vmcnt(0)
	s_delay_alu instid0(VALU_DEP_2) | instskip(SKIP_1) | instid1(VALU_DEP_3)
	v_add_co_u32 v8, vcc_lo, v8, v2
	v_mov_b32_e32 v2, v11
	v_add_co_ci_u32_e32 v9, vcc_lo, v9, v3, vcc_lo
	v_mov_b32_e32 v3, v12
	global_store_b64 v[8:9], v[11:12], off
	s_waitcnt_vscnt null, 0x0
	global_atomic_cmpswap_b64 v[2:3], v10, v[0:3], s[2:3] offset:24 glc
	s_waitcnt vmcnt(0)
	v_cmp_ne_u64_e32 vcc_lo, v[2:3], v[11:12]
	s_and_b32 exec_lo, exec_lo, vcc_lo
	s_cbranch_execz .LBB1_26
; %bb.24:
	s_mov_b32 s0, 0
.LBB1_25:                               ; =>This Inner Loop Header: Depth=1
	s_sleep 1
	global_store_b64 v[8:9], v[2:3], off
	s_waitcnt_vscnt null, 0x0
	global_atomic_cmpswap_b64 v[11:12], v10, v[0:3], s[2:3] offset:24 glc
	s_waitcnt vmcnt(0)
	v_cmp_eq_u64_e32 vcc_lo, v[11:12], v[2:3]
	v_dual_mov_b32 v2, v11 :: v_dual_mov_b32 v3, v12
	s_or_b32 s0, vcc_lo, s0
	s_delay_alu instid0(SALU_CYCLE_1)
	s_and_not1_b32 exec_lo, exec_lo, s0
	s_cbranch_execnz .LBB1_25
.LBB1_26:
	s_or_b32 exec_lo, exec_lo, s1
	v_mov_b32_e32 v1, s33
	s_mov_b32 s0, 0
.LBB1_27:                               ; =>This Inner Loop Header: Depth=1
	scratch_load_u8 v2, v1, off
	v_add_nc_u32_e32 v0, 1, v1
	s_delay_alu instid0(VALU_DEP_1) | instskip(SKIP_3) | instid1(SALU_CYCLE_1)
	v_mov_b32_e32 v1, v0
	s_waitcnt vmcnt(0)
	v_cmp_eq_u16_e32 vcc_lo, 0, v2
	s_or_b32 s0, vcc_lo, s0
	s_and_not1_b32 exec_lo, exec_lo, s0
	s_cbranch_execnz .LBB1_27
; %bb.28:
	s_or_b32 exec_lo, exec_lo, s0
	v_cmp_ne_u32_e64 s0, -1, s33
	s_delay_alu instid0(VALU_DEP_1)
	s_and_b32 vcc_lo, exec_lo, s0
	s_cbranch_vccz .LBB1_113
; %bb.29:
	v_subrev_nc_u32_e32 v28, s33, v0
	v_dual_mov_b32 v9, 0 :: v_dual_and_b32 v36, 2, v6
	v_dual_mov_b32 v1, v7 :: v_dual_and_b32 v0, -3, v6
	s_delay_alu instid0(VALU_DEP_3)
	v_ashrrev_i32_e32 v29, 31, v28
	v_dual_mov_b32 v37, s33 :: v_dual_mov_b32 v10, 2
	v_mov_b32_e32 v11, 1
	s_mov_b32 s11, 0
	s_mov_b32 s10, 0
	s_branch .LBB1_31
.LBB1_30:                               ;   in Loop: Header=BB1_31 Depth=1
	s_or_b32 exec_lo, exec_lo, s1
	v_sub_co_u32 v28, vcc_lo, v28, v30
	v_sub_co_ci_u32_e32 v29, vcc_lo, v29, v31, vcc_lo
	v_add_nc_u32_e32 v37, v37, v30
	s_delay_alu instid0(VALU_DEP_2) | instskip(SKIP_1) | instid1(SALU_CYCLE_1)
	v_cmp_eq_u64_e32 vcc_lo, 0, v[28:29]
	s_or_b32 s10, vcc_lo, s10
	s_and_not1_b32 exec_lo, exec_lo, s10
	s_cbranch_execz .LBB1_114
.LBB1_31:                               ; =>This Loop Header: Depth=1
                                        ;     Child Loop BB1_34 Depth 2
                                        ;     Child Loop BB1_42 Depth 2
	;; [unrolled: 1-line block ×11, first 2 shown]
	v_cmp_gt_u64_e32 vcc_lo, 56, v[28:29]
	s_mov_b32 s4, exec_lo
                                        ; implicit-def: $vgpr2_vgpr3
                                        ; implicit-def: $sgpr1
	v_dual_cndmask_b32 v31, 0, v29 :: v_dual_cndmask_b32 v30, 56, v28
	v_cmpx_gt_u64_e32 8, v[28:29]
	s_xor_b32 s4, exec_lo, s4
	s_cbranch_execz .LBB1_37
; %bb.32:                               ;   in Loop: Header=BB1_31 Depth=1
	s_waitcnt vmcnt(0)
	v_mov_b32_e32 v2, 0
	v_mov_b32_e32 v3, 0
	s_mov_b64 s[0:1], 0
	s_mov_b32 s5, exec_lo
	v_cmpx_ne_u64_e32 0, v[28:29]
	s_cbranch_execz .LBB1_36
; %bb.33:                               ;   in Loop: Header=BB1_31 Depth=1
	v_lshlrev_b64 v[12:13], 3, v[30:31]
	v_mov_b32_e32 v2, 0
	v_dual_mov_b32 v3, 0 :: v_dual_mov_b32 v8, v37
	s_mov_b32 s6, 0
.LBB1_34:                               ;   Parent Loop BB1_31 Depth=1
                                        ; =>  This Inner Loop Header: Depth=2
	scratch_load_u8 v13, v8, off
	v_mov_b32_e32 v14, s11
	v_add_nc_u32_e32 v8, 1, v8
	s_waitcnt vmcnt(0)
	v_and_b32_e32 v13, 0xffff, v13
	s_delay_alu instid0(VALU_DEP_1) | instskip(SKIP_3) | instid1(VALU_DEP_2)
	v_lshlrev_b64 v[13:14], s0, v[13:14]
	s_add_u32 s0, s0, 8
	s_addc_u32 s1, s1, 0
	v_cmp_eq_u32_e32 vcc_lo, s0, v12
	v_or_b32_e32 v3, v14, v3
	s_delay_alu instid0(VALU_DEP_3) | instskip(SKIP_1) | instid1(SALU_CYCLE_1)
	v_or_b32_e32 v2, v13, v2
	s_or_b32 s6, vcc_lo, s6
	s_and_not1_b32 exec_lo, exec_lo, s6
	s_cbranch_execnz .LBB1_34
; %bb.35:                               ;   in Loop: Header=BB1_31 Depth=1
	s_or_b32 exec_lo, exec_lo, s6
.LBB1_36:                               ;   in Loop: Header=BB1_31 Depth=1
	s_delay_alu instid0(SALU_CYCLE_1)
	s_or_b32 exec_lo, exec_lo, s5
	s_mov_b32 s1, 0
.LBB1_37:                               ;   in Loop: Header=BB1_31 Depth=1
	s_or_saveexec_b32 s0, s4
	v_mov_b32_e32 v14, s1
	v_mov_b32_e32 v8, v37
	s_xor_b32 exec_lo, exec_lo, s0
	s_cbranch_execz .LBB1_39
; %bb.38:                               ;   in Loop: Header=BB1_31 Depth=1
	scratch_load_b64 v[2:3], v37, off
	v_add_nc_u32_e32 v14, -8, v30
	s_waitcnt vmcnt(0)
	v_and_b32_e32 v8, 0xff, v3
	v_and_b32_e32 v12, 0xff00, v3
	;; [unrolled: 1-line block ×4, first 2 shown]
	v_or3_b32 v2, v2, 0, 0
	s_delay_alu instid0(VALU_DEP_4) | instskip(NEXT) | instid1(VALU_DEP_1)
	v_or_b32_e32 v8, v8, v12
	v_or3_b32 v3, v8, v13, v3
	v_add_nc_u32_e32 v8, 8, v37
.LBB1_39:                               ;   in Loop: Header=BB1_31 Depth=1
	s_or_b32 exec_lo, exec_lo, s0
                                        ; implicit-def: $vgpr12_vgpr13
                                        ; implicit-def: $sgpr1
	s_delay_alu instid0(SALU_CYCLE_1)
	s_mov_b32 s0, exec_lo
	v_cmpx_gt_u32_e32 8, v14
	s_xor_b32 s4, exec_lo, s0
	s_cbranch_execz .LBB1_45
; %bb.40:                               ;   in Loop: Header=BB1_31 Depth=1
	v_mov_b32_e32 v12, 0
	v_mov_b32_e32 v13, 0
	s_mov_b32 s5, exec_lo
	v_cmpx_ne_u32_e32 0, v14
	s_cbranch_execz .LBB1_44
; %bb.41:                               ;   in Loop: Header=BB1_31 Depth=1
	v_mov_b32_e32 v12, 0
	v_mov_b32_e32 v13, 0
	s_mov_b64 s[0:1], 0
	s_mov_b32 s6, 0
	s_mov_b32 s7, 0
	.p2align	6
.LBB1_42:                               ;   Parent Loop BB1_31 Depth=1
                                        ; =>  This Inner Loop Header: Depth=2
	s_delay_alu instid0(SALU_CYCLE_1) | instskip(SKIP_1) | instid1(SALU_CYCLE_1)
	v_dual_mov_b32 v16, s11 :: v_dual_add_nc_u32 v15, s7, v8
	s_add_i32 s7, s7, 1
	v_cmp_eq_u32_e32 vcc_lo, s7, v14
	scratch_load_u8 v15, v15, off
	s_waitcnt vmcnt(0)
	v_and_b32_e32 v15, 0xffff, v15
	s_delay_alu instid0(VALU_DEP_1) | instskip(SKIP_3) | instid1(VALU_DEP_1)
	v_lshlrev_b64 v[15:16], s0, v[15:16]
	s_add_u32 s0, s0, 8
	s_addc_u32 s1, s1, 0
	s_or_b32 s6, vcc_lo, s6
	v_or_b32_e32 v13, v16, v13
	s_delay_alu instid0(VALU_DEP_2)
	v_or_b32_e32 v12, v15, v12
	s_and_not1_b32 exec_lo, exec_lo, s6
	s_cbranch_execnz .LBB1_42
; %bb.43:                               ;   in Loop: Header=BB1_31 Depth=1
	s_or_b32 exec_lo, exec_lo, s6
.LBB1_44:                               ;   in Loop: Header=BB1_31 Depth=1
	s_delay_alu instid0(SALU_CYCLE_1)
	s_or_b32 exec_lo, exec_lo, s5
	s_mov_b32 s1, 0
                                        ; implicit-def: $vgpr14
.LBB1_45:                               ;   in Loop: Header=BB1_31 Depth=1
	s_or_saveexec_b32 s0, s4
	v_mov_b32_e32 v16, s1
	s_xor_b32 exec_lo, exec_lo, s0
	s_cbranch_execz .LBB1_47
; %bb.46:                               ;   in Loop: Header=BB1_31 Depth=1
	scratch_load_b64 v[12:13], v8, off
	v_add_nc_u32_e32 v8, 8, v8
	s_waitcnt vmcnt(0)
	v_and_b32_e32 v15, 0xff, v13
	v_and_b32_e32 v16, 0xff00, v13
	;; [unrolled: 1-line block ×4, first 2 shown]
	v_or3_b32 v12, v12, 0, 0
	s_delay_alu instid0(VALU_DEP_4) | instskip(SKIP_1) | instid1(VALU_DEP_2)
	v_or_b32_e32 v15, v15, v16
	v_add_nc_u32_e32 v16, -8, v14
	v_or3_b32 v13, v15, v17, v13
.LBB1_47:                               ;   in Loop: Header=BB1_31 Depth=1
	s_or_b32 exec_lo, exec_lo, s0
                                        ; implicit-def: $sgpr1
	s_delay_alu instid0(SALU_CYCLE_1) | instskip(NEXT) | instid1(VALU_DEP_1)
	s_mov_b32 s0, exec_lo
	v_cmpx_gt_u32_e32 8, v16
	s_xor_b32 s4, exec_lo, s0
	s_cbranch_execz .LBB1_53
; %bb.48:                               ;   in Loop: Header=BB1_31 Depth=1
	v_mov_b32_e32 v14, 0
	v_mov_b32_e32 v15, 0
	s_mov_b32 s5, exec_lo
	v_cmpx_ne_u32_e32 0, v16
	s_cbranch_execz .LBB1_52
; %bb.49:                               ;   in Loop: Header=BB1_31 Depth=1
	v_mov_b32_e32 v14, 0
	v_mov_b32_e32 v15, 0
	s_mov_b64 s[0:1], 0
	s_mov_b32 s6, 0
	s_mov_b32 s7, 0
	.p2align	6
.LBB1_50:                               ;   Parent Loop BB1_31 Depth=1
                                        ; =>  This Inner Loop Header: Depth=2
	s_delay_alu instid0(SALU_CYCLE_1) | instskip(SKIP_1) | instid1(SALU_CYCLE_1)
	v_dual_mov_b32 v18, s11 :: v_dual_add_nc_u32 v17, s7, v8
	s_add_i32 s7, s7, 1
	v_cmp_eq_u32_e32 vcc_lo, s7, v16
	scratch_load_u8 v17, v17, off
	s_waitcnt vmcnt(0)
	v_and_b32_e32 v17, 0xffff, v17
	s_delay_alu instid0(VALU_DEP_1) | instskip(SKIP_3) | instid1(VALU_DEP_1)
	v_lshlrev_b64 v[17:18], s0, v[17:18]
	s_add_u32 s0, s0, 8
	s_addc_u32 s1, s1, 0
	s_or_b32 s6, vcc_lo, s6
	v_or_b32_e32 v15, v18, v15
	s_delay_alu instid0(VALU_DEP_2)
	v_or_b32_e32 v14, v17, v14
	s_and_not1_b32 exec_lo, exec_lo, s6
	s_cbranch_execnz .LBB1_50
; %bb.51:                               ;   in Loop: Header=BB1_31 Depth=1
	s_or_b32 exec_lo, exec_lo, s6
.LBB1_52:                               ;   in Loop: Header=BB1_31 Depth=1
	s_delay_alu instid0(SALU_CYCLE_1)
	s_or_b32 exec_lo, exec_lo, s5
	s_mov_b32 s1, 0
                                        ; implicit-def: $vgpr16
.LBB1_53:                               ;   in Loop: Header=BB1_31 Depth=1
	s_or_saveexec_b32 s0, s4
	v_mov_b32_e32 v18, s1
	s_xor_b32 exec_lo, exec_lo, s0
	s_cbranch_execz .LBB1_55
; %bb.54:                               ;   in Loop: Header=BB1_31 Depth=1
	scratch_load_b64 v[14:15], v8, off
	v_add_nc_u32_e32 v8, 8, v8
	s_waitcnt vmcnt(0)
	v_and_b32_e32 v17, 0xff, v15
	v_and_b32_e32 v18, 0xff00, v15
	;; [unrolled: 1-line block ×4, first 2 shown]
	v_or3_b32 v14, v14, 0, 0
	s_delay_alu instid0(VALU_DEP_4) | instskip(SKIP_1) | instid1(VALU_DEP_2)
	v_or_b32_e32 v17, v17, v18
	v_add_nc_u32_e32 v18, -8, v16
	v_or3_b32 v15, v17, v19, v15
.LBB1_55:                               ;   in Loop: Header=BB1_31 Depth=1
	s_or_b32 exec_lo, exec_lo, s0
                                        ; implicit-def: $vgpr16_vgpr17
                                        ; implicit-def: $sgpr1
	s_delay_alu instid0(SALU_CYCLE_1) | instskip(NEXT) | instid1(VALU_DEP_1)
	s_mov_b32 s0, exec_lo
	v_cmpx_gt_u32_e32 8, v18
	s_xor_b32 s4, exec_lo, s0
	s_cbranch_execz .LBB1_61
; %bb.56:                               ;   in Loop: Header=BB1_31 Depth=1
	v_mov_b32_e32 v16, 0
	v_mov_b32_e32 v17, 0
	s_mov_b32 s5, exec_lo
	v_cmpx_ne_u32_e32 0, v18
	s_cbranch_execz .LBB1_60
; %bb.57:                               ;   in Loop: Header=BB1_31 Depth=1
	v_mov_b32_e32 v16, 0
	v_mov_b32_e32 v17, 0
	s_mov_b64 s[0:1], 0
	s_mov_b32 s6, 0
	s_mov_b32 s7, 0
	.p2align	6
.LBB1_58:                               ;   Parent Loop BB1_31 Depth=1
                                        ; =>  This Inner Loop Header: Depth=2
	s_delay_alu instid0(SALU_CYCLE_1) | instskip(SKIP_1) | instid1(SALU_CYCLE_1)
	v_dual_mov_b32 v20, s11 :: v_dual_add_nc_u32 v19, s7, v8
	s_add_i32 s7, s7, 1
	v_cmp_eq_u32_e32 vcc_lo, s7, v18
	scratch_load_u8 v19, v19, off
	s_waitcnt vmcnt(0)
	v_and_b32_e32 v19, 0xffff, v19
	s_delay_alu instid0(VALU_DEP_1) | instskip(SKIP_3) | instid1(VALU_DEP_1)
	v_lshlrev_b64 v[19:20], s0, v[19:20]
	s_add_u32 s0, s0, 8
	s_addc_u32 s1, s1, 0
	s_or_b32 s6, vcc_lo, s6
	v_or_b32_e32 v17, v20, v17
	s_delay_alu instid0(VALU_DEP_2)
	v_or_b32_e32 v16, v19, v16
	s_and_not1_b32 exec_lo, exec_lo, s6
	s_cbranch_execnz .LBB1_58
; %bb.59:                               ;   in Loop: Header=BB1_31 Depth=1
	s_or_b32 exec_lo, exec_lo, s6
.LBB1_60:                               ;   in Loop: Header=BB1_31 Depth=1
	s_delay_alu instid0(SALU_CYCLE_1)
	s_or_b32 exec_lo, exec_lo, s5
	s_mov_b32 s1, 0
                                        ; implicit-def: $vgpr18
.LBB1_61:                               ;   in Loop: Header=BB1_31 Depth=1
	s_or_saveexec_b32 s0, s4
	v_mov_b32_e32 v20, s1
	s_xor_b32 exec_lo, exec_lo, s0
	s_cbranch_execz .LBB1_63
; %bb.62:                               ;   in Loop: Header=BB1_31 Depth=1
	scratch_load_b64 v[16:17], v8, off
	v_add_nc_u32_e32 v8, 8, v8
	s_waitcnt vmcnt(0)
	v_and_b32_e32 v19, 0xff, v17
	v_and_b32_e32 v20, 0xff00, v17
	v_and_b32_e32 v21, 0xff0000, v17
	v_and_b32_e32 v17, 0xff000000, v17
	v_or3_b32 v16, v16, 0, 0
	s_delay_alu instid0(VALU_DEP_4) | instskip(SKIP_1) | instid1(VALU_DEP_2)
	v_or_b32_e32 v19, v19, v20
	v_add_nc_u32_e32 v20, -8, v18
	v_or3_b32 v17, v19, v21, v17
.LBB1_63:                               ;   in Loop: Header=BB1_31 Depth=1
	s_or_b32 exec_lo, exec_lo, s0
                                        ; implicit-def: $sgpr1
	s_delay_alu instid0(SALU_CYCLE_1) | instskip(NEXT) | instid1(VALU_DEP_1)
	s_mov_b32 s0, exec_lo
	v_cmpx_gt_u32_e32 8, v20
	s_xor_b32 s4, exec_lo, s0
	s_cbranch_execz .LBB1_69
; %bb.64:                               ;   in Loop: Header=BB1_31 Depth=1
	v_mov_b32_e32 v18, 0
	v_mov_b32_e32 v19, 0
	s_mov_b32 s5, exec_lo
	v_cmpx_ne_u32_e32 0, v20
	s_cbranch_execz .LBB1_68
; %bb.65:                               ;   in Loop: Header=BB1_31 Depth=1
	v_mov_b32_e32 v18, 0
	v_mov_b32_e32 v19, 0
	s_mov_b64 s[0:1], 0
	s_mov_b32 s6, 0
	s_mov_b32 s7, 0
	.p2align	6
.LBB1_66:                               ;   Parent Loop BB1_31 Depth=1
                                        ; =>  This Inner Loop Header: Depth=2
	s_delay_alu instid0(SALU_CYCLE_1) | instskip(SKIP_1) | instid1(SALU_CYCLE_1)
	v_dual_mov_b32 v22, s11 :: v_dual_add_nc_u32 v21, s7, v8
	s_add_i32 s7, s7, 1
	v_cmp_eq_u32_e32 vcc_lo, s7, v20
	scratch_load_u8 v21, v21, off
	s_waitcnt vmcnt(0)
	v_and_b32_e32 v21, 0xffff, v21
	s_delay_alu instid0(VALU_DEP_1) | instskip(SKIP_3) | instid1(VALU_DEP_1)
	v_lshlrev_b64 v[21:22], s0, v[21:22]
	s_add_u32 s0, s0, 8
	s_addc_u32 s1, s1, 0
	s_or_b32 s6, vcc_lo, s6
	v_or_b32_e32 v19, v22, v19
	s_delay_alu instid0(VALU_DEP_2)
	v_or_b32_e32 v18, v21, v18
	s_and_not1_b32 exec_lo, exec_lo, s6
	s_cbranch_execnz .LBB1_66
; %bb.67:                               ;   in Loop: Header=BB1_31 Depth=1
	s_or_b32 exec_lo, exec_lo, s6
.LBB1_68:                               ;   in Loop: Header=BB1_31 Depth=1
	s_delay_alu instid0(SALU_CYCLE_1)
	s_or_b32 exec_lo, exec_lo, s5
	s_mov_b32 s1, 0
                                        ; implicit-def: $vgpr20
.LBB1_69:                               ;   in Loop: Header=BB1_31 Depth=1
	s_or_saveexec_b32 s0, s4
	v_mov_b32_e32 v22, s1
	s_xor_b32 exec_lo, exec_lo, s0
	s_cbranch_execz .LBB1_71
; %bb.70:                               ;   in Loop: Header=BB1_31 Depth=1
	scratch_load_b64 v[18:19], v8, off
	v_add_nc_u32_e32 v8, 8, v8
	s_waitcnt vmcnt(0)
	v_and_b32_e32 v21, 0xff, v19
	v_and_b32_e32 v22, 0xff00, v19
	v_and_b32_e32 v23, 0xff0000, v19
	v_and_b32_e32 v19, 0xff000000, v19
	v_or3_b32 v18, v18, 0, 0
	s_delay_alu instid0(VALU_DEP_4) | instskip(SKIP_1) | instid1(VALU_DEP_2)
	v_or_b32_e32 v21, v21, v22
	v_add_nc_u32_e32 v22, -8, v20
	v_or3_b32 v19, v21, v23, v19
.LBB1_71:                               ;   in Loop: Header=BB1_31 Depth=1
	s_or_b32 exec_lo, exec_lo, s0
                                        ; implicit-def: $vgpr20_vgpr21
                                        ; implicit-def: $sgpr1
	s_delay_alu instid0(SALU_CYCLE_1) | instskip(NEXT) | instid1(VALU_DEP_1)
	s_mov_b32 s0, exec_lo
	v_cmpx_gt_u32_e32 8, v22
	s_xor_b32 s4, exec_lo, s0
	s_cbranch_execz .LBB1_77
; %bb.72:                               ;   in Loop: Header=BB1_31 Depth=1
	v_mov_b32_e32 v20, 0
	v_mov_b32_e32 v21, 0
	s_mov_b32 s5, exec_lo
	v_cmpx_ne_u32_e32 0, v22
	s_cbranch_execz .LBB1_76
; %bb.73:                               ;   in Loop: Header=BB1_31 Depth=1
	v_mov_b32_e32 v20, 0
	v_mov_b32_e32 v21, 0
	s_mov_b64 s[0:1], 0
	s_mov_b32 s6, 0
	s_mov_b32 s7, 0
	.p2align	6
.LBB1_74:                               ;   Parent Loop BB1_31 Depth=1
                                        ; =>  This Inner Loop Header: Depth=2
	s_delay_alu instid0(SALU_CYCLE_1) | instskip(SKIP_1) | instid1(SALU_CYCLE_1)
	v_dual_mov_b32 v24, s11 :: v_dual_add_nc_u32 v23, s7, v8
	s_add_i32 s7, s7, 1
	v_cmp_eq_u32_e32 vcc_lo, s7, v22
	scratch_load_u8 v23, v23, off
	s_waitcnt vmcnt(0)
	v_and_b32_e32 v23, 0xffff, v23
	s_delay_alu instid0(VALU_DEP_1) | instskip(SKIP_3) | instid1(VALU_DEP_1)
	v_lshlrev_b64 v[23:24], s0, v[23:24]
	s_add_u32 s0, s0, 8
	s_addc_u32 s1, s1, 0
	s_or_b32 s6, vcc_lo, s6
	v_or_b32_e32 v21, v24, v21
	s_delay_alu instid0(VALU_DEP_2)
	v_or_b32_e32 v20, v23, v20
	s_and_not1_b32 exec_lo, exec_lo, s6
	s_cbranch_execnz .LBB1_74
; %bb.75:                               ;   in Loop: Header=BB1_31 Depth=1
	s_or_b32 exec_lo, exec_lo, s6
.LBB1_76:                               ;   in Loop: Header=BB1_31 Depth=1
	s_delay_alu instid0(SALU_CYCLE_1)
	s_or_b32 exec_lo, exec_lo, s5
	s_mov_b32 s1, 0
                                        ; implicit-def: $vgpr22
.LBB1_77:                               ;   in Loop: Header=BB1_31 Depth=1
	s_or_saveexec_b32 s0, s4
	v_mov_b32_e32 v24, s1
	s_xor_b32 exec_lo, exec_lo, s0
	s_cbranch_execz .LBB1_79
; %bb.78:                               ;   in Loop: Header=BB1_31 Depth=1
	scratch_load_b64 v[20:21], v8, off
	v_add_nc_u32_e32 v8, 8, v8
	s_waitcnt vmcnt(0)
	v_and_b32_e32 v23, 0xff, v21
	v_and_b32_e32 v24, 0xff00, v21
	;; [unrolled: 1-line block ×4, first 2 shown]
	v_or3_b32 v20, v20, 0, 0
	s_delay_alu instid0(VALU_DEP_4) | instskip(SKIP_1) | instid1(VALU_DEP_2)
	v_or_b32_e32 v23, v23, v24
	v_add_nc_u32_e32 v24, -8, v22
	v_or3_b32 v21, v23, v25, v21
.LBB1_79:                               ;   in Loop: Header=BB1_31 Depth=1
	s_or_b32 exec_lo, exec_lo, s0
	s_delay_alu instid0(SALU_CYCLE_1) | instskip(NEXT) | instid1(VALU_DEP_1)
	s_mov_b32 s0, exec_lo
	v_cmpx_gt_u32_e32 8, v24
	s_xor_b32 s4, exec_lo, s0
	s_cbranch_execz .LBB1_85
; %bb.80:                               ;   in Loop: Header=BB1_31 Depth=1
	v_mov_b32_e32 v22, 0
	v_mov_b32_e32 v23, 0
	s_mov_b32 s5, exec_lo
	v_cmpx_ne_u32_e32 0, v24
	s_cbranch_execz .LBB1_84
; %bb.81:                               ;   in Loop: Header=BB1_31 Depth=1
	v_mov_b32_e32 v22, 0
	v_mov_b32_e32 v23, 0
	s_mov_b64 s[0:1], 0
	s_mov_b32 s6, 0
	.p2align	6
.LBB1_82:                               ;   Parent Loop BB1_31 Depth=1
                                        ; =>  This Inner Loop Header: Depth=2
	scratch_load_u8 v25, v8, off
	v_mov_b32_e32 v26, s11
	v_add_nc_u32_e32 v24, -1, v24
	v_add_nc_u32_e32 v8, 1, v8
	s_delay_alu instid0(VALU_DEP_2) | instskip(SKIP_2) | instid1(VALU_DEP_1)
	v_cmp_eq_u32_e32 vcc_lo, 0, v24
	s_waitcnt vmcnt(0)
	v_and_b32_e32 v25, 0xffff, v25
	v_lshlrev_b64 v[25:26], s0, v[25:26]
	s_add_u32 s0, s0, 8
	s_addc_u32 s1, s1, 0
	s_or_b32 s6, vcc_lo, s6
	s_delay_alu instid0(VALU_DEP_1) | instskip(NEXT) | instid1(VALU_DEP_2)
	v_or_b32_e32 v23, v26, v23
	v_or_b32_e32 v22, v25, v22
	s_and_not1_b32 exec_lo, exec_lo, s6
	s_cbranch_execnz .LBB1_82
; %bb.83:                               ;   in Loop: Header=BB1_31 Depth=1
	s_or_b32 exec_lo, exec_lo, s6
.LBB1_84:                               ;   in Loop: Header=BB1_31 Depth=1
	s_delay_alu instid0(SALU_CYCLE_1)
	s_or_b32 exec_lo, exec_lo, s5
                                        ; implicit-def: $vgpr8
.LBB1_85:                               ;   in Loop: Header=BB1_31 Depth=1
	s_and_not1_saveexec_b32 s0, s4
	s_cbranch_execz .LBB1_87
; %bb.86:                               ;   in Loop: Header=BB1_31 Depth=1
	scratch_load_b64 v[22:23], v8, off
	s_waitcnt vmcnt(0)
	v_and_b32_e32 v8, 0xff, v23
	v_and_b32_e32 v24, 0xff00, v23
	v_and_b32_e32 v25, 0xff0000, v23
	v_and_b32_e32 v23, 0xff000000, v23
	v_or3_b32 v22, v22, 0, 0
	s_delay_alu instid0(VALU_DEP_4) | instskip(NEXT) | instid1(VALU_DEP_1)
	v_or_b32_e32 v8, v8, v24
	v_or3_b32 v23, v8, v25, v23
.LBB1_87:                               ;   in Loop: Header=BB1_31 Depth=1
	s_or_b32 exec_lo, exec_lo, s0
	v_readfirstlane_b32 s0, v35
	v_mov_b32_e32 v32, 0
	v_mov_b32_e32 v33, 0
	s_delay_alu instid0(VALU_DEP_3) | instskip(NEXT) | instid1(VALU_DEP_1)
	v_cmp_eq_u32_e64 s0, s0, v35
	s_and_saveexec_b32 s1, s0
	s_cbranch_execz .LBB1_93
; %bb.88:                               ;   in Loop: Header=BB1_31 Depth=1
	global_load_b64 v[26:27], v9, s[2:3] offset:24 glc
	s_waitcnt vmcnt(0)
	buffer_gl1_inv
	buffer_gl0_inv
	s_clause 0x1
	global_load_b64 v[24:25], v9, s[2:3] offset:40
	global_load_b64 v[32:33], v9, s[2:3]
	s_mov_b32 s4, exec_lo
	s_waitcnt vmcnt(1)
	v_and_b32_e32 v8, v25, v27
	v_and_b32_e32 v24, v24, v26
	s_delay_alu instid0(VALU_DEP_2) | instskip(NEXT) | instid1(VALU_DEP_2)
	v_mul_lo_u32 v8, v8, 24
	v_mul_hi_u32 v25, v24, 24
	v_mul_lo_u32 v24, v24, 24
	s_delay_alu instid0(VALU_DEP_2) | instskip(SKIP_1) | instid1(VALU_DEP_2)
	v_add_nc_u32_e32 v8, v25, v8
	s_waitcnt vmcnt(0)
	v_add_co_u32 v24, vcc_lo, v32, v24
	s_delay_alu instid0(VALU_DEP_2)
	v_add_co_ci_u32_e32 v25, vcc_lo, v33, v8, vcc_lo
	global_load_b64 v[24:25], v[24:25], off glc
	s_waitcnt vmcnt(0)
	global_atomic_cmpswap_b64 v[32:33], v9, v[24:27], s[2:3] offset:24 glc
	s_waitcnt vmcnt(0)
	buffer_gl1_inv
	buffer_gl0_inv
	v_cmpx_ne_u64_e64 v[32:33], v[26:27]
	s_cbranch_execz .LBB1_92
; %bb.89:                               ;   in Loop: Header=BB1_31 Depth=1
	s_mov_b32 s5, 0
	.p2align	6
.LBB1_90:                               ;   Parent Loop BB1_31 Depth=1
                                        ; =>  This Inner Loop Header: Depth=2
	s_sleep 1
	s_clause 0x1
	global_load_b64 v[24:25], v9, s[2:3] offset:40
	global_load_b64 v[38:39], v9, s[2:3]
	v_dual_mov_b32 v26, v32 :: v_dual_mov_b32 v27, v33
	s_waitcnt vmcnt(1)
	s_delay_alu instid0(VALU_DEP_1) | instskip(SKIP_1) | instid1(VALU_DEP_1)
	v_and_b32_e32 v8, v24, v26
	s_waitcnt vmcnt(0)
	v_mad_u64_u32 v[32:33], null, v8, 24, v[38:39]
	v_and_b32_e32 v38, v25, v27
	s_delay_alu instid0(VALU_DEP_2) | instskip(NEXT) | instid1(VALU_DEP_1)
	v_mov_b32_e32 v8, v33
	v_mad_u64_u32 v[24:25], null, v38, 24, v[8:9]
	s_delay_alu instid0(VALU_DEP_1)
	v_mov_b32_e32 v33, v24
	global_load_b64 v[24:25], v[32:33], off glc
	s_waitcnt vmcnt(0)
	global_atomic_cmpswap_b64 v[32:33], v9, v[24:27], s[2:3] offset:24 glc
	s_waitcnt vmcnt(0)
	buffer_gl1_inv
	buffer_gl0_inv
	v_cmp_eq_u64_e32 vcc_lo, v[32:33], v[26:27]
	s_or_b32 s5, vcc_lo, s5
	s_delay_alu instid0(SALU_CYCLE_1)
	s_and_not1_b32 exec_lo, exec_lo, s5
	s_cbranch_execnz .LBB1_90
; %bb.91:                               ;   in Loop: Header=BB1_31 Depth=1
	s_or_b32 exec_lo, exec_lo, s5
.LBB1_92:                               ;   in Loop: Header=BB1_31 Depth=1
	s_delay_alu instid0(SALU_CYCLE_1)
	s_or_b32 exec_lo, exec_lo, s4
.LBB1_93:                               ;   in Loop: Header=BB1_31 Depth=1
	s_delay_alu instid0(SALU_CYCLE_1)
	s_or_b32 exec_lo, exec_lo, s1
	s_clause 0x1
	global_load_b64 v[38:39], v9, s[2:3] offset:40
	global_load_b128 v[24:27], v9, s[2:3]
	v_readfirstlane_b32 s4, v32
	v_readfirstlane_b32 s5, v33
	s_mov_b32 s1, exec_lo
	s_waitcnt vmcnt(1)
	v_readfirstlane_b32 s6, v38
	v_readfirstlane_b32 s7, v39
	s_delay_alu instid0(VALU_DEP_1) | instskip(NEXT) | instid1(SALU_CYCLE_1)
	s_and_b64 s[6:7], s[4:5], s[6:7]
	s_mul_i32 s12, s7, 24
	s_mul_hi_u32 s13, s6, 24
	s_mul_i32 s14, s6, 24
	s_add_i32 s13, s13, s12
	s_waitcnt vmcnt(0)
	v_add_co_u32 v32, vcc_lo, v24, s14
	v_add_co_ci_u32_e32 v33, vcc_lo, s13, v25, vcc_lo
	s_and_saveexec_b32 s12, s0
	s_cbranch_execz .LBB1_95
; %bb.94:                               ;   in Loop: Header=BB1_31 Depth=1
	v_mov_b32_e32 v8, s1
	global_store_b128 v[32:33], v[8:11], off offset:8
.LBB1_95:                               ;   in Loop: Header=BB1_31 Depth=1
	s_or_b32 exec_lo, exec_lo, s12
	v_cmp_lt_u64_e32 vcc_lo, 56, v[28:29]
	v_or_b32_e32 v8, 0, v1
	v_or_b32_e32 v38, v0, v36
	v_lshl_add_u32 v39, v30, 2, 28
	s_lshl_b64 s[6:7], s[6:7], 12
	s_delay_alu instid0(SALU_CYCLE_1) | instskip(NEXT) | instid1(VALU_DEP_1)
	v_add_co_u32 v26, s1, v26, s6
	v_add_co_ci_u32_e64 v27, s1, s7, v27, s1
	v_dual_cndmask_b32 v1, v8, v1 :: v_dual_cndmask_b32 v0, v38, v0
	v_and_b32_e32 v8, 0x1e0, v39
	s_delay_alu instid0(VALU_DEP_4) | instskip(NEXT) | instid1(VALU_DEP_4)
	v_readfirstlane_b32 s6, v26
	v_readfirstlane_b32 s7, v27
	s_delay_alu instid0(VALU_DEP_3)
	v_and_or_b32 v0, 0xffffff1f, v0, v8
	s_clause 0x3
	global_store_b128 v34, v[0:3], s[6:7]
	global_store_b128 v34, v[12:15], s[6:7] offset:16
	global_store_b128 v34, v[16:19], s[6:7] offset:32
	;; [unrolled: 1-line block ×3, first 2 shown]
	s_and_saveexec_b32 s1, s0
	s_cbranch_execz .LBB1_103
; %bb.96:                               ;   in Loop: Header=BB1_31 Depth=1
	s_clause 0x1
	global_load_b64 v[16:17], v9, s[2:3] offset:32 glc
	global_load_b64 v[0:1], v9, s[2:3] offset:40
	v_dual_mov_b32 v14, s4 :: v_dual_mov_b32 v15, s5
	s_waitcnt vmcnt(0)
	v_readfirstlane_b32 s6, v0
	v_readfirstlane_b32 s7, v1
	s_delay_alu instid0(VALU_DEP_1) | instskip(NEXT) | instid1(SALU_CYCLE_1)
	s_and_b64 s[6:7], s[6:7], s[4:5]
	s_mul_i32 s7, s7, 24
	s_mul_hi_u32 s12, s6, 24
	s_mul_i32 s6, s6, 24
	s_add_i32 s12, s12, s7
	v_add_co_u32 v12, vcc_lo, v24, s6
	v_add_co_ci_u32_e32 v13, vcc_lo, s12, v25, vcc_lo
	s_mov_b32 s6, exec_lo
	global_store_b64 v[12:13], v[16:17], off
	s_waitcnt_vscnt null, 0x0
	global_atomic_cmpswap_b64 v[2:3], v9, v[14:17], s[2:3] offset:32 glc
	s_waitcnt vmcnt(0)
	v_cmpx_ne_u64_e64 v[2:3], v[16:17]
	s_cbranch_execz .LBB1_99
; %bb.97:                               ;   in Loop: Header=BB1_31 Depth=1
	s_mov_b32 s7, 0
.LBB1_98:                               ;   Parent Loop BB1_31 Depth=1
                                        ; =>  This Inner Loop Header: Depth=2
	v_dual_mov_b32 v0, s4 :: v_dual_mov_b32 v1, s5
	s_sleep 1
	global_store_b64 v[12:13], v[2:3], off
	s_waitcnt_vscnt null, 0x0
	global_atomic_cmpswap_b64 v[0:1], v9, v[0:3], s[2:3] offset:32 glc
	s_waitcnt vmcnt(0)
	v_cmp_eq_u64_e32 vcc_lo, v[0:1], v[2:3]
	v_dual_mov_b32 v3, v1 :: v_dual_mov_b32 v2, v0
	s_or_b32 s7, vcc_lo, s7
	s_delay_alu instid0(SALU_CYCLE_1)
	s_and_not1_b32 exec_lo, exec_lo, s7
	s_cbranch_execnz .LBB1_98
.LBB1_99:                               ;   in Loop: Header=BB1_31 Depth=1
	s_or_b32 exec_lo, exec_lo, s6
	global_load_b64 v[0:1], v9, s[2:3] offset:16
	s_mov_b32 s7, exec_lo
	s_mov_b32 s6, exec_lo
	v_mbcnt_lo_u32_b32 v2, s7, 0
	s_delay_alu instid0(VALU_DEP_1)
	v_cmpx_eq_u32_e32 0, v2
	s_cbranch_execz .LBB1_101
; %bb.100:                              ;   in Loop: Header=BB1_31 Depth=1
	s_bcnt1_i32_b32 s7, s7
	s_delay_alu instid0(SALU_CYCLE_1)
	v_mov_b32_e32 v8, s7
	s_waitcnt vmcnt(0)
	global_atomic_add_u64 v[0:1], v[8:9], off offset:8
.LBB1_101:                              ;   in Loop: Header=BB1_31 Depth=1
	s_or_b32 exec_lo, exec_lo, s6
	s_waitcnt vmcnt(0)
	global_load_b64 v[2:3], v[0:1], off offset:16
	s_waitcnt vmcnt(0)
	v_cmp_eq_u64_e32 vcc_lo, 0, v[2:3]
	s_cbranch_vccnz .LBB1_103
; %bb.102:                              ;   in Loop: Header=BB1_31 Depth=1
	global_load_b32 v8, v[0:1], off offset:24
	s_waitcnt vmcnt(0)
	v_and_b32_e32 v0, 0xffffff, v8
	s_waitcnt_vscnt null, 0x0
	global_store_b64 v[2:3], v[8:9], off
	v_readfirstlane_b32 m0, v0
	s_sendmsg sendmsg(MSG_INTERRUPT)
.LBB1_103:                              ;   in Loop: Header=BB1_31 Depth=1
	s_or_b32 exec_lo, exec_lo, s1
	v_add_co_u32 v0, vcc_lo, v26, v34
	v_add_co_ci_u32_e32 v1, vcc_lo, 0, v27, vcc_lo
	s_branch .LBB1_107
	.p2align	6
.LBB1_104:                              ;   in Loop: Header=BB1_107 Depth=2
	s_or_b32 exec_lo, exec_lo, s1
	s_delay_alu instid0(VALU_DEP_1) | instskip(NEXT) | instid1(VALU_DEP_1)
	v_readfirstlane_b32 s1, v2
	s_cmp_eq_u32 s1, 0
	s_cbranch_scc1 .LBB1_106
; %bb.105:                              ;   in Loop: Header=BB1_107 Depth=2
	s_sleep 1
	s_cbranch_execnz .LBB1_107
	s_branch .LBB1_109
	.p2align	6
.LBB1_106:                              ;   in Loop: Header=BB1_31 Depth=1
	s_branch .LBB1_109
.LBB1_107:                              ;   Parent Loop BB1_31 Depth=1
                                        ; =>  This Inner Loop Header: Depth=2
	v_mov_b32_e32 v2, 1
	s_and_saveexec_b32 s1, s0
	s_cbranch_execz .LBB1_104
; %bb.108:                              ;   in Loop: Header=BB1_107 Depth=2
	global_load_b32 v2, v[32:33], off offset:20 glc
	s_waitcnt vmcnt(0)
	buffer_gl1_inv
	buffer_gl0_inv
	v_and_b32_e32 v2, 1, v2
	s_branch .LBB1_104
.LBB1_109:                              ;   in Loop: Header=BB1_31 Depth=1
	global_load_b128 v[0:3], v[0:1], off
	s_and_saveexec_b32 s1, s0
	s_cbranch_execz .LBB1_30
; %bb.110:                              ;   in Loop: Header=BB1_31 Depth=1
	s_clause 0x2
	global_load_b64 v[2:3], v9, s[2:3] offset:40
	global_load_b64 v[16:17], v9, s[2:3] offset:24 glc
	global_load_b64 v[14:15], v9, s[2:3]
	s_waitcnt vmcnt(2)
	v_add_co_u32 v8, vcc_lo, v2, 1
	v_add_co_ci_u32_e32 v18, vcc_lo, 0, v3, vcc_lo
	s_delay_alu instid0(VALU_DEP_2) | instskip(NEXT) | instid1(VALU_DEP_2)
	v_add_co_u32 v12, vcc_lo, v8, s4
	v_add_co_ci_u32_e32 v13, vcc_lo, s5, v18, vcc_lo
	s_delay_alu instid0(VALU_DEP_1) | instskip(SKIP_1) | instid1(VALU_DEP_1)
	v_cmp_eq_u64_e32 vcc_lo, 0, v[12:13]
	v_dual_cndmask_b32 v13, v13, v18 :: v_dual_cndmask_b32 v12, v12, v8
	v_and_b32_e32 v3, v13, v3
	s_delay_alu instid0(VALU_DEP_2) | instskip(NEXT) | instid1(VALU_DEP_1)
	v_and_b32_e32 v2, v12, v2
	v_mul_hi_u32 v8, v2, 24
	v_mul_lo_u32 v2, v2, 24
	s_waitcnt vmcnt(0)
	s_delay_alu instid0(VALU_DEP_1) | instskip(SKIP_2) | instid1(VALU_DEP_1)
	v_add_co_u32 v2, vcc_lo, v14, v2
	v_mov_b32_e32 v14, v16
	v_mul_lo_u32 v3, v3, 24
	v_add_nc_u32_e32 v3, v8, v3
	s_delay_alu instid0(VALU_DEP_1)
	v_add_co_ci_u32_e32 v3, vcc_lo, v15, v3, vcc_lo
	v_mov_b32_e32 v15, v17
	global_store_b64 v[2:3], v[16:17], off
	s_waitcnt_vscnt null, 0x0
	global_atomic_cmpswap_b64 v[14:15], v9, v[12:15], s[2:3] offset:24 glc
	s_waitcnt vmcnt(0)
	v_cmp_ne_u64_e32 vcc_lo, v[14:15], v[16:17]
	s_and_b32 exec_lo, exec_lo, vcc_lo
	s_cbranch_execz .LBB1_30
; %bb.111:                              ;   in Loop: Header=BB1_31 Depth=1
	s_mov_b32 s0, 0
.LBB1_112:                              ;   Parent Loop BB1_31 Depth=1
                                        ; =>  This Inner Loop Header: Depth=2
	s_sleep 1
	global_store_b64 v[2:3], v[14:15], off
	s_waitcnt_vscnt null, 0x0
	global_atomic_cmpswap_b64 v[16:17], v9, v[12:15], s[2:3] offset:24 glc
	s_waitcnt vmcnt(0)
	v_cmp_eq_u64_e32 vcc_lo, v[16:17], v[14:15]
	v_dual_mov_b32 v14, v16 :: v_dual_mov_b32 v15, v17
	s_or_b32 s0, vcc_lo, s0
	s_delay_alu instid0(SALU_CYCLE_1)
	s_and_not1_b32 exec_lo, exec_lo, s0
	s_cbranch_execnz .LBB1_112
	s_branch .LBB1_30
.LBB1_113:
                                        ; implicit-def: $vgpr0_vgpr1
	s_cbranch_execnz .LBB1_115
	s_branch .LBB1_142
.LBB1_114:
	s_or_b32 exec_lo, exec_lo, s10
	s_branch .LBB1_142
.LBB1_115:
	v_readfirstlane_b32 s0, v35
	v_mov_b32_e32 v9, 0
	v_mov_b32_e32 v10, 0
	s_delay_alu instid0(VALU_DEP_3) | instskip(NEXT) | instid1(VALU_DEP_1)
	v_cmp_eq_u32_e64 s0, s0, v35
	s_and_saveexec_b32 s1, s0
	s_cbranch_execz .LBB1_121
; %bb.116:
	s_waitcnt vmcnt(0)
	v_mov_b32_e32 v0, 0
	s_mov_b32 s4, exec_lo
	global_load_b64 v[11:12], v0, s[2:3] offset:24 glc
	s_waitcnt vmcnt(0)
	buffer_gl1_inv
	buffer_gl0_inv
	s_clause 0x1
	global_load_b64 v[1:2], v0, s[2:3] offset:40
	global_load_b64 v[8:9], v0, s[2:3]
	s_waitcnt vmcnt(1)
	v_and_b32_e32 v1, v1, v11
	v_and_b32_e32 v2, v2, v12
	s_delay_alu instid0(VALU_DEP_2) | instskip(NEXT) | instid1(VALU_DEP_2)
	v_mul_hi_u32 v3, v1, 24
	v_mul_lo_u32 v2, v2, 24
	v_mul_lo_u32 v1, v1, 24
	s_delay_alu instid0(VALU_DEP_2) | instskip(SKIP_1) | instid1(VALU_DEP_2)
	v_add_nc_u32_e32 v2, v3, v2
	s_waitcnt vmcnt(0)
	v_add_co_u32 v1, vcc_lo, v8, v1
	s_delay_alu instid0(VALU_DEP_2)
	v_add_co_ci_u32_e32 v2, vcc_lo, v9, v2, vcc_lo
	global_load_b64 v[9:10], v[1:2], off glc
	s_waitcnt vmcnt(0)
	global_atomic_cmpswap_b64 v[9:10], v0, v[9:12], s[2:3] offset:24 glc
	s_waitcnt vmcnt(0)
	buffer_gl1_inv
	buffer_gl0_inv
	v_cmpx_ne_u64_e64 v[9:10], v[11:12]
	s_cbranch_execz .LBB1_120
; %bb.117:
	s_mov_b32 s5, 0
	.p2align	6
.LBB1_118:                              ; =>This Inner Loop Header: Depth=1
	s_sleep 1
	s_clause 0x1
	global_load_b64 v[1:2], v0, s[2:3] offset:40
	global_load_b64 v[13:14], v0, s[2:3]
	v_dual_mov_b32 v12, v10 :: v_dual_mov_b32 v11, v9
	s_waitcnt vmcnt(1)
	s_delay_alu instid0(VALU_DEP_1) | instskip(SKIP_1) | instid1(VALU_DEP_1)
	v_and_b32_e32 v1, v1, v11
	s_waitcnt vmcnt(0)
	v_mad_u64_u32 v[8:9], null, v1, 24, v[13:14]
	s_delay_alu instid0(VALU_DEP_1) | instskip(NEXT) | instid1(VALU_DEP_1)
	v_dual_mov_b32 v1, v9 :: v_dual_and_b32 v10, v2, v12
	v_mad_u64_u32 v[2:3], null, v10, 24, v[1:2]
	s_delay_alu instid0(VALU_DEP_1)
	v_mov_b32_e32 v9, v2
	global_load_b64 v[9:10], v[8:9], off glc
	s_waitcnt vmcnt(0)
	global_atomic_cmpswap_b64 v[9:10], v0, v[9:12], s[2:3] offset:24 glc
	s_waitcnt vmcnt(0)
	buffer_gl1_inv
	buffer_gl0_inv
	v_cmp_eq_u64_e32 vcc_lo, v[9:10], v[11:12]
	s_or_b32 s5, vcc_lo, s5
	s_delay_alu instid0(SALU_CYCLE_1)
	s_and_not1_b32 exec_lo, exec_lo, s5
	s_cbranch_execnz .LBB1_118
; %bb.119:
	s_or_b32 exec_lo, exec_lo, s5
.LBB1_120:
	s_delay_alu instid0(SALU_CYCLE_1)
	s_or_b32 exec_lo, exec_lo, s4
.LBB1_121:
	s_delay_alu instid0(SALU_CYCLE_1)
	s_or_b32 exec_lo, exec_lo, s1
	v_mov_b32_e32 v8, 0
	v_readfirstlane_b32 s4, v9
	v_readfirstlane_b32 s5, v10
	s_mov_b32 s1, exec_lo
	s_clause 0x1
	global_load_b64 v[11:12], v8, s[2:3] offset:40
	global_load_b128 v[0:3], v8, s[2:3]
	s_waitcnt vmcnt(1)
	v_readfirstlane_b32 s6, v11
	v_readfirstlane_b32 s7, v12
	s_delay_alu instid0(VALU_DEP_1) | instskip(NEXT) | instid1(SALU_CYCLE_1)
	s_and_b64 s[6:7], s[4:5], s[6:7]
	s_mul_i32 s10, s7, 24
	s_mul_hi_u32 s11, s6, 24
	s_mul_i32 s12, s6, 24
	s_add_i32 s11, s11, s10
	s_waitcnt vmcnt(0)
	v_add_co_u32 v10, vcc_lo, v0, s12
	v_add_co_ci_u32_e32 v11, vcc_lo, s11, v1, vcc_lo
	s_and_saveexec_b32 s10, s0
	s_cbranch_execz .LBB1_123
; %bb.122:
	v_dual_mov_b32 v12, s1 :: v_dual_mov_b32 v13, v8
	v_dual_mov_b32 v14, 2 :: v_dual_mov_b32 v15, 1
	global_store_b128 v[10:11], v[12:15], off offset:8
.LBB1_123:
	s_or_b32 exec_lo, exec_lo, s10
	s_lshl_b64 s[6:7], s[6:7], 12
	s_mov_b32 s12, 0
	v_add_co_u32 v2, vcc_lo, v2, s6
	v_add_co_ci_u32_e32 v3, vcc_lo, s7, v3, vcc_lo
	s_mov_b32 s15, s12
	s_delay_alu instid0(VALU_DEP_2)
	v_add_co_u32 v12, vcc_lo, v2, v34
	s_mov_b32 s13, s12
	s_mov_b32 s14, s12
	v_and_or_b32 v6, 0xffffff1f, v6, 32
	v_mov_b32_e32 v9, v8
	v_readfirstlane_b32 s6, v2
	v_readfirstlane_b32 s7, v3
	v_dual_mov_b32 v17, s15 :: v_dual_mov_b32 v14, s12
	v_add_co_ci_u32_e32 v13, vcc_lo, 0, v3, vcc_lo
	v_dual_mov_b32 v16, s14 :: v_dual_mov_b32 v15, s13
	s_clause 0x3
	global_store_b128 v34, v[6:9], s[6:7]
	global_store_b128 v34, v[14:17], s[6:7] offset:16
	global_store_b128 v34, v[14:17], s[6:7] offset:32
	;; [unrolled: 1-line block ×3, first 2 shown]
	s_and_saveexec_b32 s1, s0
	s_cbranch_execz .LBB1_131
; %bb.124:
	v_dual_mov_b32 v8, 0 :: v_dual_mov_b32 v15, s5
	v_mov_b32_e32 v14, s4
	s_clause 0x1
	global_load_b64 v[16:17], v8, s[2:3] offset:32 glc
	global_load_b64 v[2:3], v8, s[2:3] offset:40
	s_waitcnt vmcnt(0)
	v_readfirstlane_b32 s6, v2
	v_readfirstlane_b32 s7, v3
	s_delay_alu instid0(VALU_DEP_1) | instskip(NEXT) | instid1(SALU_CYCLE_1)
	s_and_b64 s[6:7], s[6:7], s[4:5]
	s_mul_i32 s7, s7, 24
	s_mul_hi_u32 s10, s6, 24
	s_mul_i32 s6, s6, 24
	s_add_i32 s10, s10, s7
	v_add_co_u32 v6, vcc_lo, v0, s6
	v_add_co_ci_u32_e32 v7, vcc_lo, s10, v1, vcc_lo
	s_mov_b32 s6, exec_lo
	global_store_b64 v[6:7], v[16:17], off
	s_waitcnt_vscnt null, 0x0
	global_atomic_cmpswap_b64 v[2:3], v8, v[14:17], s[2:3] offset:32 glc
	s_waitcnt vmcnt(0)
	v_cmpx_ne_u64_e64 v[2:3], v[16:17]
	s_cbranch_execz .LBB1_127
; %bb.125:
	s_mov_b32 s7, 0
.LBB1_126:                              ; =>This Inner Loop Header: Depth=1
	v_dual_mov_b32 v0, s4 :: v_dual_mov_b32 v1, s5
	s_sleep 1
	global_store_b64 v[6:7], v[2:3], off
	s_waitcnt_vscnt null, 0x0
	global_atomic_cmpswap_b64 v[0:1], v8, v[0:3], s[2:3] offset:32 glc
	s_waitcnt vmcnt(0)
	v_cmp_eq_u64_e32 vcc_lo, v[0:1], v[2:3]
	v_dual_mov_b32 v3, v1 :: v_dual_mov_b32 v2, v0
	s_or_b32 s7, vcc_lo, s7
	s_delay_alu instid0(SALU_CYCLE_1)
	s_and_not1_b32 exec_lo, exec_lo, s7
	s_cbranch_execnz .LBB1_126
.LBB1_127:
	s_or_b32 exec_lo, exec_lo, s6
	v_mov_b32_e32 v3, 0
	s_mov_b32 s7, exec_lo
	s_mov_b32 s6, exec_lo
	v_mbcnt_lo_u32_b32 v2, s7, 0
	global_load_b64 v[0:1], v3, s[2:3] offset:16
	v_cmpx_eq_u32_e32 0, v2
	s_cbranch_execz .LBB1_129
; %bb.128:
	s_bcnt1_i32_b32 s7, s7
	s_delay_alu instid0(SALU_CYCLE_1)
	v_mov_b32_e32 v2, s7
	s_waitcnt vmcnt(0)
	global_atomic_add_u64 v[0:1], v[2:3], off offset:8
.LBB1_129:
	s_or_b32 exec_lo, exec_lo, s6
	s_waitcnt vmcnt(0)
	global_load_b64 v[2:3], v[0:1], off offset:16
	s_waitcnt vmcnt(0)
	v_cmp_eq_u64_e32 vcc_lo, 0, v[2:3]
	s_cbranch_vccnz .LBB1_131
; %bb.130:
	global_load_b32 v0, v[0:1], off offset:24
	s_waitcnt vmcnt(0)
	v_dual_mov_b32 v1, 0 :: v_dual_and_b32 v6, 0xffffff, v0
	s_waitcnt_vscnt null, 0x0
	global_store_b64 v[2:3], v[0:1], off
	v_readfirstlane_b32 m0, v6
	s_sendmsg sendmsg(MSG_INTERRUPT)
.LBB1_131:
	s_or_b32 exec_lo, exec_lo, s1
	s_branch .LBB1_135
	.p2align	6
.LBB1_132:                              ;   in Loop: Header=BB1_135 Depth=1
	s_or_b32 exec_lo, exec_lo, s1
	s_delay_alu instid0(VALU_DEP_1) | instskip(NEXT) | instid1(VALU_DEP_1)
	v_readfirstlane_b32 s1, v0
	s_cmp_eq_u32 s1, 0
	s_cbranch_scc1 .LBB1_134
; %bb.133:                              ;   in Loop: Header=BB1_135 Depth=1
	s_sleep 1
	s_cbranch_execnz .LBB1_135
	s_branch .LBB1_137
	.p2align	6
.LBB1_134:
	s_branch .LBB1_137
.LBB1_135:                              ; =>This Inner Loop Header: Depth=1
	v_mov_b32_e32 v0, 1
	s_and_saveexec_b32 s1, s0
	s_cbranch_execz .LBB1_132
; %bb.136:                              ;   in Loop: Header=BB1_135 Depth=1
	global_load_b32 v0, v[10:11], off offset:20 glc
	s_waitcnt vmcnt(0)
	buffer_gl1_inv
	buffer_gl0_inv
	v_and_b32_e32 v0, 1, v0
	s_branch .LBB1_132
.LBB1_137:
	global_load_b64 v[0:1], v[12:13], off
	s_and_saveexec_b32 s1, s0
	s_cbranch_execz .LBB1_141
; %bb.138:
	v_mov_b32_e32 v10, 0
	s_clause 0x2
	global_load_b64 v[2:3], v10, s[2:3] offset:40
	global_load_b64 v[11:12], v10, s[2:3] offset:24 glc
	global_load_b64 v[8:9], v10, s[2:3]
	s_waitcnt vmcnt(2)
	v_add_co_u32 v13, vcc_lo, v2, 1
	v_add_co_ci_u32_e32 v14, vcc_lo, 0, v3, vcc_lo
	s_delay_alu instid0(VALU_DEP_2) | instskip(NEXT) | instid1(VALU_DEP_2)
	v_add_co_u32 v6, vcc_lo, v13, s4
	v_add_co_ci_u32_e32 v7, vcc_lo, s5, v14, vcc_lo
	s_delay_alu instid0(VALU_DEP_1) | instskip(SKIP_1) | instid1(VALU_DEP_1)
	v_cmp_eq_u64_e32 vcc_lo, 0, v[6:7]
	v_dual_cndmask_b32 v7, v7, v14 :: v_dual_cndmask_b32 v6, v6, v13
	v_and_b32_e32 v3, v7, v3
	s_delay_alu instid0(VALU_DEP_2) | instskip(NEXT) | instid1(VALU_DEP_2)
	v_and_b32_e32 v2, v6, v2
	v_mul_lo_u32 v3, v3, 24
	s_delay_alu instid0(VALU_DEP_2) | instskip(SKIP_1) | instid1(VALU_DEP_2)
	v_mul_hi_u32 v13, v2, 24
	v_mul_lo_u32 v2, v2, 24
	v_add_nc_u32_e32 v3, v13, v3
	s_waitcnt vmcnt(0)
	s_delay_alu instid0(VALU_DEP_2) | instskip(SKIP_1) | instid1(VALU_DEP_3)
	v_add_co_u32 v2, vcc_lo, v8, v2
	v_mov_b32_e32 v8, v11
	v_add_co_ci_u32_e32 v3, vcc_lo, v9, v3, vcc_lo
	v_mov_b32_e32 v9, v12
	global_store_b64 v[2:3], v[11:12], off
	s_waitcnt_vscnt null, 0x0
	global_atomic_cmpswap_b64 v[8:9], v10, v[6:9], s[2:3] offset:24 glc
	s_waitcnt vmcnt(0)
	v_cmp_ne_u64_e32 vcc_lo, v[8:9], v[11:12]
	s_and_b32 exec_lo, exec_lo, vcc_lo
	s_cbranch_execz .LBB1_141
; %bb.139:
	s_mov_b32 s0, 0
.LBB1_140:                              ; =>This Inner Loop Header: Depth=1
	s_sleep 1
	global_store_b64 v[2:3], v[8:9], off
	s_waitcnt_vscnt null, 0x0
	global_atomic_cmpswap_b64 v[11:12], v10, v[6:9], s[2:3] offset:24 glc
	s_waitcnt vmcnt(0)
	v_cmp_eq_u64_e32 vcc_lo, v[11:12], v[8:9]
	v_dual_mov_b32 v8, v11 :: v_dual_mov_b32 v9, v12
	s_or_b32 s0, vcc_lo, s0
	s_delay_alu instid0(SALU_CYCLE_1)
	s_and_not1_b32 exec_lo, exec_lo, s0
	s_cbranch_execnz .LBB1_140
.LBB1_141:
	s_or_b32 exec_lo, exec_lo, s1
.LBB1_142:
	s_getpc_b64 s[4:5]
	s_add_u32 s4, s4, .str.2@rel32@lo+4
	s_addc_u32 s5, s5, .str.2@rel32@hi+12
	s_delay_alu instid0(SALU_CYCLE_1)
	s_cmp_lg_u64 s[4:5], 0
	s_cbranch_scc0 .LBB1_220
; %bb.143:
	s_getpc_b64 s[0:1]
	s_add_u32 s0, s0, .str.2@rel32@lo+80
	s_addc_u32 s1, s1, .str.2@rel32@hi+88
	s_waitcnt vmcnt(0)
	v_dual_mov_b32 v10, 0 :: v_dual_and_b32 v33, 2, v0
	v_dual_mov_b32 v7, v1 :: v_dual_and_b32 v6, -3, v0
	v_dual_mov_b32 v11, 2 :: v_dual_mov_b32 v12, 1
	s_sub_i32 s6, s0, s4
	s_delay_alu instid0(SALU_CYCLE_1)
	s_ashr_i32 s7, s6, 31
	s_branch .LBB1_145
.LBB1_144:                              ;   in Loop: Header=BB1_145 Depth=1
	s_or_b32 exec_lo, exec_lo, s1
	s_sub_u32 s6, s6, s10
	s_subb_u32 s7, s7, s11
	s_add_u32 s4, s4, s10
	s_addc_u32 s5, s5, s11
	s_cmp_lg_u64 s[6:7], 0
	s_cbranch_scc0 .LBB1_221
.LBB1_145:                              ; =>This Loop Header: Depth=1
                                        ;     Child Loop BB1_154 Depth 2
                                        ;     Child Loop BB1_150 Depth 2
                                        ;     Child Loop BB1_162 Depth 2
                                        ;     Child Loop BB1_169 Depth 2
                                        ;     Child Loop BB1_176 Depth 2
                                        ;     Child Loop BB1_183 Depth 2
                                        ;     Child Loop BB1_190 Depth 2
                                        ;     Child Loop BB1_197 Depth 2
                                        ;     Child Loop BB1_205 Depth 2
                                        ;     Child Loop BB1_214 Depth 2
                                        ;     Child Loop BB1_219 Depth 2
	v_cmp_lt_u64_e64 s0, s[6:7], 56
	v_cmp_gt_u64_e64 s1, s[6:7], 7
                                        ; implicit-def: $vgpr15_vgpr16
                                        ; implicit-def: $sgpr16
	s_delay_alu instid0(VALU_DEP_2) | instskip(SKIP_2) | instid1(VALU_DEP_1)
	s_and_b32 s0, s0, exec_lo
	s_cselect_b32 s11, s7, 0
	s_cselect_b32 s10, s6, 56
	s_and_b32 vcc_lo, exec_lo, s1
	s_mov_b32 s0, -1
	s_cbranch_vccz .LBB1_152
; %bb.146:                              ;   in Loop: Header=BB1_145 Depth=1
	s_and_not1_b32 vcc_lo, exec_lo, s0
	s_mov_b64 s[0:1], s[4:5]
	s_cbranch_vccz .LBB1_156
.LBB1_147:                              ;   in Loop: Header=BB1_145 Depth=1
	s_cmp_gt_u32 s16, 7
	s_cbranch_scc1 .LBB1_157
.LBB1_148:                              ;   in Loop: Header=BB1_145 Depth=1
	v_mov_b32_e32 v17, 0
	v_mov_b32_e32 v18, 0
	s_cmp_eq_u32 s16, 0
	s_cbranch_scc1 .LBB1_151
; %bb.149:                              ;   in Loop: Header=BB1_145 Depth=1
	s_mov_b64 s[12:13], 0
	s_mov_b64 s[14:15], 0
.LBB1_150:                              ;   Parent Loop BB1_145 Depth=1
                                        ; =>  This Inner Loop Header: Depth=2
	s_delay_alu instid0(SALU_CYCLE_1)
	s_add_u32 s18, s0, s14
	s_addc_u32 s19, s1, s15
	s_add_u32 s14, s14, 1
	global_load_u8 v2, v10, s[18:19]
	s_addc_u32 s15, s15, 0
	s_waitcnt vmcnt(0)
	v_and_b32_e32 v9, 0xffff, v2
	s_delay_alu instid0(VALU_DEP_1) | instskip(SKIP_3) | instid1(VALU_DEP_1)
	v_lshlrev_b64 v[2:3], s12, v[9:10]
	s_add_u32 s12, s12, 8
	s_addc_u32 s13, s13, 0
	s_cmp_lg_u32 s16, s14
	v_or_b32_e32 v17, v2, v17
	s_delay_alu instid0(VALU_DEP_2)
	v_or_b32_e32 v18, v3, v18
	s_cbranch_scc1 .LBB1_150
.LBB1_151:                              ;   in Loop: Header=BB1_145 Depth=1
	s_mov_b32 s17, 0
	s_cbranch_execz .LBB1_158
	s_branch .LBB1_159
.LBB1_152:                              ;   in Loop: Header=BB1_145 Depth=1
	v_mov_b32_e32 v15, 0
	v_mov_b32_e32 v16, 0
	s_cmp_eq_u64 s[6:7], 0
	s_mov_b64 s[0:1], 0
	s_cbranch_scc1 .LBB1_155
; %bb.153:                              ;   in Loop: Header=BB1_145 Depth=1
	v_mov_b32_e32 v15, 0
	v_mov_b32_e32 v16, 0
	s_lshl_b64 s[12:13], s[10:11], 3
	s_mov_b64 s[14:15], s[4:5]
.LBB1_154:                              ;   Parent Loop BB1_145 Depth=1
                                        ; =>  This Inner Loop Header: Depth=2
	global_load_u8 v2, v10, s[14:15]
	s_waitcnt vmcnt(0)
	v_and_b32_e32 v9, 0xffff, v2
	s_delay_alu instid0(VALU_DEP_1)
	v_lshlrev_b64 v[2:3], s0, v[9:10]
	s_add_u32 s0, s0, 8
	s_addc_u32 s1, s1, 0
	s_add_u32 s14, s14, 1
	s_addc_u32 s15, s15, 0
	s_cmp_lg_u32 s12, s0
	v_or_b32_e32 v15, v2, v15
	v_or_b32_e32 v16, v3, v16
	s_cbranch_scc1 .LBB1_154
.LBB1_155:                              ;   in Loop: Header=BB1_145 Depth=1
	s_mov_b32 s16, 0
	s_mov_b64 s[0:1], s[4:5]
	s_cbranch_execnz .LBB1_147
.LBB1_156:                              ;   in Loop: Header=BB1_145 Depth=1
	global_load_b64 v[15:16], v10, s[4:5]
	s_add_i32 s16, s10, -8
	s_add_u32 s0, s4, 8
	s_addc_u32 s1, s5, 0
	s_cmp_gt_u32 s16, 7
	s_cbranch_scc0 .LBB1_148
.LBB1_157:                              ;   in Loop: Header=BB1_145 Depth=1
                                        ; implicit-def: $vgpr17_vgpr18
                                        ; implicit-def: $sgpr17
.LBB1_158:                              ;   in Loop: Header=BB1_145 Depth=1
	global_load_b64 v[17:18], v10, s[0:1]
	s_add_i32 s17, s16, -8
	s_add_u32 s0, s0, 8
	s_addc_u32 s1, s1, 0
.LBB1_159:                              ;   in Loop: Header=BB1_145 Depth=1
	s_cmp_gt_u32 s17, 7
	s_cbranch_scc1 .LBB1_164
; %bb.160:                              ;   in Loop: Header=BB1_145 Depth=1
	v_mov_b32_e32 v19, 0
	v_mov_b32_e32 v20, 0
	s_cmp_eq_u32 s17, 0
	s_cbranch_scc1 .LBB1_163
; %bb.161:                              ;   in Loop: Header=BB1_145 Depth=1
	s_mov_b64 s[12:13], 0
	s_mov_b64 s[14:15], 0
.LBB1_162:                              ;   Parent Loop BB1_145 Depth=1
                                        ; =>  This Inner Loop Header: Depth=2
	s_delay_alu instid0(SALU_CYCLE_1)
	s_add_u32 s18, s0, s14
	s_addc_u32 s19, s1, s15
	s_add_u32 s14, s14, 1
	global_load_u8 v2, v10, s[18:19]
	s_addc_u32 s15, s15, 0
	s_waitcnt vmcnt(0)
	v_and_b32_e32 v9, 0xffff, v2
	s_delay_alu instid0(VALU_DEP_1) | instskip(SKIP_3) | instid1(VALU_DEP_1)
	v_lshlrev_b64 v[2:3], s12, v[9:10]
	s_add_u32 s12, s12, 8
	s_addc_u32 s13, s13, 0
	s_cmp_lg_u32 s17, s14
	v_or_b32_e32 v19, v2, v19
	s_delay_alu instid0(VALU_DEP_2)
	v_or_b32_e32 v20, v3, v20
	s_cbranch_scc1 .LBB1_162
.LBB1_163:                              ;   in Loop: Header=BB1_145 Depth=1
	s_mov_b32 s16, 0
	s_cbranch_execz .LBB1_165
	s_branch .LBB1_166
.LBB1_164:                              ;   in Loop: Header=BB1_145 Depth=1
                                        ; implicit-def: $sgpr16
.LBB1_165:                              ;   in Loop: Header=BB1_145 Depth=1
	global_load_b64 v[19:20], v10, s[0:1]
	s_add_i32 s16, s17, -8
	s_add_u32 s0, s0, 8
	s_addc_u32 s1, s1, 0
.LBB1_166:                              ;   in Loop: Header=BB1_145 Depth=1
	s_cmp_gt_u32 s16, 7
	s_cbranch_scc1 .LBB1_171
; %bb.167:                              ;   in Loop: Header=BB1_145 Depth=1
	v_mov_b32_e32 v21, 0
	v_mov_b32_e32 v22, 0
	s_cmp_eq_u32 s16, 0
	s_cbranch_scc1 .LBB1_170
; %bb.168:                              ;   in Loop: Header=BB1_145 Depth=1
	s_mov_b64 s[12:13], 0
	s_mov_b64 s[14:15], 0
.LBB1_169:                              ;   Parent Loop BB1_145 Depth=1
                                        ; =>  This Inner Loop Header: Depth=2
	s_delay_alu instid0(SALU_CYCLE_1)
	s_add_u32 s18, s0, s14
	s_addc_u32 s19, s1, s15
	s_add_u32 s14, s14, 1
	global_load_u8 v2, v10, s[18:19]
	s_addc_u32 s15, s15, 0
	s_waitcnt vmcnt(0)
	v_and_b32_e32 v9, 0xffff, v2
	s_delay_alu instid0(VALU_DEP_1) | instskip(SKIP_3) | instid1(VALU_DEP_1)
	v_lshlrev_b64 v[2:3], s12, v[9:10]
	s_add_u32 s12, s12, 8
	s_addc_u32 s13, s13, 0
	s_cmp_lg_u32 s16, s14
	v_or_b32_e32 v21, v2, v21
	s_delay_alu instid0(VALU_DEP_2)
	v_or_b32_e32 v22, v3, v22
	s_cbranch_scc1 .LBB1_169
.LBB1_170:                              ;   in Loop: Header=BB1_145 Depth=1
	s_mov_b32 s17, 0
	s_cbranch_execz .LBB1_172
	s_branch .LBB1_173
.LBB1_171:                              ;   in Loop: Header=BB1_145 Depth=1
                                        ; implicit-def: $vgpr21_vgpr22
                                        ; implicit-def: $sgpr17
.LBB1_172:                              ;   in Loop: Header=BB1_145 Depth=1
	global_load_b64 v[21:22], v10, s[0:1]
	s_add_i32 s17, s16, -8
	s_add_u32 s0, s0, 8
	s_addc_u32 s1, s1, 0
.LBB1_173:                              ;   in Loop: Header=BB1_145 Depth=1
	s_cmp_gt_u32 s17, 7
	s_cbranch_scc1 .LBB1_178
; %bb.174:                              ;   in Loop: Header=BB1_145 Depth=1
	v_mov_b32_e32 v23, 0
	v_mov_b32_e32 v24, 0
	s_cmp_eq_u32 s17, 0
	s_cbranch_scc1 .LBB1_177
; %bb.175:                              ;   in Loop: Header=BB1_145 Depth=1
	s_mov_b64 s[12:13], 0
	s_mov_b64 s[14:15], 0
.LBB1_176:                              ;   Parent Loop BB1_145 Depth=1
                                        ; =>  This Inner Loop Header: Depth=2
	s_delay_alu instid0(SALU_CYCLE_1)
	s_add_u32 s18, s0, s14
	s_addc_u32 s19, s1, s15
	s_add_u32 s14, s14, 1
	global_load_u8 v2, v10, s[18:19]
	s_addc_u32 s15, s15, 0
	s_waitcnt vmcnt(0)
	v_and_b32_e32 v9, 0xffff, v2
	s_delay_alu instid0(VALU_DEP_1) | instskip(SKIP_3) | instid1(VALU_DEP_1)
	v_lshlrev_b64 v[2:3], s12, v[9:10]
	s_add_u32 s12, s12, 8
	s_addc_u32 s13, s13, 0
	s_cmp_lg_u32 s17, s14
	v_or_b32_e32 v23, v2, v23
	s_delay_alu instid0(VALU_DEP_2)
	v_or_b32_e32 v24, v3, v24
	s_cbranch_scc1 .LBB1_176
.LBB1_177:                              ;   in Loop: Header=BB1_145 Depth=1
	s_mov_b32 s16, 0
	s_cbranch_execz .LBB1_179
	s_branch .LBB1_180
.LBB1_178:                              ;   in Loop: Header=BB1_145 Depth=1
                                        ; implicit-def: $sgpr16
.LBB1_179:                              ;   in Loop: Header=BB1_145 Depth=1
	global_load_b64 v[23:24], v10, s[0:1]
	s_add_i32 s16, s17, -8
	s_add_u32 s0, s0, 8
	s_addc_u32 s1, s1, 0
.LBB1_180:                              ;   in Loop: Header=BB1_145 Depth=1
	s_cmp_gt_u32 s16, 7
	s_cbranch_scc1 .LBB1_185
; %bb.181:                              ;   in Loop: Header=BB1_145 Depth=1
	v_mov_b32_e32 v25, 0
	v_mov_b32_e32 v26, 0
	s_cmp_eq_u32 s16, 0
	s_cbranch_scc1 .LBB1_184
; %bb.182:                              ;   in Loop: Header=BB1_145 Depth=1
	s_mov_b64 s[12:13], 0
	s_mov_b64 s[14:15], 0
.LBB1_183:                              ;   Parent Loop BB1_145 Depth=1
                                        ; =>  This Inner Loop Header: Depth=2
	s_delay_alu instid0(SALU_CYCLE_1)
	s_add_u32 s18, s0, s14
	s_addc_u32 s19, s1, s15
	s_add_u32 s14, s14, 1
	global_load_u8 v2, v10, s[18:19]
	s_addc_u32 s15, s15, 0
	s_waitcnt vmcnt(0)
	v_and_b32_e32 v9, 0xffff, v2
	s_delay_alu instid0(VALU_DEP_1) | instskip(SKIP_3) | instid1(VALU_DEP_1)
	v_lshlrev_b64 v[2:3], s12, v[9:10]
	s_add_u32 s12, s12, 8
	s_addc_u32 s13, s13, 0
	s_cmp_lg_u32 s16, s14
	v_or_b32_e32 v25, v2, v25
	s_delay_alu instid0(VALU_DEP_2)
	v_or_b32_e32 v26, v3, v26
	s_cbranch_scc1 .LBB1_183
.LBB1_184:                              ;   in Loop: Header=BB1_145 Depth=1
	s_mov_b32 s17, 0
	s_cbranch_execz .LBB1_186
	s_branch .LBB1_187
.LBB1_185:                              ;   in Loop: Header=BB1_145 Depth=1
                                        ; implicit-def: $vgpr25_vgpr26
                                        ; implicit-def: $sgpr17
.LBB1_186:                              ;   in Loop: Header=BB1_145 Depth=1
	global_load_b64 v[25:26], v10, s[0:1]
	s_add_i32 s17, s16, -8
	s_add_u32 s0, s0, 8
	s_addc_u32 s1, s1, 0
.LBB1_187:                              ;   in Loop: Header=BB1_145 Depth=1
	s_cmp_gt_u32 s17, 7
	s_cbranch_scc1 .LBB1_192
; %bb.188:                              ;   in Loop: Header=BB1_145 Depth=1
	v_mov_b32_e32 v27, 0
	v_mov_b32_e32 v28, 0
	s_cmp_eq_u32 s17, 0
	s_cbranch_scc1 .LBB1_191
; %bb.189:                              ;   in Loop: Header=BB1_145 Depth=1
	s_mov_b64 s[12:13], 0
	s_mov_b64 s[14:15], s[0:1]
.LBB1_190:                              ;   Parent Loop BB1_145 Depth=1
                                        ; =>  This Inner Loop Header: Depth=2
	global_load_u8 v2, v10, s[14:15]
	s_add_i32 s17, s17, -1
	s_waitcnt vmcnt(0)
	v_and_b32_e32 v9, 0xffff, v2
	s_delay_alu instid0(VALU_DEP_1)
	v_lshlrev_b64 v[2:3], s12, v[9:10]
	s_add_u32 s12, s12, 8
	s_addc_u32 s13, s13, 0
	s_add_u32 s14, s14, 1
	s_addc_u32 s15, s15, 0
	s_cmp_lg_u32 s17, 0
	v_or_b32_e32 v27, v2, v27
	v_or_b32_e32 v28, v3, v28
	s_cbranch_scc1 .LBB1_190
.LBB1_191:                              ;   in Loop: Header=BB1_145 Depth=1
	s_cbranch_execz .LBB1_193
	s_branch .LBB1_194
.LBB1_192:                              ;   in Loop: Header=BB1_145 Depth=1
.LBB1_193:                              ;   in Loop: Header=BB1_145 Depth=1
	global_load_b64 v[27:28], v10, s[0:1]
.LBB1_194:                              ;   in Loop: Header=BB1_145 Depth=1
	v_readfirstlane_b32 s0, v35
	v_mov_b32_e32 v2, 0
	v_mov_b32_e32 v3, 0
	s_delay_alu instid0(VALU_DEP_3) | instskip(NEXT) | instid1(VALU_DEP_1)
	v_cmp_eq_u32_e64 s0, s0, v35
	s_and_saveexec_b32 s1, s0
	s_cbranch_execz .LBB1_200
; %bb.195:                              ;   in Loop: Header=BB1_145 Depth=1
	global_load_b64 v[31:32], v10, s[2:3] offset:24 glc
	s_waitcnt vmcnt(0)
	buffer_gl1_inv
	buffer_gl0_inv
	s_clause 0x1
	global_load_b64 v[2:3], v10, s[2:3] offset:40
	global_load_b64 v[8:9], v10, s[2:3]
	s_mov_b32 s12, exec_lo
	s_waitcnt vmcnt(1)
	v_and_b32_e32 v3, v3, v32
	v_and_b32_e32 v2, v2, v31
	s_delay_alu instid0(VALU_DEP_2) | instskip(NEXT) | instid1(VALU_DEP_2)
	v_mul_lo_u32 v3, v3, 24
	v_mul_hi_u32 v13, v2, 24
	v_mul_lo_u32 v2, v2, 24
	s_delay_alu instid0(VALU_DEP_2) | instskip(SKIP_1) | instid1(VALU_DEP_2)
	v_add_nc_u32_e32 v3, v13, v3
	s_waitcnt vmcnt(0)
	v_add_co_u32 v2, vcc_lo, v8, v2
	s_delay_alu instid0(VALU_DEP_2)
	v_add_co_ci_u32_e32 v3, vcc_lo, v9, v3, vcc_lo
	global_load_b64 v[29:30], v[2:3], off glc
	s_waitcnt vmcnt(0)
	global_atomic_cmpswap_b64 v[2:3], v10, v[29:32], s[2:3] offset:24 glc
	s_waitcnt vmcnt(0)
	buffer_gl1_inv
	buffer_gl0_inv
	v_cmpx_ne_u64_e64 v[2:3], v[31:32]
	s_cbranch_execz .LBB1_199
; %bb.196:                              ;   in Loop: Header=BB1_145 Depth=1
	s_mov_b32 s13, 0
	.p2align	6
.LBB1_197:                              ;   Parent Loop BB1_145 Depth=1
                                        ; =>  This Inner Loop Header: Depth=2
	s_sleep 1
	s_clause 0x1
	global_load_b64 v[8:9], v10, s[2:3] offset:40
	global_load_b64 v[13:14], v10, s[2:3]
	v_dual_mov_b32 v32, v3 :: v_dual_mov_b32 v31, v2
	s_waitcnt vmcnt(1)
	s_delay_alu instid0(VALU_DEP_1) | instskip(SKIP_1) | instid1(VALU_DEP_1)
	v_and_b32_e32 v8, v8, v31
	s_waitcnt vmcnt(0)
	v_mad_u64_u32 v[2:3], null, v8, 24, v[13:14]
	v_and_b32_e32 v13, v9, v32
	s_delay_alu instid0(VALU_DEP_1) | instskip(NEXT) | instid1(VALU_DEP_1)
	v_mad_u64_u32 v[8:9], null, v13, 24, v[3:4]
	v_mov_b32_e32 v3, v8
	global_load_b64 v[29:30], v[2:3], off glc
	s_waitcnt vmcnt(0)
	global_atomic_cmpswap_b64 v[2:3], v10, v[29:32], s[2:3] offset:24 glc
	s_waitcnt vmcnt(0)
	buffer_gl1_inv
	buffer_gl0_inv
	v_cmp_eq_u64_e32 vcc_lo, v[2:3], v[31:32]
	s_or_b32 s13, vcc_lo, s13
	s_delay_alu instid0(SALU_CYCLE_1)
	s_and_not1_b32 exec_lo, exec_lo, s13
	s_cbranch_execnz .LBB1_197
; %bb.198:                              ;   in Loop: Header=BB1_145 Depth=1
	s_or_b32 exec_lo, exec_lo, s13
.LBB1_199:                              ;   in Loop: Header=BB1_145 Depth=1
	s_delay_alu instid0(SALU_CYCLE_1)
	s_or_b32 exec_lo, exec_lo, s12
.LBB1_200:                              ;   in Loop: Header=BB1_145 Depth=1
	s_delay_alu instid0(SALU_CYCLE_1)
	s_or_b32 exec_lo, exec_lo, s1
	s_clause 0x1
	global_load_b64 v[8:9], v10, s[2:3] offset:40
	global_load_b128 v[29:32], v10, s[2:3]
	v_readfirstlane_b32 s12, v2
	v_readfirstlane_b32 s13, v3
	s_mov_b32 s1, exec_lo
	s_waitcnt vmcnt(1)
	v_readfirstlane_b32 s14, v8
	v_readfirstlane_b32 s15, v9
	s_delay_alu instid0(VALU_DEP_1) | instskip(NEXT) | instid1(SALU_CYCLE_1)
	s_and_b64 s[14:15], s[12:13], s[14:15]
	s_mul_i32 s16, s15, 24
	s_mul_hi_u32 s17, s14, 24
	s_mul_i32 s18, s14, 24
	s_add_i32 s17, s17, s16
	s_waitcnt vmcnt(0)
	v_add_co_u32 v2, vcc_lo, v29, s18
	v_add_co_ci_u32_e32 v3, vcc_lo, s17, v30, vcc_lo
	s_and_saveexec_b32 s16, s0
	s_cbranch_execz .LBB1_202
; %bb.201:                              ;   in Loop: Header=BB1_145 Depth=1
	v_mov_b32_e32 v9, s1
	global_store_b128 v[2:3], v[9:12], off offset:8
.LBB1_202:                              ;   in Loop: Header=BB1_145 Depth=1
	s_or_b32 exec_lo, exec_lo, s16
	s_lshl_b64 s[14:15], s[14:15], 12
	v_cmp_gt_u64_e64 vcc_lo, s[6:7], 56
	v_or_b32_e32 v9, v6, v33
	v_add_co_u32 v31, s1, v31, s14
	s_delay_alu instid0(VALU_DEP_1)
	v_add_co_ci_u32_e64 v32, s1, s15, v32, s1
	s_lshl_b32 s1, s10, 2
	v_or_b32_e32 v8, 0, v7
	v_cndmask_b32_e32 v6, v9, v6, vcc_lo
	s_add_i32 s1, s1, 28
	v_readfirstlane_b32 s14, v31
	s_and_b32 s1, s1, 0x1e0
	v_cndmask_b32_e32 v14, v8, v7, vcc_lo
	v_readfirstlane_b32 s15, v32
	v_and_or_b32 v13, 0xffffff1f, v6, s1
	s_clause 0x3
	global_store_b128 v34, v[13:16], s[14:15]
	global_store_b128 v34, v[17:20], s[14:15] offset:16
	global_store_b128 v34, v[21:24], s[14:15] offset:32
	;; [unrolled: 1-line block ×3, first 2 shown]
	s_and_saveexec_b32 s1, s0
	s_cbranch_execz .LBB1_210
; %bb.203:                              ;   in Loop: Header=BB1_145 Depth=1
	s_clause 0x1
	global_load_b64 v[17:18], v10, s[2:3] offset:32 glc
	global_load_b64 v[6:7], v10, s[2:3] offset:40
	v_dual_mov_b32 v15, s12 :: v_dual_mov_b32 v16, s13
	s_waitcnt vmcnt(0)
	v_readfirstlane_b32 s14, v6
	v_readfirstlane_b32 s15, v7
	s_delay_alu instid0(VALU_DEP_1) | instskip(NEXT) | instid1(SALU_CYCLE_1)
	s_and_b64 s[14:15], s[14:15], s[12:13]
	s_mul_i32 s15, s15, 24
	s_mul_hi_u32 s16, s14, 24
	s_mul_i32 s14, s14, 24
	s_add_i32 s16, s16, s15
	v_add_co_u32 v13, vcc_lo, v29, s14
	v_add_co_ci_u32_e32 v14, vcc_lo, s16, v30, vcc_lo
	s_mov_b32 s14, exec_lo
	global_store_b64 v[13:14], v[17:18], off
	s_waitcnt_vscnt null, 0x0
	global_atomic_cmpswap_b64 v[8:9], v10, v[15:18], s[2:3] offset:32 glc
	s_waitcnt vmcnt(0)
	v_cmpx_ne_u64_e64 v[8:9], v[17:18]
	s_cbranch_execz .LBB1_206
; %bb.204:                              ;   in Loop: Header=BB1_145 Depth=1
	s_mov_b32 s15, 0
.LBB1_205:                              ;   Parent Loop BB1_145 Depth=1
                                        ; =>  This Inner Loop Header: Depth=2
	v_dual_mov_b32 v6, s12 :: v_dual_mov_b32 v7, s13
	s_sleep 1
	global_store_b64 v[13:14], v[8:9], off
	s_waitcnt_vscnt null, 0x0
	global_atomic_cmpswap_b64 v[6:7], v10, v[6:9], s[2:3] offset:32 glc
	s_waitcnt vmcnt(0)
	v_cmp_eq_u64_e32 vcc_lo, v[6:7], v[8:9]
	v_dual_mov_b32 v9, v7 :: v_dual_mov_b32 v8, v6
	s_or_b32 s15, vcc_lo, s15
	s_delay_alu instid0(SALU_CYCLE_1)
	s_and_not1_b32 exec_lo, exec_lo, s15
	s_cbranch_execnz .LBB1_205
.LBB1_206:                              ;   in Loop: Header=BB1_145 Depth=1
	s_or_b32 exec_lo, exec_lo, s14
	global_load_b64 v[6:7], v10, s[2:3] offset:16
	s_mov_b32 s15, exec_lo
	s_mov_b32 s14, exec_lo
	v_mbcnt_lo_u32_b32 v8, s15, 0
	s_delay_alu instid0(VALU_DEP_1)
	v_cmpx_eq_u32_e32 0, v8
	s_cbranch_execz .LBB1_208
; %bb.207:                              ;   in Loop: Header=BB1_145 Depth=1
	s_bcnt1_i32_b32 s15, s15
	s_delay_alu instid0(SALU_CYCLE_1)
	v_mov_b32_e32 v9, s15
	s_waitcnt vmcnt(0)
	global_atomic_add_u64 v[6:7], v[9:10], off offset:8
.LBB1_208:                              ;   in Loop: Header=BB1_145 Depth=1
	s_or_b32 exec_lo, exec_lo, s14
	s_waitcnt vmcnt(0)
	global_load_b64 v[13:14], v[6:7], off offset:16
	s_waitcnt vmcnt(0)
	v_cmp_eq_u64_e32 vcc_lo, 0, v[13:14]
	s_cbranch_vccnz .LBB1_210
; %bb.209:                              ;   in Loop: Header=BB1_145 Depth=1
	global_load_b32 v9, v[6:7], off offset:24
	s_waitcnt vmcnt(0)
	v_and_b32_e32 v6, 0xffffff, v9
	s_waitcnt_vscnt null, 0x0
	global_store_b64 v[13:14], v[9:10], off
	v_readfirstlane_b32 m0, v6
	s_sendmsg sendmsg(MSG_INTERRUPT)
.LBB1_210:                              ;   in Loop: Header=BB1_145 Depth=1
	s_or_b32 exec_lo, exec_lo, s1
	v_add_co_u32 v6, vcc_lo, v31, v34
	v_add_co_ci_u32_e32 v7, vcc_lo, 0, v32, vcc_lo
	s_branch .LBB1_214
	.p2align	6
.LBB1_211:                              ;   in Loop: Header=BB1_214 Depth=2
	s_or_b32 exec_lo, exec_lo, s1
	s_delay_alu instid0(VALU_DEP_1) | instskip(NEXT) | instid1(VALU_DEP_1)
	v_readfirstlane_b32 s1, v8
	s_cmp_eq_u32 s1, 0
	s_cbranch_scc1 .LBB1_213
; %bb.212:                              ;   in Loop: Header=BB1_214 Depth=2
	s_sleep 1
	s_cbranch_execnz .LBB1_214
	s_branch .LBB1_216
	.p2align	6
.LBB1_213:                              ;   in Loop: Header=BB1_145 Depth=1
	s_branch .LBB1_216
.LBB1_214:                              ;   Parent Loop BB1_145 Depth=1
                                        ; =>  This Inner Loop Header: Depth=2
	v_mov_b32_e32 v8, 1
	s_and_saveexec_b32 s1, s0
	s_cbranch_execz .LBB1_211
; %bb.215:                              ;   in Loop: Header=BB1_214 Depth=2
	global_load_b32 v8, v[2:3], off offset:20 glc
	s_waitcnt vmcnt(0)
	buffer_gl1_inv
	buffer_gl0_inv
	v_and_b32_e32 v8, 1, v8
	s_branch .LBB1_211
.LBB1_216:                              ;   in Loop: Header=BB1_145 Depth=1
	global_load_b128 v[6:9], v[6:7], off
	s_and_saveexec_b32 s1, s0
	s_cbranch_execz .LBB1_144
; %bb.217:                              ;   in Loop: Header=BB1_145 Depth=1
	s_clause 0x2
	global_load_b64 v[2:3], v10, s[2:3] offset:40
	global_load_b64 v[8:9], v10, s[2:3] offset:24 glc
	global_load_b64 v[15:16], v10, s[2:3]
	s_waitcnt vmcnt(2)
	v_add_co_u32 v17, vcc_lo, v2, 1
	v_add_co_ci_u32_e32 v18, vcc_lo, 0, v3, vcc_lo
	s_delay_alu instid0(VALU_DEP_2) | instskip(NEXT) | instid1(VALU_DEP_2)
	v_add_co_u32 v13, vcc_lo, v17, s12
	v_add_co_ci_u32_e32 v14, vcc_lo, s13, v18, vcc_lo
	s_delay_alu instid0(VALU_DEP_1) | instskip(SKIP_1) | instid1(VALU_DEP_1)
	v_cmp_eq_u64_e32 vcc_lo, 0, v[13:14]
	v_dual_cndmask_b32 v14, v14, v18 :: v_dual_cndmask_b32 v13, v13, v17
	v_and_b32_e32 v3, v14, v3
	s_delay_alu instid0(VALU_DEP_2) | instskip(NEXT) | instid1(VALU_DEP_2)
	v_and_b32_e32 v2, v13, v2
	v_mul_lo_u32 v3, v3, 24
	s_delay_alu instid0(VALU_DEP_2) | instskip(SKIP_1) | instid1(VALU_DEP_2)
	v_mul_hi_u32 v17, v2, 24
	v_mul_lo_u32 v2, v2, 24
	v_add_nc_u32_e32 v3, v17, v3
	s_waitcnt vmcnt(0)
	s_delay_alu instid0(VALU_DEP_2) | instskip(SKIP_1) | instid1(VALU_DEP_3)
	v_add_co_u32 v2, vcc_lo, v15, v2
	v_mov_b32_e32 v15, v8
	v_add_co_ci_u32_e32 v3, vcc_lo, v16, v3, vcc_lo
	v_mov_b32_e32 v16, v9
	global_store_b64 v[2:3], v[8:9], off
	s_waitcnt_vscnt null, 0x0
	global_atomic_cmpswap_b64 v[15:16], v10, v[13:16], s[2:3] offset:24 glc
	s_waitcnt vmcnt(0)
	v_cmp_ne_u64_e32 vcc_lo, v[15:16], v[8:9]
	s_and_b32 exec_lo, exec_lo, vcc_lo
	s_cbranch_execz .LBB1_144
; %bb.218:                              ;   in Loop: Header=BB1_145 Depth=1
	s_mov_b32 s0, 0
.LBB1_219:                              ;   Parent Loop BB1_145 Depth=1
                                        ; =>  This Inner Loop Header: Depth=2
	s_sleep 1
	global_store_b64 v[2:3], v[15:16], off
	s_waitcnt_vscnt null, 0x0
	global_atomic_cmpswap_b64 v[8:9], v10, v[13:16], s[2:3] offset:24 glc
	s_waitcnt vmcnt(0)
	v_cmp_eq_u64_e32 vcc_lo, v[8:9], v[15:16]
	v_dual_mov_b32 v16, v9 :: v_dual_mov_b32 v15, v8
	s_or_b32 s0, vcc_lo, s0
	s_delay_alu instid0(SALU_CYCLE_1)
	s_and_not1_b32 exec_lo, exec_lo, s0
	s_cbranch_execnz .LBB1_219
	s_branch .LBB1_144
.LBB1_220:
                                        ; implicit-def: $vgpr6_vgpr7
	s_cbranch_execnz .LBB1_222
	s_branch .LBB1_249
.LBB1_221:
	s_branch .LBB1_249
.LBB1_222:
	v_readfirstlane_b32 s0, v35
	v_mov_b32_e32 v10, 0
	v_mov_b32_e32 v11, 0
	s_delay_alu instid0(VALU_DEP_3) | instskip(NEXT) | instid1(VALU_DEP_1)
	v_cmp_eq_u32_e64 s0, s0, v35
	s_and_saveexec_b32 s1, s0
	s_cbranch_execz .LBB1_228
; %bb.223:
	s_waitcnt vmcnt(0)
	v_mov_b32_e32 v2, 0
	s_mov_b32 s4, exec_lo
	global_load_b64 v[8:9], v2, s[2:3] offset:24 glc
	s_waitcnt vmcnt(0)
	buffer_gl1_inv
	buffer_gl0_inv
	s_clause 0x1
	global_load_b64 v[6:7], v2, s[2:3] offset:40
	global_load_b64 v[10:11], v2, s[2:3]
	s_waitcnt vmcnt(1)
	v_and_b32_e32 v3, v7, v9
	v_and_b32_e32 v6, v6, v8
	s_delay_alu instid0(VALU_DEP_2) | instskip(NEXT) | instid1(VALU_DEP_2)
	v_mul_lo_u32 v3, v3, 24
	v_mul_hi_u32 v7, v6, 24
	v_mul_lo_u32 v6, v6, 24
	s_delay_alu instid0(VALU_DEP_2) | instskip(SKIP_1) | instid1(VALU_DEP_2)
	v_add_nc_u32_e32 v3, v7, v3
	s_waitcnt vmcnt(0)
	v_add_co_u32 v6, vcc_lo, v10, v6
	s_delay_alu instid0(VALU_DEP_2)
	v_add_co_ci_u32_e32 v7, vcc_lo, v11, v3, vcc_lo
	global_load_b64 v[6:7], v[6:7], off glc
	s_waitcnt vmcnt(0)
	global_atomic_cmpswap_b64 v[10:11], v2, v[6:9], s[2:3] offset:24 glc
	s_waitcnt vmcnt(0)
	buffer_gl1_inv
	buffer_gl0_inv
	v_cmpx_ne_u64_e64 v[10:11], v[8:9]
	s_cbranch_execz .LBB1_227
; %bb.224:
	s_mov_b32 s5, 0
	.p2align	6
.LBB1_225:                              ; =>This Inner Loop Header: Depth=1
	s_sleep 1
	s_clause 0x1
	global_load_b64 v[6:7], v2, s[2:3] offset:40
	global_load_b64 v[12:13], v2, s[2:3]
	v_dual_mov_b32 v8, v10 :: v_dual_mov_b32 v9, v11
	s_waitcnt vmcnt(1)
	s_delay_alu instid0(VALU_DEP_1) | instskip(SKIP_1) | instid1(VALU_DEP_1)
	v_and_b32_e32 v3, v6, v8
	s_waitcnt vmcnt(0)
	v_mad_u64_u32 v[10:11], null, v3, 24, v[12:13]
	v_and_b32_e32 v12, v7, v9
	s_delay_alu instid0(VALU_DEP_2) | instskip(NEXT) | instid1(VALU_DEP_1)
	v_mov_b32_e32 v3, v11
	v_mad_u64_u32 v[6:7], null, v12, 24, v[3:4]
	s_delay_alu instid0(VALU_DEP_1)
	v_mov_b32_e32 v11, v6
	global_load_b64 v[6:7], v[10:11], off glc
	s_waitcnt vmcnt(0)
	global_atomic_cmpswap_b64 v[10:11], v2, v[6:9], s[2:3] offset:24 glc
	s_waitcnt vmcnt(0)
	buffer_gl1_inv
	buffer_gl0_inv
	v_cmp_eq_u64_e32 vcc_lo, v[10:11], v[8:9]
	s_or_b32 s5, vcc_lo, s5
	s_delay_alu instid0(SALU_CYCLE_1)
	s_and_not1_b32 exec_lo, exec_lo, s5
	s_cbranch_execnz .LBB1_225
; %bb.226:
	s_or_b32 exec_lo, exec_lo, s5
.LBB1_227:
	s_delay_alu instid0(SALU_CYCLE_1)
	s_or_b32 exec_lo, exec_lo, s4
.LBB1_228:
	s_delay_alu instid0(SALU_CYCLE_1)
	s_or_b32 exec_lo, exec_lo, s1
	s_waitcnt vmcnt(0)
	v_mov_b32_e32 v2, 0
	v_readfirstlane_b32 s4, v10
	v_readfirstlane_b32 s5, v11
	s_mov_b32 s1, exec_lo
	s_clause 0x1
	global_load_b64 v[12:13], v2, s[2:3] offset:40
	global_load_b128 v[6:9], v2, s[2:3]
	s_waitcnt vmcnt(1)
	v_readfirstlane_b32 s6, v12
	v_readfirstlane_b32 s7, v13
	s_delay_alu instid0(VALU_DEP_1) | instskip(NEXT) | instid1(SALU_CYCLE_1)
	s_and_b64 s[6:7], s[4:5], s[6:7]
	s_mul_i32 s10, s7, 24
	s_mul_hi_u32 s11, s6, 24
	s_mul_i32 s12, s6, 24
	s_add_i32 s11, s11, s10
	s_waitcnt vmcnt(0)
	v_add_co_u32 v10, vcc_lo, v6, s12
	v_add_co_ci_u32_e32 v11, vcc_lo, s11, v7, vcc_lo
	s_and_saveexec_b32 s10, s0
	s_cbranch_execz .LBB1_230
; %bb.229:
	v_dual_mov_b32 v12, s1 :: v_dual_mov_b32 v13, v2
	v_dual_mov_b32 v14, 2 :: v_dual_mov_b32 v15, 1
	global_store_b128 v[10:11], v[12:15], off offset:8
.LBB1_230:
	s_or_b32 exec_lo, exec_lo, s10
	s_lshl_b64 s[6:7], s[6:7], 12
	s_mov_b32 s12, 0
	v_add_co_u32 v8, vcc_lo, v8, s6
	v_add_co_ci_u32_e32 v9, vcc_lo, s7, v9, vcc_lo
	s_mov_b32 s13, s12
	s_delay_alu instid0(VALU_DEP_2)
	v_readfirstlane_b32 s6, v8
	v_add_co_u32 v8, vcc_lo, v8, v34
	s_mov_b32 s14, s12
	s_mov_b32 s15, s12
	v_and_or_b32 v0, 0xffffff1f, v0, 32
	v_dual_mov_b32 v3, v2 :: v_dual_mov_b32 v12, s12
	v_readfirstlane_b32 s7, v9
	v_add_co_ci_u32_e32 v9, vcc_lo, 0, v9, vcc_lo
	v_dual_mov_b32 v13, s13 :: v_dual_mov_b32 v14, s14
	v_mov_b32_e32 v15, s15
	s_clause 0x3
	global_store_b128 v34, v[0:3], s[6:7]
	global_store_b128 v34, v[12:15], s[6:7] offset:16
	global_store_b128 v34, v[12:15], s[6:7] offset:32
	;; [unrolled: 1-line block ×3, first 2 shown]
	s_and_saveexec_b32 s1, s0
	s_cbranch_execz .LBB1_238
; %bb.231:
	v_dual_mov_b32 v12, 0 :: v_dual_mov_b32 v13, s4
	v_mov_b32_e32 v14, s5
	s_clause 0x1
	global_load_b64 v[15:16], v12, s[2:3] offset:32 glc
	global_load_b64 v[0:1], v12, s[2:3] offset:40
	s_waitcnt vmcnt(0)
	v_readfirstlane_b32 s6, v0
	v_readfirstlane_b32 s7, v1
	s_delay_alu instid0(VALU_DEP_1) | instskip(NEXT) | instid1(SALU_CYCLE_1)
	s_and_b64 s[6:7], s[6:7], s[4:5]
	s_mul_i32 s7, s7, 24
	s_mul_hi_u32 s10, s6, 24
	s_mul_i32 s6, s6, 24
	s_add_i32 s10, s10, s7
	v_add_co_u32 v6, vcc_lo, v6, s6
	v_add_co_ci_u32_e32 v7, vcc_lo, s10, v7, vcc_lo
	s_mov_b32 s6, exec_lo
	global_store_b64 v[6:7], v[15:16], off
	s_waitcnt_vscnt null, 0x0
	global_atomic_cmpswap_b64 v[2:3], v12, v[13:16], s[2:3] offset:32 glc
	s_waitcnt vmcnt(0)
	v_cmpx_ne_u64_e64 v[2:3], v[15:16]
	s_cbranch_execz .LBB1_234
; %bb.232:
	s_mov_b32 s7, 0
.LBB1_233:                              ; =>This Inner Loop Header: Depth=1
	v_dual_mov_b32 v0, s4 :: v_dual_mov_b32 v1, s5
	s_sleep 1
	global_store_b64 v[6:7], v[2:3], off
	s_waitcnt_vscnt null, 0x0
	global_atomic_cmpswap_b64 v[0:1], v12, v[0:3], s[2:3] offset:32 glc
	s_waitcnt vmcnt(0)
	v_cmp_eq_u64_e32 vcc_lo, v[0:1], v[2:3]
	v_dual_mov_b32 v3, v1 :: v_dual_mov_b32 v2, v0
	s_or_b32 s7, vcc_lo, s7
	s_delay_alu instid0(SALU_CYCLE_1)
	s_and_not1_b32 exec_lo, exec_lo, s7
	s_cbranch_execnz .LBB1_233
.LBB1_234:
	s_or_b32 exec_lo, exec_lo, s6
	v_mov_b32_e32 v3, 0
	s_mov_b32 s7, exec_lo
	s_mov_b32 s6, exec_lo
	v_mbcnt_lo_u32_b32 v2, s7, 0
	global_load_b64 v[0:1], v3, s[2:3] offset:16
	v_cmpx_eq_u32_e32 0, v2
	s_cbranch_execz .LBB1_236
; %bb.235:
	s_bcnt1_i32_b32 s7, s7
	s_delay_alu instid0(SALU_CYCLE_1)
	v_mov_b32_e32 v2, s7
	s_waitcnt vmcnt(0)
	global_atomic_add_u64 v[0:1], v[2:3], off offset:8
.LBB1_236:
	s_or_b32 exec_lo, exec_lo, s6
	s_waitcnt vmcnt(0)
	global_load_b64 v[2:3], v[0:1], off offset:16
	s_waitcnt vmcnt(0)
	v_cmp_eq_u64_e32 vcc_lo, 0, v[2:3]
	s_cbranch_vccnz .LBB1_238
; %bb.237:
	global_load_b32 v0, v[0:1], off offset:24
	s_waitcnt vmcnt(0)
	v_dual_mov_b32 v1, 0 :: v_dual_and_b32 v6, 0xffffff, v0
	s_waitcnt_vscnt null, 0x0
	global_store_b64 v[2:3], v[0:1], off
	v_readfirstlane_b32 m0, v6
	s_sendmsg sendmsg(MSG_INTERRUPT)
.LBB1_238:
	s_or_b32 exec_lo, exec_lo, s1
	s_branch .LBB1_242
	.p2align	6
.LBB1_239:                              ;   in Loop: Header=BB1_242 Depth=1
	s_or_b32 exec_lo, exec_lo, s1
	s_delay_alu instid0(VALU_DEP_1) | instskip(NEXT) | instid1(VALU_DEP_1)
	v_readfirstlane_b32 s1, v0
	s_cmp_eq_u32 s1, 0
	s_cbranch_scc1 .LBB1_241
; %bb.240:                              ;   in Loop: Header=BB1_242 Depth=1
	s_sleep 1
	s_cbranch_execnz .LBB1_242
	s_branch .LBB1_244
	.p2align	6
.LBB1_241:
	s_branch .LBB1_244
.LBB1_242:                              ; =>This Inner Loop Header: Depth=1
	v_mov_b32_e32 v0, 1
	s_and_saveexec_b32 s1, s0
	s_cbranch_execz .LBB1_239
; %bb.243:                              ;   in Loop: Header=BB1_242 Depth=1
	global_load_b32 v0, v[10:11], off offset:20 glc
	s_waitcnt vmcnt(0)
	buffer_gl1_inv
	buffer_gl0_inv
	v_and_b32_e32 v0, 1, v0
	s_branch .LBB1_239
.LBB1_244:
	global_load_b64 v[6:7], v[8:9], off
	s_and_saveexec_b32 s1, s0
	s_cbranch_execz .LBB1_248
; %bb.245:
	v_mov_b32_e32 v10, 0
	s_clause 0x2
	global_load_b64 v[2:3], v10, s[2:3] offset:40
	global_load_b64 v[11:12], v10, s[2:3] offset:24 glc
	global_load_b64 v[8:9], v10, s[2:3]
	s_waitcnt vmcnt(2)
	v_add_co_u32 v13, vcc_lo, v2, 1
	v_add_co_ci_u32_e32 v14, vcc_lo, 0, v3, vcc_lo
	s_delay_alu instid0(VALU_DEP_2) | instskip(NEXT) | instid1(VALU_DEP_2)
	v_add_co_u32 v0, vcc_lo, v13, s4
	v_add_co_ci_u32_e32 v1, vcc_lo, s5, v14, vcc_lo
	s_delay_alu instid0(VALU_DEP_1) | instskip(SKIP_1) | instid1(VALU_DEP_1)
	v_cmp_eq_u64_e32 vcc_lo, 0, v[0:1]
	v_dual_cndmask_b32 v1, v1, v14 :: v_dual_cndmask_b32 v0, v0, v13
	v_and_b32_e32 v3, v1, v3
	s_delay_alu instid0(VALU_DEP_2) | instskip(NEXT) | instid1(VALU_DEP_2)
	v_and_b32_e32 v2, v0, v2
	v_mul_lo_u32 v3, v3, 24
	s_delay_alu instid0(VALU_DEP_2) | instskip(SKIP_1) | instid1(VALU_DEP_2)
	v_mul_hi_u32 v13, v2, 24
	v_mul_lo_u32 v2, v2, 24
	v_add_nc_u32_e32 v3, v13, v3
	s_waitcnt vmcnt(0)
	s_delay_alu instid0(VALU_DEP_2) | instskip(SKIP_1) | instid1(VALU_DEP_3)
	v_add_co_u32 v8, vcc_lo, v8, v2
	v_mov_b32_e32 v2, v11
	v_add_co_ci_u32_e32 v9, vcc_lo, v9, v3, vcc_lo
	v_mov_b32_e32 v3, v12
	global_store_b64 v[8:9], v[11:12], off
	s_waitcnt_vscnt null, 0x0
	global_atomic_cmpswap_b64 v[2:3], v10, v[0:3], s[2:3] offset:24 glc
	s_waitcnt vmcnt(0)
	v_cmp_ne_u64_e32 vcc_lo, v[2:3], v[11:12]
	s_and_b32 exec_lo, exec_lo, vcc_lo
	s_cbranch_execz .LBB1_248
; %bb.246:
	s_mov_b32 s0, 0
.LBB1_247:                              ; =>This Inner Loop Header: Depth=1
	s_sleep 1
	global_store_b64 v[8:9], v[2:3], off
	s_waitcnt_vscnt null, 0x0
	global_atomic_cmpswap_b64 v[11:12], v10, v[0:3], s[2:3] offset:24 glc
	s_waitcnt vmcnt(0)
	v_cmp_eq_u64_e32 vcc_lo, v[11:12], v[2:3]
	v_dual_mov_b32 v2, v11 :: v_dual_mov_b32 v3, v12
	s_or_b32 s0, vcc_lo, s0
	s_delay_alu instid0(SALU_CYCLE_1)
	s_and_not1_b32 exec_lo, exec_lo, s0
	s_cbranch_execnz .LBB1_247
.LBB1_248:
	s_or_b32 exec_lo, exec_lo, s1
.LBB1_249:
	v_readfirstlane_b32 s0, v35
	v_mov_b32_e32 v10, 0
	v_mov_b32_e32 v11, 0
	s_delay_alu instid0(VALU_DEP_3) | instskip(NEXT) | instid1(VALU_DEP_1)
	v_cmp_eq_u32_e64 s0, s0, v35
	s_and_saveexec_b32 s1, s0
	s_cbranch_execz .LBB1_255
; %bb.250:
	s_waitcnt vmcnt(0)
	v_mov_b32_e32 v0, 0
	s_mov_b32 s4, exec_lo
	global_load_b64 v[12:13], v0, s[2:3] offset:24 glc
	s_waitcnt vmcnt(0)
	buffer_gl1_inv
	buffer_gl0_inv
	s_clause 0x1
	global_load_b64 v[1:2], v0, s[2:3] offset:40
	global_load_b64 v[8:9], v0, s[2:3]
	s_waitcnt vmcnt(1)
	v_and_b32_e32 v1, v1, v12
	v_and_b32_e32 v2, v2, v13
	s_delay_alu instid0(VALU_DEP_2) | instskip(NEXT) | instid1(VALU_DEP_2)
	v_mul_hi_u32 v3, v1, 24
	v_mul_lo_u32 v2, v2, 24
	v_mul_lo_u32 v1, v1, 24
	s_delay_alu instid0(VALU_DEP_2) | instskip(SKIP_1) | instid1(VALU_DEP_2)
	v_add_nc_u32_e32 v2, v3, v2
	s_waitcnt vmcnt(0)
	v_add_co_u32 v1, vcc_lo, v8, v1
	s_delay_alu instid0(VALU_DEP_2)
	v_add_co_ci_u32_e32 v2, vcc_lo, v9, v2, vcc_lo
	global_load_b64 v[10:11], v[1:2], off glc
	s_waitcnt vmcnt(0)
	global_atomic_cmpswap_b64 v[10:11], v0, v[10:13], s[2:3] offset:24 glc
	s_waitcnt vmcnt(0)
	buffer_gl1_inv
	buffer_gl0_inv
	v_cmpx_ne_u64_e64 v[10:11], v[12:13]
	s_cbranch_execz .LBB1_254
; %bb.251:
	s_mov_b32 s5, 0
	.p2align	6
.LBB1_252:                              ; =>This Inner Loop Header: Depth=1
	s_sleep 1
	s_clause 0x1
	global_load_b64 v[1:2], v0, s[2:3] offset:40
	global_load_b64 v[8:9], v0, s[2:3]
	v_dual_mov_b32 v13, v11 :: v_dual_mov_b32 v12, v10
	s_waitcnt vmcnt(1)
	s_delay_alu instid0(VALU_DEP_1) | instskip(SKIP_1) | instid1(VALU_DEP_1)
	v_and_b32_e32 v1, v1, v12
	s_waitcnt vmcnt(0)
	v_mad_u64_u32 v[10:11], null, v1, 24, v[8:9]
	s_delay_alu instid0(VALU_DEP_1) | instskip(NEXT) | instid1(VALU_DEP_1)
	v_dual_mov_b32 v1, v11 :: v_dual_and_b32 v8, v2, v13
	v_mad_u64_u32 v[2:3], null, v8, 24, v[1:2]
	s_delay_alu instid0(VALU_DEP_1)
	v_mov_b32_e32 v11, v2
	global_load_b64 v[10:11], v[10:11], off glc
	s_waitcnt vmcnt(0)
	global_atomic_cmpswap_b64 v[10:11], v0, v[10:13], s[2:3] offset:24 glc
	s_waitcnt vmcnt(0)
	buffer_gl1_inv
	buffer_gl0_inv
	v_cmp_eq_u64_e32 vcc_lo, v[10:11], v[12:13]
	s_or_b32 s5, vcc_lo, s5
	s_delay_alu instid0(SALU_CYCLE_1)
	s_and_not1_b32 exec_lo, exec_lo, s5
	s_cbranch_execnz .LBB1_252
; %bb.253:
	s_or_b32 exec_lo, exec_lo, s5
.LBB1_254:
	s_delay_alu instid0(SALU_CYCLE_1)
	s_or_b32 exec_lo, exec_lo, s4
.LBB1_255:
	s_delay_alu instid0(SALU_CYCLE_1)
	s_or_b32 exec_lo, exec_lo, s1
	s_waitcnt vmcnt(0)
	v_mov_b32_e32 v9, 0
	v_readfirstlane_b32 s4, v10
	v_readfirstlane_b32 s5, v11
	s_mov_b32 s1, exec_lo
	s_clause 0x1
	global_load_b64 v[12:13], v9, s[2:3] offset:40
	global_load_b128 v[0:3], v9, s[2:3]
	s_waitcnt vmcnt(1)
	v_readfirstlane_b32 s6, v12
	v_readfirstlane_b32 s7, v13
	s_delay_alu instid0(VALU_DEP_1) | instskip(NEXT) | instid1(SALU_CYCLE_1)
	s_and_b64 s[6:7], s[4:5], s[6:7]
	s_mul_i32 s10, s7, 24
	s_mul_hi_u32 s11, s6, 24
	s_mul_i32 s12, s6, 24
	s_add_i32 s11, s11, s10
	s_waitcnt vmcnt(0)
	v_add_co_u32 v10, vcc_lo, v0, s12
	v_add_co_ci_u32_e32 v11, vcc_lo, s11, v1, vcc_lo
	s_and_saveexec_b32 s10, s0
	s_cbranch_execz .LBB1_257
; %bb.256:
	v_dual_mov_b32 v8, s1 :: v_dual_mov_b32 v15, 1
	v_dual_mov_b32 v14, 2 :: v_dual_mov_b32 v13, v9
	s_delay_alu instid0(VALU_DEP_2)
	v_mov_b32_e32 v12, v8
	global_store_b128 v[10:11], v[12:15], off offset:8
.LBB1_257:
	s_or_b32 exec_lo, exec_lo, s10
	s_lshl_b64 s[6:7], s[6:7], 12
	s_mov_b32 s12, 0
	v_add_co_u32 v2, vcc_lo, v2, s6
	v_add_co_ci_u32_e32 v3, vcc_lo, s7, v3, vcc_lo
	s_mov_b32 s15, s12
	s_delay_alu instid0(VALU_DEP_2)
	v_add_co_u32 v12, vcc_lo, v2, v34
	s_mov_b32 s13, s12
	s_mov_b32 s14, s12
	v_and_or_b32 v6, 0xffffff1f, v6, 32
	v_dual_mov_b32 v8, 0x331 :: v_dual_mov_b32 v17, s15
	v_readfirstlane_b32 s6, v2
	v_readfirstlane_b32 s7, v3
	v_add_co_ci_u32_e32 v13, vcc_lo, 0, v3, vcc_lo
	v_dual_mov_b32 v16, s14 :: v_dual_mov_b32 v15, s13
	v_mov_b32_e32 v14, s12
	s_clause 0x3
	global_store_b128 v34, v[6:9], s[6:7]
	global_store_b128 v34, v[14:17], s[6:7] offset:16
	global_store_b128 v34, v[14:17], s[6:7] offset:32
	;; [unrolled: 1-line block ×3, first 2 shown]
	s_and_saveexec_b32 s1, s0
	s_cbranch_execz .LBB1_265
; %bb.258:
	v_dual_mov_b32 v8, 0 :: v_dual_mov_b32 v15, s5
	v_mov_b32_e32 v14, s4
	s_clause 0x1
	global_load_b64 v[16:17], v8, s[2:3] offset:32 glc
	global_load_b64 v[2:3], v8, s[2:3] offset:40
	s_waitcnt vmcnt(0)
	v_readfirstlane_b32 s6, v2
	v_readfirstlane_b32 s7, v3
	s_delay_alu instid0(VALU_DEP_1) | instskip(NEXT) | instid1(SALU_CYCLE_1)
	s_and_b64 s[6:7], s[6:7], s[4:5]
	s_mul_i32 s7, s7, 24
	s_mul_hi_u32 s10, s6, 24
	s_mul_i32 s6, s6, 24
	s_add_i32 s10, s10, s7
	v_add_co_u32 v6, vcc_lo, v0, s6
	v_add_co_ci_u32_e32 v7, vcc_lo, s10, v1, vcc_lo
	s_mov_b32 s6, exec_lo
	global_store_b64 v[6:7], v[16:17], off
	s_waitcnt_vscnt null, 0x0
	global_atomic_cmpswap_b64 v[2:3], v8, v[14:17], s[2:3] offset:32 glc
	s_waitcnt vmcnt(0)
	v_cmpx_ne_u64_e64 v[2:3], v[16:17]
	s_cbranch_execz .LBB1_261
; %bb.259:
	s_mov_b32 s7, 0
.LBB1_260:                              ; =>This Inner Loop Header: Depth=1
	v_dual_mov_b32 v0, s4 :: v_dual_mov_b32 v1, s5
	s_sleep 1
	global_store_b64 v[6:7], v[2:3], off
	s_waitcnt_vscnt null, 0x0
	global_atomic_cmpswap_b64 v[0:1], v8, v[0:3], s[2:3] offset:32 glc
	s_waitcnt vmcnt(0)
	v_cmp_eq_u64_e32 vcc_lo, v[0:1], v[2:3]
	v_dual_mov_b32 v3, v1 :: v_dual_mov_b32 v2, v0
	s_or_b32 s7, vcc_lo, s7
	s_delay_alu instid0(SALU_CYCLE_1)
	s_and_not1_b32 exec_lo, exec_lo, s7
	s_cbranch_execnz .LBB1_260
.LBB1_261:
	s_or_b32 exec_lo, exec_lo, s6
	v_mov_b32_e32 v3, 0
	s_mov_b32 s7, exec_lo
	s_mov_b32 s6, exec_lo
	v_mbcnt_lo_u32_b32 v2, s7, 0
	global_load_b64 v[0:1], v3, s[2:3] offset:16
	v_cmpx_eq_u32_e32 0, v2
	s_cbranch_execz .LBB1_263
; %bb.262:
	s_bcnt1_i32_b32 s7, s7
	s_delay_alu instid0(SALU_CYCLE_1)
	v_mov_b32_e32 v2, s7
	s_waitcnt vmcnt(0)
	global_atomic_add_u64 v[0:1], v[2:3], off offset:8
.LBB1_263:
	s_or_b32 exec_lo, exec_lo, s6
	s_waitcnt vmcnt(0)
	global_load_b64 v[2:3], v[0:1], off offset:16
	s_waitcnt vmcnt(0)
	v_cmp_eq_u64_e32 vcc_lo, 0, v[2:3]
	s_cbranch_vccnz .LBB1_265
; %bb.264:
	global_load_b32 v0, v[0:1], off offset:24
	s_waitcnt vmcnt(0)
	v_dual_mov_b32 v1, 0 :: v_dual_and_b32 v6, 0xffffff, v0
	s_waitcnt_vscnt null, 0x0
	global_store_b64 v[2:3], v[0:1], off
	v_readfirstlane_b32 m0, v6
	s_sendmsg sendmsg(MSG_INTERRUPT)
.LBB1_265:
	s_or_b32 exec_lo, exec_lo, s1
	s_branch .LBB1_269
	.p2align	6
.LBB1_266:                              ;   in Loop: Header=BB1_269 Depth=1
	s_or_b32 exec_lo, exec_lo, s1
	s_delay_alu instid0(VALU_DEP_1) | instskip(NEXT) | instid1(VALU_DEP_1)
	v_readfirstlane_b32 s1, v0
	s_cmp_eq_u32 s1, 0
	s_cbranch_scc1 .LBB1_268
; %bb.267:                              ;   in Loop: Header=BB1_269 Depth=1
	s_sleep 1
	s_cbranch_execnz .LBB1_269
	s_branch .LBB1_271
	.p2align	6
.LBB1_268:
	s_branch .LBB1_271
.LBB1_269:                              ; =>This Inner Loop Header: Depth=1
	v_mov_b32_e32 v0, 1
	s_and_saveexec_b32 s1, s0
	s_cbranch_execz .LBB1_266
; %bb.270:                              ;   in Loop: Header=BB1_269 Depth=1
	global_load_b32 v0, v[10:11], off offset:20 glc
	s_waitcnt vmcnt(0)
	buffer_gl1_inv
	buffer_gl0_inv
	v_and_b32_e32 v0, 1, v0
	s_branch .LBB1_266
.LBB1_271:
	global_load_b64 v[0:1], v[12:13], off
	s_and_saveexec_b32 s1, s0
	s_cbranch_execz .LBB1_275
; %bb.272:
	v_mov_b32_e32 v10, 0
	s_clause 0x2
	global_load_b64 v[2:3], v10, s[2:3] offset:40
	global_load_b64 v[11:12], v10, s[2:3] offset:24 glc
	global_load_b64 v[8:9], v10, s[2:3]
	s_waitcnt vmcnt(2)
	v_add_co_u32 v13, vcc_lo, v2, 1
	v_add_co_ci_u32_e32 v14, vcc_lo, 0, v3, vcc_lo
	s_delay_alu instid0(VALU_DEP_2) | instskip(NEXT) | instid1(VALU_DEP_2)
	v_add_co_u32 v6, vcc_lo, v13, s4
	v_add_co_ci_u32_e32 v7, vcc_lo, s5, v14, vcc_lo
	s_delay_alu instid0(VALU_DEP_1) | instskip(SKIP_1) | instid1(VALU_DEP_1)
	v_cmp_eq_u64_e32 vcc_lo, 0, v[6:7]
	v_dual_cndmask_b32 v7, v7, v14 :: v_dual_cndmask_b32 v6, v6, v13
	v_and_b32_e32 v3, v7, v3
	s_delay_alu instid0(VALU_DEP_2) | instskip(NEXT) | instid1(VALU_DEP_2)
	v_and_b32_e32 v2, v6, v2
	v_mul_lo_u32 v3, v3, 24
	s_delay_alu instid0(VALU_DEP_2) | instskip(SKIP_1) | instid1(VALU_DEP_2)
	v_mul_hi_u32 v13, v2, 24
	v_mul_lo_u32 v2, v2, 24
	v_add_nc_u32_e32 v3, v13, v3
	s_waitcnt vmcnt(0)
	s_delay_alu instid0(VALU_DEP_2) | instskip(SKIP_1) | instid1(VALU_DEP_3)
	v_add_co_u32 v2, vcc_lo, v8, v2
	v_mov_b32_e32 v8, v11
	v_add_co_ci_u32_e32 v3, vcc_lo, v9, v3, vcc_lo
	v_mov_b32_e32 v9, v12
	global_store_b64 v[2:3], v[11:12], off
	s_waitcnt_vscnt null, 0x0
	global_atomic_cmpswap_b64 v[8:9], v10, v[6:9], s[2:3] offset:24 glc
	s_waitcnt vmcnt(0)
	v_cmp_ne_u64_e32 vcc_lo, v[8:9], v[11:12]
	s_and_b32 exec_lo, exec_lo, vcc_lo
	s_cbranch_execz .LBB1_275
; %bb.273:
	s_mov_b32 s0, 0
.LBB1_274:                              ; =>This Inner Loop Header: Depth=1
	s_sleep 1
	global_store_b64 v[2:3], v[8:9], off
	s_waitcnt_vscnt null, 0x0
	global_atomic_cmpswap_b64 v[11:12], v10, v[6:9], s[2:3] offset:24 glc
	s_waitcnt vmcnt(0)
	v_cmp_eq_u64_e32 vcc_lo, v[11:12], v[8:9]
	v_dual_mov_b32 v8, v11 :: v_dual_mov_b32 v9, v12
	s_or_b32 s0, vcc_lo, s0
	s_delay_alu instid0(SALU_CYCLE_1)
	s_and_not1_b32 exec_lo, exec_lo, s0
	s_cbranch_execnz .LBB1_274
.LBB1_275:
	s_or_b32 exec_lo, exec_lo, s1
	v_dual_mov_b32 v7, v5 :: v_dual_mov_b32 v6, v4
	s_mov_b32 s0, 0
.LBB1_276:                              ; =>This Inner Loop Header: Depth=1
	flat_load_u8 v8, v[6:7]
	v_add_co_u32 v2, vcc_lo, v6, 1
	v_add_co_ci_u32_e32 v3, vcc_lo, 0, v7, vcc_lo
	s_delay_alu instid0(VALU_DEP_1) | instskip(SKIP_3) | instid1(SALU_CYCLE_1)
	v_dual_mov_b32 v7, v3 :: v_dual_mov_b32 v6, v2
	s_waitcnt vmcnt(0) lgkmcnt(0)
	v_cmp_eq_u16_e32 vcc_lo, 0, v8
	s_or_b32 s0, vcc_lo, s0
	s_and_not1_b32 exec_lo, exec_lo, s0
	s_cbranch_execnz .LBB1_276
; %bb.277:
	s_or_b32 exec_lo, exec_lo, s0
	s_delay_alu instid0(SALU_CYCLE_1)
	s_mov_b32 s0, exec_lo
	v_cmpx_ne_u64_e32 0, v[4:5]
	s_xor_b32 s10, exec_lo, s0
	s_cbranch_execz .LBB1_363
; %bb.278:
	v_sub_nc_u32_e32 v26, v2, v4
	v_dual_mov_b32 v7, 0 :: v_dual_and_b32 v32, 2, v0
	v_dual_mov_b32 v9, 1 :: v_dual_and_b32 v0, -3, v0
	v_mov_b32_e32 v8, 2
	s_delay_alu instid0(VALU_DEP_4)
	v_ashrrev_i32_e32 v27, 31, v26
	s_mov_b32 s12, 0
	s_mov_b32 s11, 0
	s_branch .LBB1_280
.LBB1_279:                              ;   in Loop: Header=BB1_280 Depth=1
	s_or_b32 exec_lo, exec_lo, s1
	v_sub_co_u32 v26, vcc_lo, v26, v28
	v_sub_co_ci_u32_e32 v27, vcc_lo, v27, v29, vcc_lo
	v_add_co_u32 v4, s0, v4, v28
	s_delay_alu instid0(VALU_DEP_1) | instskip(NEXT) | instid1(VALU_DEP_3)
	v_add_co_ci_u32_e64 v5, s0, v5, v29, s0
	v_cmp_eq_u64_e32 vcc_lo, 0, v[26:27]
	s_or_b32 s11, vcc_lo, s11
	s_delay_alu instid0(SALU_CYCLE_1)
	s_and_not1_b32 exec_lo, exec_lo, s11
	s_cbranch_execz .LBB1_362
.LBB1_280:                              ; =>This Loop Header: Depth=1
                                        ;     Child Loop BB1_283 Depth 2
                                        ;     Child Loop BB1_291 Depth 2
	;; [unrolled: 1-line block ×11, first 2 shown]
	s_delay_alu instid0(VALU_DEP_1)
	v_cmp_gt_u64_e32 vcc_lo, 56, v[26:27]
	s_mov_b32 s1, exec_lo
                                        ; implicit-def: $vgpr2_vgpr3
                                        ; implicit-def: $sgpr4
	v_dual_cndmask_b32 v29, 0, v27 :: v_dual_cndmask_b32 v28, 56, v26
	v_cmpx_gt_u64_e32 8, v[26:27]
	s_xor_b32 s1, exec_lo, s1
	s_cbranch_execz .LBB1_286
; %bb.281:                              ;   in Loop: Header=BB1_280 Depth=1
	s_waitcnt vmcnt(0)
	v_mov_b32_e32 v2, 0
	v_mov_b32_e32 v3, 0
	s_mov_b64 s[4:5], 0
	s_mov_b32 s6, exec_lo
	v_cmpx_ne_u64_e32 0, v[26:27]
	s_cbranch_execz .LBB1_285
; %bb.282:                              ;   in Loop: Header=BB1_280 Depth=1
	v_lshlrev_b64 v[10:11], 3, v[28:29]
	v_mov_b32_e32 v2, 0
	v_dual_mov_b32 v3, 0 :: v_dual_mov_b32 v12, v5
	v_mov_b32_e32 v11, v4
	s_mov_b32 s7, 0
	.p2align	6
.LBB1_283:                              ;   Parent Loop BB1_280 Depth=1
                                        ; =>  This Inner Loop Header: Depth=2
	flat_load_u8 v6, v[11:12]
	v_mov_b32_e32 v14, s12
	v_add_co_u32 v11, vcc_lo, v11, 1
	v_add_co_ci_u32_e32 v12, vcc_lo, 0, v12, vcc_lo
	s_waitcnt vmcnt(0) lgkmcnt(0)
	v_and_b32_e32 v13, 0xffff, v6
	s_delay_alu instid0(VALU_DEP_1) | instskip(SKIP_3) | instid1(VALU_DEP_2)
	v_lshlrev_b64 v[13:14], s4, v[13:14]
	s_add_u32 s4, s4, 8
	s_addc_u32 s5, s5, 0
	v_cmp_eq_u32_e64 s0, s4, v10
	v_or_b32_e32 v3, v14, v3
	s_delay_alu instid0(VALU_DEP_3) | instskip(NEXT) | instid1(VALU_DEP_3)
	v_or_b32_e32 v2, v13, v2
	s_or_b32 s7, s0, s7
	s_delay_alu instid0(SALU_CYCLE_1)
	s_and_not1_b32 exec_lo, exec_lo, s7
	s_cbranch_execnz .LBB1_283
; %bb.284:                              ;   in Loop: Header=BB1_280 Depth=1
	s_or_b32 exec_lo, exec_lo, s7
.LBB1_285:                              ;   in Loop: Header=BB1_280 Depth=1
	s_delay_alu instid0(SALU_CYCLE_1)
	s_or_b32 exec_lo, exec_lo, s6
	s_mov_b32 s4, 0
.LBB1_286:                              ;   in Loop: Header=BB1_280 Depth=1
	s_or_saveexec_b32 s0, s1
	v_dual_mov_b32 v6, s4 :: v_dual_mov_b32 v23, v5
	v_mov_b32_e32 v22, v4
	s_xor_b32 exec_lo, exec_lo, s0
	s_cbranch_execz .LBB1_288
; %bb.287:                              ;   in Loop: Header=BB1_280 Depth=1
	s_waitcnt vmcnt(0)
	flat_load_b64 v[2:3], v[4:5]
	v_add_co_u32 v22, vcc_lo, v4, 8
	v_add_co_ci_u32_e32 v23, vcc_lo, 0, v5, vcc_lo
	s_waitcnt vmcnt(0) lgkmcnt(0)
	v_and_b32_e32 v6, 0xff, v3
	v_and_b32_e32 v10, 0xff00, v3
	;; [unrolled: 1-line block ×4, first 2 shown]
	v_or3_b32 v2, v2, 0, 0
	s_delay_alu instid0(VALU_DEP_4) | instskip(SKIP_1) | instid1(VALU_DEP_2)
	v_or_b32_e32 v10, v6, v10
	v_add_nc_u32_e32 v6, -8, v28
	v_or3_b32 v3, v10, v11, v3
.LBB1_288:                              ;   in Loop: Header=BB1_280 Depth=1
	s_or_b32 exec_lo, exec_lo, s0
                                        ; implicit-def: $vgpr10_vgpr11
                                        ; implicit-def: $sgpr1
	s_delay_alu instid0(SALU_CYCLE_1) | instskip(NEXT) | instid1(VALU_DEP_2)
	s_mov_b32 s0, exec_lo
	v_cmpx_gt_u32_e32 8, v6
	s_xor_b32 s6, exec_lo, s0
	s_cbranch_execz .LBB1_294
; %bb.289:                              ;   in Loop: Header=BB1_280 Depth=1
	v_mov_b32_e32 v10, 0
	v_mov_b32_e32 v11, 0
	s_mov_b32 s7, exec_lo
	v_cmpx_ne_u32_e32 0, v6
	s_cbranch_execz .LBB1_293
; %bb.290:                              ;   in Loop: Header=BB1_280 Depth=1
	v_mov_b32_e32 v10, 0
	v_mov_b32_e32 v11, 0
	s_mov_b64 s[0:1], 0
	s_mov_b32 s13, 0
	s_mov_b64 s[4:5], 0
	.p2align	6
.LBB1_291:                              ;   Parent Loop BB1_280 Depth=1
                                        ; =>  This Inner Loop Header: Depth=2
	s_delay_alu instid0(SALU_CYCLE_1)
	v_add_co_u32 v12, vcc_lo, v22, s4
	v_add_co_ci_u32_e32 v13, vcc_lo, s5, v23, vcc_lo
	s_add_u32 s4, s4, 1
	s_addc_u32 s5, s5, 0
	v_cmp_eq_u32_e32 vcc_lo, s4, v6
	flat_load_u8 v12, v[12:13]
	s_waitcnt vmcnt(0) lgkmcnt(0)
	v_dual_mov_b32 v13, s12 :: v_dual_and_b32 v12, 0xffff, v12
	s_delay_alu instid0(VALU_DEP_1) | instskip(SKIP_3) | instid1(VALU_DEP_1)
	v_lshlrev_b64 v[12:13], s0, v[12:13]
	s_add_u32 s0, s0, 8
	s_addc_u32 s1, s1, 0
	s_or_b32 s13, vcc_lo, s13
	v_or_b32_e32 v11, v13, v11
	s_delay_alu instid0(VALU_DEP_2)
	v_or_b32_e32 v10, v12, v10
	s_and_not1_b32 exec_lo, exec_lo, s13
	s_cbranch_execnz .LBB1_291
; %bb.292:                              ;   in Loop: Header=BB1_280 Depth=1
	s_or_b32 exec_lo, exec_lo, s13
.LBB1_293:                              ;   in Loop: Header=BB1_280 Depth=1
	s_delay_alu instid0(SALU_CYCLE_1)
	s_or_b32 exec_lo, exec_lo, s7
	s_mov_b32 s1, 0
                                        ; implicit-def: $vgpr6
.LBB1_294:                              ;   in Loop: Header=BB1_280 Depth=1
	s_or_saveexec_b32 s0, s6
	v_mov_b32_e32 v14, s1
	s_xor_b32 exec_lo, exec_lo, s0
	s_cbranch_execz .LBB1_296
; %bb.295:                              ;   in Loop: Header=BB1_280 Depth=1
	flat_load_b64 v[10:11], v[22:23]
	v_add_co_u32 v22, vcc_lo, v22, 8
	v_add_nc_u32_e32 v14, -8, v6
	v_add_co_ci_u32_e32 v23, vcc_lo, 0, v23, vcc_lo
	s_waitcnt vmcnt(0) lgkmcnt(0)
	v_and_b32_e32 v12, 0xff, v11
	v_and_b32_e32 v13, 0xff00, v11
	;; [unrolled: 1-line block ×4, first 2 shown]
	v_or3_b32 v10, v10, 0, 0
	s_delay_alu instid0(VALU_DEP_4) | instskip(NEXT) | instid1(VALU_DEP_1)
	v_or_b32_e32 v12, v12, v13
	v_or3_b32 v11, v12, v15, v11
.LBB1_296:                              ;   in Loop: Header=BB1_280 Depth=1
	s_or_b32 exec_lo, exec_lo, s0
                                        ; implicit-def: $sgpr1
	s_delay_alu instid0(SALU_CYCLE_1)
	s_mov_b32 s0, exec_lo
	v_cmpx_gt_u32_e32 8, v14
	s_xor_b32 s6, exec_lo, s0
	s_cbranch_execz .LBB1_302
; %bb.297:                              ;   in Loop: Header=BB1_280 Depth=1
	v_mov_b32_e32 v12, 0
	v_mov_b32_e32 v13, 0
	s_mov_b32 s7, exec_lo
	v_cmpx_ne_u32_e32 0, v14
	s_cbranch_execz .LBB1_301
; %bb.298:                              ;   in Loop: Header=BB1_280 Depth=1
	v_mov_b32_e32 v12, 0
	v_mov_b32_e32 v13, 0
	s_mov_b64 s[0:1], 0
	s_mov_b32 s13, 0
	s_mov_b64 s[4:5], 0
	.p2align	6
.LBB1_299:                              ;   Parent Loop BB1_280 Depth=1
                                        ; =>  This Inner Loop Header: Depth=2
	s_delay_alu instid0(SALU_CYCLE_1)
	v_add_co_u32 v15, vcc_lo, v22, s4
	v_add_co_ci_u32_e32 v16, vcc_lo, s5, v23, vcc_lo
	s_add_u32 s4, s4, 1
	s_addc_u32 s5, s5, 0
	v_cmp_eq_u32_e32 vcc_lo, s4, v14
	flat_load_u8 v6, v[15:16]
	s_waitcnt vmcnt(0) lgkmcnt(0)
	v_dual_mov_b32 v16, s12 :: v_dual_and_b32 v15, 0xffff, v6
	s_delay_alu instid0(VALU_DEP_1) | instskip(SKIP_3) | instid1(VALU_DEP_1)
	v_lshlrev_b64 v[15:16], s0, v[15:16]
	s_add_u32 s0, s0, 8
	s_addc_u32 s1, s1, 0
	s_or_b32 s13, vcc_lo, s13
	v_or_b32_e32 v13, v16, v13
	s_delay_alu instid0(VALU_DEP_2)
	v_or_b32_e32 v12, v15, v12
	s_and_not1_b32 exec_lo, exec_lo, s13
	s_cbranch_execnz .LBB1_299
; %bb.300:                              ;   in Loop: Header=BB1_280 Depth=1
	s_or_b32 exec_lo, exec_lo, s13
.LBB1_301:                              ;   in Loop: Header=BB1_280 Depth=1
	s_delay_alu instid0(SALU_CYCLE_1)
	s_or_b32 exec_lo, exec_lo, s7
	s_mov_b32 s1, 0
                                        ; implicit-def: $vgpr14
.LBB1_302:                              ;   in Loop: Header=BB1_280 Depth=1
	s_or_saveexec_b32 s0, s6
	v_mov_b32_e32 v6, s1
	s_xor_b32 exec_lo, exec_lo, s0
	s_cbranch_execz .LBB1_304
; %bb.303:                              ;   in Loop: Header=BB1_280 Depth=1
	flat_load_b64 v[12:13], v[22:23]
	v_add_co_u32 v22, vcc_lo, v22, 8
	v_add_co_ci_u32_e32 v23, vcc_lo, 0, v23, vcc_lo
	s_waitcnt vmcnt(0) lgkmcnt(0)
	v_and_b32_e32 v6, 0xff, v13
	v_and_b32_e32 v15, 0xff00, v13
	;; [unrolled: 1-line block ×4, first 2 shown]
	v_or3_b32 v12, v12, 0, 0
	s_delay_alu instid0(VALU_DEP_4) | instskip(SKIP_1) | instid1(VALU_DEP_2)
	v_or_b32_e32 v15, v6, v15
	v_add_nc_u32_e32 v6, -8, v14
	v_or3_b32 v13, v15, v16, v13
.LBB1_304:                              ;   in Loop: Header=BB1_280 Depth=1
	s_or_b32 exec_lo, exec_lo, s0
                                        ; implicit-def: $vgpr14_vgpr15
                                        ; implicit-def: $sgpr1
	s_delay_alu instid0(SALU_CYCLE_1) | instskip(NEXT) | instid1(VALU_DEP_1)
	s_mov_b32 s0, exec_lo
	v_cmpx_gt_u32_e32 8, v6
	s_xor_b32 s6, exec_lo, s0
	s_cbranch_execz .LBB1_310
; %bb.305:                              ;   in Loop: Header=BB1_280 Depth=1
	v_mov_b32_e32 v14, 0
	v_mov_b32_e32 v15, 0
	s_mov_b32 s7, exec_lo
	v_cmpx_ne_u32_e32 0, v6
	s_cbranch_execz .LBB1_309
; %bb.306:                              ;   in Loop: Header=BB1_280 Depth=1
	v_mov_b32_e32 v14, 0
	v_mov_b32_e32 v15, 0
	s_mov_b64 s[0:1], 0
	s_mov_b32 s13, 0
	s_mov_b64 s[4:5], 0
	.p2align	6
.LBB1_307:                              ;   Parent Loop BB1_280 Depth=1
                                        ; =>  This Inner Loop Header: Depth=2
	s_delay_alu instid0(SALU_CYCLE_1)
	v_add_co_u32 v16, vcc_lo, v22, s4
	v_add_co_ci_u32_e32 v17, vcc_lo, s5, v23, vcc_lo
	s_add_u32 s4, s4, 1
	s_addc_u32 s5, s5, 0
	v_cmp_eq_u32_e32 vcc_lo, s4, v6
	flat_load_u8 v16, v[16:17]
	s_waitcnt vmcnt(0) lgkmcnt(0)
	v_dual_mov_b32 v17, s12 :: v_dual_and_b32 v16, 0xffff, v16
	s_delay_alu instid0(VALU_DEP_1) | instskip(SKIP_3) | instid1(VALU_DEP_1)
	v_lshlrev_b64 v[16:17], s0, v[16:17]
	s_add_u32 s0, s0, 8
	s_addc_u32 s1, s1, 0
	s_or_b32 s13, vcc_lo, s13
	v_or_b32_e32 v15, v17, v15
	s_delay_alu instid0(VALU_DEP_2)
	v_or_b32_e32 v14, v16, v14
	s_and_not1_b32 exec_lo, exec_lo, s13
	s_cbranch_execnz .LBB1_307
; %bb.308:                              ;   in Loop: Header=BB1_280 Depth=1
	s_or_b32 exec_lo, exec_lo, s13
.LBB1_309:                              ;   in Loop: Header=BB1_280 Depth=1
	s_delay_alu instid0(SALU_CYCLE_1)
	s_or_b32 exec_lo, exec_lo, s7
	s_mov_b32 s1, 0
                                        ; implicit-def: $vgpr6
.LBB1_310:                              ;   in Loop: Header=BB1_280 Depth=1
	s_or_saveexec_b32 s0, s6
	v_mov_b32_e32 v18, s1
	s_xor_b32 exec_lo, exec_lo, s0
	s_cbranch_execz .LBB1_312
; %bb.311:                              ;   in Loop: Header=BB1_280 Depth=1
	flat_load_b64 v[14:15], v[22:23]
	v_add_co_u32 v22, vcc_lo, v22, 8
	v_add_nc_u32_e32 v18, -8, v6
	v_add_co_ci_u32_e32 v23, vcc_lo, 0, v23, vcc_lo
	s_waitcnt vmcnt(0) lgkmcnt(0)
	v_and_b32_e32 v16, 0xff, v15
	v_and_b32_e32 v17, 0xff00, v15
	;; [unrolled: 1-line block ×4, first 2 shown]
	v_or3_b32 v14, v14, 0, 0
	s_delay_alu instid0(VALU_DEP_4) | instskip(NEXT) | instid1(VALU_DEP_1)
	v_or_b32_e32 v16, v16, v17
	v_or3_b32 v15, v16, v19, v15
.LBB1_312:                              ;   in Loop: Header=BB1_280 Depth=1
	s_or_b32 exec_lo, exec_lo, s0
                                        ; implicit-def: $sgpr1
	s_delay_alu instid0(SALU_CYCLE_1)
	s_mov_b32 s0, exec_lo
	v_cmpx_gt_u32_e32 8, v18
	s_xor_b32 s6, exec_lo, s0
	s_cbranch_execz .LBB1_318
; %bb.313:                              ;   in Loop: Header=BB1_280 Depth=1
	v_mov_b32_e32 v16, 0
	v_mov_b32_e32 v17, 0
	s_mov_b32 s7, exec_lo
	v_cmpx_ne_u32_e32 0, v18
	s_cbranch_execz .LBB1_317
; %bb.314:                              ;   in Loop: Header=BB1_280 Depth=1
	v_mov_b32_e32 v16, 0
	v_mov_b32_e32 v17, 0
	s_mov_b64 s[0:1], 0
	s_mov_b32 s13, 0
	s_mov_b64 s[4:5], 0
	.p2align	6
.LBB1_315:                              ;   Parent Loop BB1_280 Depth=1
                                        ; =>  This Inner Loop Header: Depth=2
	s_delay_alu instid0(SALU_CYCLE_1)
	v_add_co_u32 v19, vcc_lo, v22, s4
	v_add_co_ci_u32_e32 v20, vcc_lo, s5, v23, vcc_lo
	s_add_u32 s4, s4, 1
	s_addc_u32 s5, s5, 0
	v_cmp_eq_u32_e32 vcc_lo, s4, v18
	flat_load_u8 v6, v[19:20]
	s_waitcnt vmcnt(0) lgkmcnt(0)
	v_dual_mov_b32 v20, s12 :: v_dual_and_b32 v19, 0xffff, v6
	s_delay_alu instid0(VALU_DEP_1) | instskip(SKIP_3) | instid1(VALU_DEP_1)
	v_lshlrev_b64 v[19:20], s0, v[19:20]
	s_add_u32 s0, s0, 8
	s_addc_u32 s1, s1, 0
	s_or_b32 s13, vcc_lo, s13
	v_or_b32_e32 v17, v20, v17
	s_delay_alu instid0(VALU_DEP_2)
	v_or_b32_e32 v16, v19, v16
	s_and_not1_b32 exec_lo, exec_lo, s13
	s_cbranch_execnz .LBB1_315
; %bb.316:                              ;   in Loop: Header=BB1_280 Depth=1
	s_or_b32 exec_lo, exec_lo, s13
.LBB1_317:                              ;   in Loop: Header=BB1_280 Depth=1
	s_delay_alu instid0(SALU_CYCLE_1)
	s_or_b32 exec_lo, exec_lo, s7
	s_mov_b32 s1, 0
                                        ; implicit-def: $vgpr18
.LBB1_318:                              ;   in Loop: Header=BB1_280 Depth=1
	s_or_saveexec_b32 s0, s6
	v_mov_b32_e32 v6, s1
	s_xor_b32 exec_lo, exec_lo, s0
	s_cbranch_execz .LBB1_320
; %bb.319:                              ;   in Loop: Header=BB1_280 Depth=1
	flat_load_b64 v[16:17], v[22:23]
	v_add_co_u32 v22, vcc_lo, v22, 8
	v_add_co_ci_u32_e32 v23, vcc_lo, 0, v23, vcc_lo
	s_waitcnt vmcnt(0) lgkmcnt(0)
	v_and_b32_e32 v6, 0xff, v17
	v_and_b32_e32 v19, 0xff00, v17
	v_and_b32_e32 v20, 0xff0000, v17
	v_and_b32_e32 v17, 0xff000000, v17
	v_or3_b32 v16, v16, 0, 0
	s_delay_alu instid0(VALU_DEP_4) | instskip(SKIP_1) | instid1(VALU_DEP_2)
	v_or_b32_e32 v19, v6, v19
	v_add_nc_u32_e32 v6, -8, v18
	v_or3_b32 v17, v19, v20, v17
.LBB1_320:                              ;   in Loop: Header=BB1_280 Depth=1
	s_or_b32 exec_lo, exec_lo, s0
                                        ; implicit-def: $vgpr18_vgpr19
                                        ; implicit-def: $sgpr1
	s_delay_alu instid0(SALU_CYCLE_1) | instskip(NEXT) | instid1(VALU_DEP_1)
	s_mov_b32 s0, exec_lo
	v_cmpx_gt_u32_e32 8, v6
	s_xor_b32 s6, exec_lo, s0
	s_cbranch_execz .LBB1_326
; %bb.321:                              ;   in Loop: Header=BB1_280 Depth=1
	v_mov_b32_e32 v18, 0
	v_mov_b32_e32 v19, 0
	s_mov_b32 s7, exec_lo
	v_cmpx_ne_u32_e32 0, v6
	s_cbranch_execz .LBB1_325
; %bb.322:                              ;   in Loop: Header=BB1_280 Depth=1
	v_mov_b32_e32 v18, 0
	v_mov_b32_e32 v19, 0
	s_mov_b64 s[0:1], 0
	s_mov_b32 s13, 0
	s_mov_b64 s[4:5], 0
	.p2align	6
.LBB1_323:                              ;   Parent Loop BB1_280 Depth=1
                                        ; =>  This Inner Loop Header: Depth=2
	s_delay_alu instid0(SALU_CYCLE_1)
	v_add_co_u32 v20, vcc_lo, v22, s4
	v_add_co_ci_u32_e32 v21, vcc_lo, s5, v23, vcc_lo
	s_add_u32 s4, s4, 1
	s_addc_u32 s5, s5, 0
	v_cmp_eq_u32_e32 vcc_lo, s4, v6
	flat_load_u8 v20, v[20:21]
	s_waitcnt vmcnt(0) lgkmcnt(0)
	v_dual_mov_b32 v21, s12 :: v_dual_and_b32 v20, 0xffff, v20
	s_delay_alu instid0(VALU_DEP_1) | instskip(SKIP_3) | instid1(VALU_DEP_1)
	v_lshlrev_b64 v[20:21], s0, v[20:21]
	s_add_u32 s0, s0, 8
	s_addc_u32 s1, s1, 0
	s_or_b32 s13, vcc_lo, s13
	v_or_b32_e32 v19, v21, v19
	s_delay_alu instid0(VALU_DEP_2)
	v_or_b32_e32 v18, v20, v18
	s_and_not1_b32 exec_lo, exec_lo, s13
	s_cbranch_execnz .LBB1_323
; %bb.324:                              ;   in Loop: Header=BB1_280 Depth=1
	s_or_b32 exec_lo, exec_lo, s13
.LBB1_325:                              ;   in Loop: Header=BB1_280 Depth=1
	s_delay_alu instid0(SALU_CYCLE_1)
	s_or_b32 exec_lo, exec_lo, s7
	s_mov_b32 s1, 0
                                        ; implicit-def: $vgpr6
.LBB1_326:                              ;   in Loop: Header=BB1_280 Depth=1
	s_or_saveexec_b32 s0, s6
	v_mov_b32_e32 v24, s1
	s_xor_b32 exec_lo, exec_lo, s0
	s_cbranch_execz .LBB1_328
; %bb.327:                              ;   in Loop: Header=BB1_280 Depth=1
	flat_load_b64 v[18:19], v[22:23]
	v_add_co_u32 v22, vcc_lo, v22, 8
	v_add_nc_u32_e32 v24, -8, v6
	v_add_co_ci_u32_e32 v23, vcc_lo, 0, v23, vcc_lo
	s_waitcnt vmcnt(0) lgkmcnt(0)
	v_and_b32_e32 v20, 0xff, v19
	v_and_b32_e32 v21, 0xff00, v19
	;; [unrolled: 1-line block ×4, first 2 shown]
	v_or3_b32 v18, v18, 0, 0
	s_delay_alu instid0(VALU_DEP_4) | instskip(NEXT) | instid1(VALU_DEP_1)
	v_or_b32_e32 v20, v20, v21
	v_or3_b32 v19, v20, v25, v19
.LBB1_328:                              ;   in Loop: Header=BB1_280 Depth=1
	s_or_b32 exec_lo, exec_lo, s0
	s_delay_alu instid0(SALU_CYCLE_1)
	s_mov_b32 s0, exec_lo
	v_cmpx_gt_u32_e32 8, v24
	s_xor_b32 s4, exec_lo, s0
	s_cbranch_execz .LBB1_334
; %bb.329:                              ;   in Loop: Header=BB1_280 Depth=1
	v_mov_b32_e32 v20, 0
	v_mov_b32_e32 v21, 0
	s_mov_b32 s5, exec_lo
	v_cmpx_ne_u32_e32 0, v24
	s_cbranch_execz .LBB1_333
; %bb.330:                              ;   in Loop: Header=BB1_280 Depth=1
	v_mov_b32_e32 v20, 0
	v_mov_b32_e32 v21, 0
	s_mov_b64 s[0:1], 0
	s_mov_b32 s6, 0
	.p2align	6
.LBB1_331:                              ;   Parent Loop BB1_280 Depth=1
                                        ; =>  This Inner Loop Header: Depth=2
	flat_load_u8 v6, v[22:23]
	v_dual_mov_b32 v31, s12 :: v_dual_add_nc_u32 v24, -1, v24
	v_add_co_u32 v22, vcc_lo, v22, 1
	v_add_co_ci_u32_e32 v23, vcc_lo, 0, v23, vcc_lo
	s_delay_alu instid0(VALU_DEP_3) | instskip(SKIP_2) | instid1(VALU_DEP_1)
	v_cmp_eq_u32_e32 vcc_lo, 0, v24
	s_waitcnt vmcnt(0) lgkmcnt(0)
	v_and_b32_e32 v30, 0xffff, v6
	v_lshlrev_b64 v[30:31], s0, v[30:31]
	s_add_u32 s0, s0, 8
	s_addc_u32 s1, s1, 0
	s_or_b32 s6, vcc_lo, s6
	s_delay_alu instid0(VALU_DEP_1) | instskip(NEXT) | instid1(VALU_DEP_2)
	v_or_b32_e32 v21, v31, v21
	v_or_b32_e32 v20, v30, v20
	s_and_not1_b32 exec_lo, exec_lo, s6
	s_cbranch_execnz .LBB1_331
; %bb.332:                              ;   in Loop: Header=BB1_280 Depth=1
	s_or_b32 exec_lo, exec_lo, s6
.LBB1_333:                              ;   in Loop: Header=BB1_280 Depth=1
	s_delay_alu instid0(SALU_CYCLE_1)
	s_or_b32 exec_lo, exec_lo, s5
                                        ; implicit-def: $vgpr22_vgpr23
.LBB1_334:                              ;   in Loop: Header=BB1_280 Depth=1
	s_and_not1_saveexec_b32 s0, s4
	s_cbranch_execz .LBB1_336
; %bb.335:                              ;   in Loop: Header=BB1_280 Depth=1
	flat_load_b64 v[20:21], v[22:23]
	s_waitcnt vmcnt(0) lgkmcnt(0)
	v_and_b32_e32 v6, 0xff, v21
	v_and_b32_e32 v22, 0xff00, v21
	;; [unrolled: 1-line block ×4, first 2 shown]
	v_or3_b32 v20, v20, 0, 0
	s_delay_alu instid0(VALU_DEP_4) | instskip(NEXT) | instid1(VALU_DEP_1)
	v_or_b32_e32 v6, v6, v22
	v_or3_b32 v21, v6, v23, v21
.LBB1_336:                              ;   in Loop: Header=BB1_280 Depth=1
	s_or_b32 exec_lo, exec_lo, s0
	v_readfirstlane_b32 s0, v35
	v_mov_b32_e32 v30, 0
	v_mov_b32_e32 v31, 0
	s_delay_alu instid0(VALU_DEP_3) | instskip(NEXT) | instid1(VALU_DEP_1)
	v_cmp_eq_u32_e64 s0, s0, v35
	s_and_saveexec_b32 s1, s0
	s_cbranch_execz .LBB1_342
; %bb.337:                              ;   in Loop: Header=BB1_280 Depth=1
	global_load_b64 v[24:25], v7, s[2:3] offset:24 glc
	s_waitcnt vmcnt(0)
	buffer_gl1_inv
	buffer_gl0_inv
	s_clause 0x1
	global_load_b64 v[22:23], v7, s[2:3] offset:40
	global_load_b64 v[30:31], v7, s[2:3]
	s_mov_b32 s4, exec_lo
	s_waitcnt vmcnt(1)
	v_and_b32_e32 v6, v23, v25
	v_and_b32_e32 v22, v22, v24
	s_delay_alu instid0(VALU_DEP_2) | instskip(NEXT) | instid1(VALU_DEP_2)
	v_mul_lo_u32 v6, v6, 24
	v_mul_hi_u32 v23, v22, 24
	v_mul_lo_u32 v22, v22, 24
	s_delay_alu instid0(VALU_DEP_2) | instskip(SKIP_1) | instid1(VALU_DEP_2)
	v_add_nc_u32_e32 v6, v23, v6
	s_waitcnt vmcnt(0)
	v_add_co_u32 v22, vcc_lo, v30, v22
	s_delay_alu instid0(VALU_DEP_2)
	v_add_co_ci_u32_e32 v23, vcc_lo, v31, v6, vcc_lo
	global_load_b64 v[22:23], v[22:23], off glc
	s_waitcnt vmcnt(0)
	global_atomic_cmpswap_b64 v[30:31], v7, v[22:25], s[2:3] offset:24 glc
	s_waitcnt vmcnt(0)
	buffer_gl1_inv
	buffer_gl0_inv
	v_cmpx_ne_u64_e64 v[30:31], v[24:25]
	s_cbranch_execz .LBB1_341
; %bb.338:                              ;   in Loop: Header=BB1_280 Depth=1
	s_mov_b32 s5, 0
	.p2align	6
.LBB1_339:                              ;   Parent Loop BB1_280 Depth=1
                                        ; =>  This Inner Loop Header: Depth=2
	s_sleep 1
	s_clause 0x1
	global_load_b64 v[22:23], v7, s[2:3] offset:40
	global_load_b64 v[36:37], v7, s[2:3]
	v_dual_mov_b32 v24, v30 :: v_dual_mov_b32 v25, v31
	s_waitcnt vmcnt(1)
	s_delay_alu instid0(VALU_DEP_1) | instskip(NEXT) | instid1(VALU_DEP_2)
	v_and_b32_e32 v6, v22, v24
	v_and_b32_e32 v33, v23, v25
	s_waitcnt vmcnt(0)
	s_delay_alu instid0(VALU_DEP_2) | instskip(NEXT) | instid1(VALU_DEP_1)
	v_mad_u64_u32 v[30:31], null, v6, 24, v[36:37]
	v_mov_b32_e32 v6, v31
	s_delay_alu instid0(VALU_DEP_1) | instskip(NEXT) | instid1(VALU_DEP_1)
	v_mad_u64_u32 v[22:23], null, v33, 24, v[6:7]
	v_mov_b32_e32 v31, v22
	global_load_b64 v[22:23], v[30:31], off glc
	s_waitcnt vmcnt(0)
	global_atomic_cmpswap_b64 v[30:31], v7, v[22:25], s[2:3] offset:24 glc
	s_waitcnt vmcnt(0)
	buffer_gl1_inv
	buffer_gl0_inv
	v_cmp_eq_u64_e32 vcc_lo, v[30:31], v[24:25]
	s_or_b32 s5, vcc_lo, s5
	s_delay_alu instid0(SALU_CYCLE_1)
	s_and_not1_b32 exec_lo, exec_lo, s5
	s_cbranch_execnz .LBB1_339
; %bb.340:                              ;   in Loop: Header=BB1_280 Depth=1
	s_or_b32 exec_lo, exec_lo, s5
.LBB1_341:                              ;   in Loop: Header=BB1_280 Depth=1
	s_delay_alu instid0(SALU_CYCLE_1)
	s_or_b32 exec_lo, exec_lo, s4
.LBB1_342:                              ;   in Loop: Header=BB1_280 Depth=1
	s_delay_alu instid0(SALU_CYCLE_1)
	s_or_b32 exec_lo, exec_lo, s1
	s_clause 0x1
	global_load_b64 v[36:37], v7, s[2:3] offset:40
	global_load_b128 v[22:25], v7, s[2:3]
	v_readfirstlane_b32 s4, v30
	v_readfirstlane_b32 s5, v31
	s_mov_b32 s1, exec_lo
	s_waitcnt vmcnt(1)
	v_readfirstlane_b32 s6, v36
	v_readfirstlane_b32 s7, v37
	s_delay_alu instid0(VALU_DEP_1) | instskip(NEXT) | instid1(SALU_CYCLE_1)
	s_and_b64 s[6:7], s[4:5], s[6:7]
	s_mul_i32 s13, s7, 24
	s_mul_hi_u32 s14, s6, 24
	s_mul_i32 s15, s6, 24
	s_add_i32 s14, s14, s13
	s_waitcnt vmcnt(0)
	v_add_co_u32 v30, vcc_lo, v22, s15
	v_add_co_ci_u32_e32 v31, vcc_lo, s14, v23, vcc_lo
	s_and_saveexec_b32 s13, s0
	s_cbranch_execz .LBB1_344
; %bb.343:                              ;   in Loop: Header=BB1_280 Depth=1
	v_mov_b32_e32 v6, s1
	global_store_b128 v[30:31], v[6:9], off offset:8
.LBB1_344:                              ;   in Loop: Header=BB1_280 Depth=1
	s_or_b32 exec_lo, exec_lo, s13
	v_cmp_lt_u64_e32 vcc_lo, 56, v[26:27]
	v_or_b32_e32 v6, 0, v1
	v_or_b32_e32 v33, v0, v32
	v_lshl_add_u32 v36, v28, 2, 28
	s_lshl_b64 s[6:7], s[6:7], 12
	s_delay_alu instid0(SALU_CYCLE_1) | instskip(NEXT) | instid1(VALU_DEP_1)
	v_add_co_u32 v24, s1, v24, s6
	v_add_co_ci_u32_e64 v25, s1, s7, v25, s1
	v_dual_cndmask_b32 v1, v6, v1 :: v_dual_cndmask_b32 v0, v33, v0
	v_and_b32_e32 v6, 0x1e0, v36
	s_delay_alu instid0(VALU_DEP_4) | instskip(NEXT) | instid1(VALU_DEP_4)
	v_readfirstlane_b32 s6, v24
	v_readfirstlane_b32 s7, v25
	s_delay_alu instid0(VALU_DEP_3)
	v_and_or_b32 v0, 0xffffff1f, v0, v6
	s_clause 0x3
	global_store_b128 v34, v[0:3], s[6:7]
	global_store_b128 v34, v[10:13], s[6:7] offset:16
	global_store_b128 v34, v[14:17], s[6:7] offset:32
	;; [unrolled: 1-line block ×3, first 2 shown]
	s_and_saveexec_b32 s1, s0
	s_cbranch_execz .LBB1_352
; %bb.345:                              ;   in Loop: Header=BB1_280 Depth=1
	s_clause 0x1
	global_load_b64 v[14:15], v7, s[2:3] offset:32 glc
	global_load_b64 v[0:1], v7, s[2:3] offset:40
	v_dual_mov_b32 v12, s4 :: v_dual_mov_b32 v13, s5
	s_waitcnt vmcnt(0)
	v_readfirstlane_b32 s6, v0
	v_readfirstlane_b32 s7, v1
	s_delay_alu instid0(VALU_DEP_1) | instskip(NEXT) | instid1(SALU_CYCLE_1)
	s_and_b64 s[6:7], s[6:7], s[4:5]
	s_mul_i32 s7, s7, 24
	s_mul_hi_u32 s13, s6, 24
	s_mul_i32 s6, s6, 24
	s_add_i32 s13, s13, s7
	v_add_co_u32 v10, vcc_lo, v22, s6
	v_add_co_ci_u32_e32 v11, vcc_lo, s13, v23, vcc_lo
	s_mov_b32 s6, exec_lo
	global_store_b64 v[10:11], v[14:15], off
	s_waitcnt_vscnt null, 0x0
	global_atomic_cmpswap_b64 v[2:3], v7, v[12:15], s[2:3] offset:32 glc
	s_waitcnt vmcnt(0)
	v_cmpx_ne_u64_e64 v[2:3], v[14:15]
	s_cbranch_execz .LBB1_348
; %bb.346:                              ;   in Loop: Header=BB1_280 Depth=1
	s_mov_b32 s7, 0
.LBB1_347:                              ;   Parent Loop BB1_280 Depth=1
                                        ; =>  This Inner Loop Header: Depth=2
	v_dual_mov_b32 v0, s4 :: v_dual_mov_b32 v1, s5
	s_sleep 1
	global_store_b64 v[10:11], v[2:3], off
	s_waitcnt_vscnt null, 0x0
	global_atomic_cmpswap_b64 v[0:1], v7, v[0:3], s[2:3] offset:32 glc
	s_waitcnt vmcnt(0)
	v_cmp_eq_u64_e32 vcc_lo, v[0:1], v[2:3]
	v_dual_mov_b32 v3, v1 :: v_dual_mov_b32 v2, v0
	s_or_b32 s7, vcc_lo, s7
	s_delay_alu instid0(SALU_CYCLE_1)
	s_and_not1_b32 exec_lo, exec_lo, s7
	s_cbranch_execnz .LBB1_347
.LBB1_348:                              ;   in Loop: Header=BB1_280 Depth=1
	s_or_b32 exec_lo, exec_lo, s6
	global_load_b64 v[0:1], v7, s[2:3] offset:16
	s_mov_b32 s7, exec_lo
	s_mov_b32 s6, exec_lo
	v_mbcnt_lo_u32_b32 v2, s7, 0
	s_delay_alu instid0(VALU_DEP_1)
	v_cmpx_eq_u32_e32 0, v2
	s_cbranch_execz .LBB1_350
; %bb.349:                              ;   in Loop: Header=BB1_280 Depth=1
	s_bcnt1_i32_b32 s7, s7
	s_delay_alu instid0(SALU_CYCLE_1)
	v_mov_b32_e32 v6, s7
	s_waitcnt vmcnt(0)
	global_atomic_add_u64 v[0:1], v[6:7], off offset:8
.LBB1_350:                              ;   in Loop: Header=BB1_280 Depth=1
	s_or_b32 exec_lo, exec_lo, s6
	s_waitcnt vmcnt(0)
	global_load_b64 v[2:3], v[0:1], off offset:16
	s_waitcnt vmcnt(0)
	v_cmp_eq_u64_e32 vcc_lo, 0, v[2:3]
	s_cbranch_vccnz .LBB1_352
; %bb.351:                              ;   in Loop: Header=BB1_280 Depth=1
	global_load_b32 v6, v[0:1], off offset:24
	s_waitcnt vmcnt(0)
	v_and_b32_e32 v0, 0xffffff, v6
	s_waitcnt_vscnt null, 0x0
	global_store_b64 v[2:3], v[6:7], off
	v_readfirstlane_b32 m0, v0
	s_sendmsg sendmsg(MSG_INTERRUPT)
.LBB1_352:                              ;   in Loop: Header=BB1_280 Depth=1
	s_or_b32 exec_lo, exec_lo, s1
	v_add_co_u32 v0, vcc_lo, v24, v34
	v_add_co_ci_u32_e32 v1, vcc_lo, 0, v25, vcc_lo
	s_branch .LBB1_356
	.p2align	6
.LBB1_353:                              ;   in Loop: Header=BB1_356 Depth=2
	s_or_b32 exec_lo, exec_lo, s1
	s_delay_alu instid0(VALU_DEP_1) | instskip(NEXT) | instid1(VALU_DEP_1)
	v_readfirstlane_b32 s1, v2
	s_cmp_eq_u32 s1, 0
	s_cbranch_scc1 .LBB1_355
; %bb.354:                              ;   in Loop: Header=BB1_356 Depth=2
	s_sleep 1
	s_cbranch_execnz .LBB1_356
	s_branch .LBB1_358
	.p2align	6
.LBB1_355:                              ;   in Loop: Header=BB1_280 Depth=1
	s_branch .LBB1_358
.LBB1_356:                              ;   Parent Loop BB1_280 Depth=1
                                        ; =>  This Inner Loop Header: Depth=2
	v_mov_b32_e32 v2, 1
	s_and_saveexec_b32 s1, s0
	s_cbranch_execz .LBB1_353
; %bb.357:                              ;   in Loop: Header=BB1_356 Depth=2
	global_load_b32 v2, v[30:31], off offset:20 glc
	s_waitcnt vmcnt(0)
	buffer_gl1_inv
	buffer_gl0_inv
	v_and_b32_e32 v2, 1, v2
	s_branch .LBB1_353
.LBB1_358:                              ;   in Loop: Header=BB1_280 Depth=1
	global_load_b128 v[0:3], v[0:1], off
	s_and_saveexec_b32 s1, s0
	s_cbranch_execz .LBB1_279
; %bb.359:                              ;   in Loop: Header=BB1_280 Depth=1
	s_clause 0x2
	global_load_b64 v[2:3], v7, s[2:3] offset:40
	global_load_b64 v[14:15], v7, s[2:3] offset:24 glc
	global_load_b64 v[12:13], v7, s[2:3]
	s_waitcnt vmcnt(2)
	v_add_co_u32 v6, vcc_lo, v2, 1
	v_add_co_ci_u32_e32 v16, vcc_lo, 0, v3, vcc_lo
	s_delay_alu instid0(VALU_DEP_2) | instskip(NEXT) | instid1(VALU_DEP_2)
	v_add_co_u32 v10, vcc_lo, v6, s4
	v_add_co_ci_u32_e32 v11, vcc_lo, s5, v16, vcc_lo
	s_delay_alu instid0(VALU_DEP_1) | instskip(SKIP_1) | instid1(VALU_DEP_1)
	v_cmp_eq_u64_e32 vcc_lo, 0, v[10:11]
	v_dual_cndmask_b32 v11, v11, v16 :: v_dual_cndmask_b32 v10, v10, v6
	v_and_b32_e32 v3, v11, v3
	s_delay_alu instid0(VALU_DEP_2) | instskip(NEXT) | instid1(VALU_DEP_1)
	v_and_b32_e32 v2, v10, v2
	v_mul_hi_u32 v6, v2, 24
	v_mul_lo_u32 v2, v2, 24
	s_waitcnt vmcnt(0)
	s_delay_alu instid0(VALU_DEP_1) | instskip(SKIP_2) | instid1(VALU_DEP_1)
	v_add_co_u32 v2, vcc_lo, v12, v2
	v_mov_b32_e32 v12, v14
	v_mul_lo_u32 v3, v3, 24
	v_add_nc_u32_e32 v3, v6, v3
	s_delay_alu instid0(VALU_DEP_1)
	v_add_co_ci_u32_e32 v3, vcc_lo, v13, v3, vcc_lo
	v_mov_b32_e32 v13, v15
	global_store_b64 v[2:3], v[14:15], off
	s_waitcnt_vscnt null, 0x0
	global_atomic_cmpswap_b64 v[12:13], v7, v[10:13], s[2:3] offset:24 glc
	s_waitcnt vmcnt(0)
	v_cmp_ne_u64_e32 vcc_lo, v[12:13], v[14:15]
	s_and_b32 exec_lo, exec_lo, vcc_lo
	s_cbranch_execz .LBB1_279
; %bb.360:                              ;   in Loop: Header=BB1_280 Depth=1
	s_mov_b32 s0, 0
.LBB1_361:                              ;   Parent Loop BB1_280 Depth=1
                                        ; =>  This Inner Loop Header: Depth=2
	s_sleep 1
	global_store_b64 v[2:3], v[12:13], off
	s_waitcnt_vscnt null, 0x0
	global_atomic_cmpswap_b64 v[14:15], v7, v[10:13], s[2:3] offset:24 glc
	s_waitcnt vmcnt(0)
	v_cmp_eq_u64_e32 vcc_lo, v[14:15], v[12:13]
	v_dual_mov_b32 v12, v14 :: v_dual_mov_b32 v13, v15
	s_or_b32 s0, vcc_lo, s0
	s_delay_alu instid0(SALU_CYCLE_1)
	s_and_not1_b32 exec_lo, exec_lo, s0
	s_cbranch_execnz .LBB1_361
	s_branch .LBB1_279
.LBB1_362:
	s_or_b32 exec_lo, exec_lo, s11
                                        ; implicit-def: $vgpr34
                                        ; implicit-def: $vgpr35
.LBB1_363:
	s_and_not1_saveexec_b32 s1, s10
	s_cbranch_execz .LBB1_391
; %bb.364:
	v_readfirstlane_b32 s0, v35
	v_mov_b32_e32 v8, 0
	v_mov_b32_e32 v9, 0
	s_delay_alu instid0(VALU_DEP_3) | instskip(NEXT) | instid1(VALU_DEP_1)
	v_cmp_eq_u32_e64 s0, s0, v35
	s_and_saveexec_b32 s4, s0
	s_cbranch_execz .LBB1_370
; %bb.365:
	s_waitcnt vmcnt(0)
	v_mov_b32_e32 v2, 0
	s_mov_b32 s5, exec_lo
	global_load_b64 v[5:6], v2, s[2:3] offset:24 glc
	s_waitcnt vmcnt(0)
	buffer_gl1_inv
	buffer_gl0_inv
	s_clause 0x1
	global_load_b64 v[3:4], v2, s[2:3] offset:40
	global_load_b64 v[7:8], v2, s[2:3]
	s_waitcnt vmcnt(1)
	v_and_b32_e32 v3, v3, v5
	v_and_b32_e32 v4, v4, v6
	s_delay_alu instid0(VALU_DEP_2) | instskip(NEXT) | instid1(VALU_DEP_2)
	v_mul_hi_u32 v9, v3, 24
	v_mul_lo_u32 v4, v4, 24
	v_mul_lo_u32 v3, v3, 24
	s_delay_alu instid0(VALU_DEP_2) | instskip(SKIP_1) | instid1(VALU_DEP_2)
	v_add_nc_u32_e32 v4, v9, v4
	s_waitcnt vmcnt(0)
	v_add_co_u32 v3, vcc_lo, v7, v3
	s_delay_alu instid0(VALU_DEP_2)
	v_add_co_ci_u32_e32 v4, vcc_lo, v8, v4, vcc_lo
	global_load_b64 v[3:4], v[3:4], off glc
	s_waitcnt vmcnt(0)
	global_atomic_cmpswap_b64 v[8:9], v2, v[3:6], s[2:3] offset:24 glc
	s_waitcnt vmcnt(0)
	buffer_gl1_inv
	buffer_gl0_inv
	v_cmpx_ne_u64_e64 v[8:9], v[5:6]
	s_cbranch_execz .LBB1_369
; %bb.366:
	s_mov_b32 s6, 0
	.p2align	6
.LBB1_367:                              ; =>This Inner Loop Header: Depth=1
	s_sleep 1
	s_clause 0x1
	global_load_b64 v[3:4], v2, s[2:3] offset:40
	global_load_b64 v[10:11], v2, s[2:3]
	v_dual_mov_b32 v5, v8 :: v_dual_mov_b32 v6, v9
	s_waitcnt vmcnt(1)
	s_delay_alu instid0(VALU_DEP_1) | instskip(NEXT) | instid1(VALU_DEP_2)
	v_and_b32_e32 v3, v3, v5
	v_and_b32_e32 v4, v4, v6
	s_waitcnt vmcnt(0)
	s_delay_alu instid0(VALU_DEP_2) | instskip(NEXT) | instid1(VALU_DEP_1)
	v_mad_u64_u32 v[7:8], null, v3, 24, v[10:11]
	v_mov_b32_e32 v3, v8
	s_delay_alu instid0(VALU_DEP_1)
	v_mad_u64_u32 v[8:9], null, v4, 24, v[3:4]
	global_load_b64 v[3:4], v[7:8], off glc
	s_waitcnt vmcnt(0)
	global_atomic_cmpswap_b64 v[8:9], v2, v[3:6], s[2:3] offset:24 glc
	s_waitcnt vmcnt(0)
	buffer_gl1_inv
	buffer_gl0_inv
	v_cmp_eq_u64_e32 vcc_lo, v[8:9], v[5:6]
	s_or_b32 s6, vcc_lo, s6
	s_delay_alu instid0(SALU_CYCLE_1)
	s_and_not1_b32 exec_lo, exec_lo, s6
	s_cbranch_execnz .LBB1_367
; %bb.368:
	s_or_b32 exec_lo, exec_lo, s6
.LBB1_369:
	s_delay_alu instid0(SALU_CYCLE_1)
	s_or_b32 exec_lo, exec_lo, s5
.LBB1_370:
	s_delay_alu instid0(SALU_CYCLE_1)
	s_or_b32 exec_lo, exec_lo, s4
	s_waitcnt vmcnt(0)
	v_mov_b32_e32 v2, 0
	v_readfirstlane_b32 s4, v8
	v_readfirstlane_b32 s5, v9
	s_mov_b32 s10, exec_lo
	s_clause 0x1
	global_load_b64 v[10:11], v2, s[2:3] offset:40
	global_load_b128 v[4:7], v2, s[2:3]
	s_waitcnt vmcnt(1)
	v_readfirstlane_b32 s6, v10
	v_readfirstlane_b32 s7, v11
	s_delay_alu instid0(VALU_DEP_1) | instskip(NEXT) | instid1(SALU_CYCLE_1)
	s_and_b64 s[6:7], s[4:5], s[6:7]
	s_mul_i32 s11, s7, 24
	s_mul_hi_u32 s12, s6, 24
	s_mul_i32 s13, s6, 24
	s_add_i32 s12, s12, s11
	s_waitcnt vmcnt(0)
	v_add_co_u32 v8, vcc_lo, v4, s13
	v_add_co_ci_u32_e32 v9, vcc_lo, s12, v5, vcc_lo
	s_and_saveexec_b32 s11, s0
	s_cbranch_execz .LBB1_372
; %bb.371:
	v_dual_mov_b32 v10, s10 :: v_dual_mov_b32 v11, v2
	v_dual_mov_b32 v12, 2 :: v_dual_mov_b32 v13, 1
	global_store_b128 v[8:9], v[10:13], off offset:8
.LBB1_372:
	s_or_b32 exec_lo, exec_lo, s11
	s_lshl_b64 s[6:7], s[6:7], 12
	s_mov_b32 s12, 0
	v_add_co_u32 v6, vcc_lo, v6, s6
	v_add_co_ci_u32_e32 v7, vcc_lo, s7, v7, vcc_lo
	s_mov_b32 s13, s12
	s_delay_alu instid0(VALU_DEP_2)
	v_readfirstlane_b32 s6, v6
	v_add_co_u32 v6, vcc_lo, v6, v34
	s_mov_b32 s14, s12
	s_mov_b32 s15, s12
	v_and_or_b32 v0, 0xffffff1f, v0, 32
	v_dual_mov_b32 v3, v2 :: v_dual_mov_b32 v10, s12
	v_readfirstlane_b32 s7, v7
	v_add_co_ci_u32_e32 v7, vcc_lo, 0, v7, vcc_lo
	v_dual_mov_b32 v11, s13 :: v_dual_mov_b32 v12, s14
	v_mov_b32_e32 v13, s15
	s_clause 0x3
	global_store_b128 v34, v[0:3], s[6:7]
	global_store_b128 v34, v[10:13], s[6:7] offset:16
	global_store_b128 v34, v[10:13], s[6:7] offset:32
	;; [unrolled: 1-line block ×3, first 2 shown]
	s_and_saveexec_b32 s6, s0
	s_cbranch_execz .LBB1_380
; %bb.373:
	v_dual_mov_b32 v10, 0 :: v_dual_mov_b32 v11, s4
	v_mov_b32_e32 v12, s5
	s_clause 0x1
	global_load_b64 v[13:14], v10, s[2:3] offset:32 glc
	global_load_b64 v[0:1], v10, s[2:3] offset:40
	s_waitcnt vmcnt(0)
	v_readfirstlane_b32 s10, v0
	v_readfirstlane_b32 s11, v1
	s_delay_alu instid0(VALU_DEP_1) | instskip(NEXT) | instid1(SALU_CYCLE_1)
	s_and_b64 s[10:11], s[10:11], s[4:5]
	s_mul_i32 s7, s11, 24
	s_mul_hi_u32 s11, s10, 24
	s_mul_i32 s10, s10, 24
	s_add_i32 s11, s11, s7
	v_add_co_u32 v4, vcc_lo, v4, s10
	v_add_co_ci_u32_e32 v5, vcc_lo, s11, v5, vcc_lo
	s_mov_b32 s7, exec_lo
	global_store_b64 v[4:5], v[13:14], off
	s_waitcnt_vscnt null, 0x0
	global_atomic_cmpswap_b64 v[2:3], v10, v[11:14], s[2:3] offset:32 glc
	s_waitcnt vmcnt(0)
	v_cmpx_ne_u64_e64 v[2:3], v[13:14]
	s_cbranch_execz .LBB1_376
; %bb.374:
	s_mov_b32 s10, 0
.LBB1_375:                              ; =>This Inner Loop Header: Depth=1
	v_dual_mov_b32 v0, s4 :: v_dual_mov_b32 v1, s5
	s_sleep 1
	global_store_b64 v[4:5], v[2:3], off
	s_waitcnt_vscnt null, 0x0
	global_atomic_cmpswap_b64 v[0:1], v10, v[0:3], s[2:3] offset:32 glc
	s_waitcnt vmcnt(0)
	v_cmp_eq_u64_e32 vcc_lo, v[0:1], v[2:3]
	v_dual_mov_b32 v3, v1 :: v_dual_mov_b32 v2, v0
	s_or_b32 s10, vcc_lo, s10
	s_delay_alu instid0(SALU_CYCLE_1)
	s_and_not1_b32 exec_lo, exec_lo, s10
	s_cbranch_execnz .LBB1_375
.LBB1_376:
	s_or_b32 exec_lo, exec_lo, s7
	v_mov_b32_e32 v3, 0
	s_mov_b32 s10, exec_lo
	s_mov_b32 s7, exec_lo
	v_mbcnt_lo_u32_b32 v2, s10, 0
	global_load_b64 v[0:1], v3, s[2:3] offset:16
	v_cmpx_eq_u32_e32 0, v2
	s_cbranch_execz .LBB1_378
; %bb.377:
	s_bcnt1_i32_b32 s10, s10
	s_delay_alu instid0(SALU_CYCLE_1)
	v_mov_b32_e32 v2, s10
	s_waitcnt vmcnt(0)
	global_atomic_add_u64 v[0:1], v[2:3], off offset:8
.LBB1_378:
	s_or_b32 exec_lo, exec_lo, s7
	s_waitcnt vmcnt(0)
	global_load_b64 v[2:3], v[0:1], off offset:16
	s_waitcnt vmcnt(0)
	v_cmp_eq_u64_e32 vcc_lo, 0, v[2:3]
	s_cbranch_vccnz .LBB1_380
; %bb.379:
	global_load_b32 v0, v[0:1], off offset:24
	s_waitcnt vmcnt(0)
	v_dual_mov_b32 v1, 0 :: v_dual_and_b32 v4, 0xffffff, v0
	s_waitcnt_vscnt null, 0x0
	global_store_b64 v[2:3], v[0:1], off
	v_readfirstlane_b32 m0, v4
	s_sendmsg sendmsg(MSG_INTERRUPT)
.LBB1_380:
	s_or_b32 exec_lo, exec_lo, s6
	s_branch .LBB1_384
	.p2align	6
.LBB1_381:                              ;   in Loop: Header=BB1_384 Depth=1
	s_or_b32 exec_lo, exec_lo, s6
	s_delay_alu instid0(VALU_DEP_1) | instskip(NEXT) | instid1(VALU_DEP_1)
	v_readfirstlane_b32 s6, v0
	s_cmp_eq_u32 s6, 0
	s_cbranch_scc1 .LBB1_383
; %bb.382:                              ;   in Loop: Header=BB1_384 Depth=1
	s_sleep 1
	s_cbranch_execnz .LBB1_384
	s_branch .LBB1_386
	.p2align	6
.LBB1_383:
	s_branch .LBB1_386
.LBB1_384:                              ; =>This Inner Loop Header: Depth=1
	v_mov_b32_e32 v0, 1
	s_and_saveexec_b32 s6, s0
	s_cbranch_execz .LBB1_381
; %bb.385:                              ;   in Loop: Header=BB1_384 Depth=1
	global_load_b32 v0, v[8:9], off offset:20 glc
	s_waitcnt vmcnt(0)
	buffer_gl1_inv
	buffer_gl0_inv
	v_and_b32_e32 v0, 1, v0
	s_branch .LBB1_381
.LBB1_386:
	global_load_b64 v[0:1], v[6:7], off
	s_and_saveexec_b32 s6, s0
	s_cbranch_execz .LBB1_390
; %bb.387:
	v_mov_b32_e32 v8, 0
	s_clause 0x2
	global_load_b64 v[4:5], v8, s[2:3] offset:40
	global_load_b64 v[9:10], v8, s[2:3] offset:24 glc
	global_load_b64 v[6:7], v8, s[2:3]
	s_waitcnt vmcnt(2)
	v_add_co_u32 v11, vcc_lo, v4, 1
	v_add_co_ci_u32_e32 v12, vcc_lo, 0, v5, vcc_lo
	s_delay_alu instid0(VALU_DEP_2) | instskip(NEXT) | instid1(VALU_DEP_2)
	v_add_co_u32 v2, vcc_lo, v11, s4
	v_add_co_ci_u32_e32 v3, vcc_lo, s5, v12, vcc_lo
	s_delay_alu instid0(VALU_DEP_1) | instskip(SKIP_1) | instid1(VALU_DEP_1)
	v_cmp_eq_u64_e32 vcc_lo, 0, v[2:3]
	v_dual_cndmask_b32 v3, v3, v12 :: v_dual_cndmask_b32 v2, v2, v11
	v_and_b32_e32 v5, v3, v5
	s_delay_alu instid0(VALU_DEP_2) | instskip(NEXT) | instid1(VALU_DEP_2)
	v_and_b32_e32 v4, v2, v4
	v_mul_lo_u32 v5, v5, 24
	s_delay_alu instid0(VALU_DEP_2) | instskip(SKIP_1) | instid1(VALU_DEP_2)
	v_mul_hi_u32 v11, v4, 24
	v_mul_lo_u32 v4, v4, 24
	v_add_nc_u32_e32 v5, v11, v5
	s_waitcnt vmcnt(0)
	s_delay_alu instid0(VALU_DEP_2) | instskip(SKIP_1) | instid1(VALU_DEP_3)
	v_add_co_u32 v6, vcc_lo, v6, v4
	v_mov_b32_e32 v4, v9
	v_add_co_ci_u32_e32 v7, vcc_lo, v7, v5, vcc_lo
	v_mov_b32_e32 v5, v10
	global_store_b64 v[6:7], v[9:10], off
	s_waitcnt_vscnt null, 0x0
	global_atomic_cmpswap_b64 v[4:5], v8, v[2:5], s[2:3] offset:24 glc
	s_waitcnt vmcnt(0)
	v_cmp_ne_u64_e32 vcc_lo, v[4:5], v[9:10]
	s_and_b32 exec_lo, exec_lo, vcc_lo
	s_cbranch_execz .LBB1_390
; %bb.388:
	s_mov_b32 s0, 0
.LBB1_389:                              ; =>This Inner Loop Header: Depth=1
	s_sleep 1
	global_store_b64 v[6:7], v[4:5], off
	s_waitcnt_vscnt null, 0x0
	global_atomic_cmpswap_b64 v[9:10], v8, v[2:5], s[2:3] offset:24 glc
	s_waitcnt vmcnt(0)
	v_cmp_eq_u64_e32 vcc_lo, v[9:10], v[4:5]
	v_dual_mov_b32 v4, v9 :: v_dual_mov_b32 v5, v10
	s_or_b32 s0, vcc_lo, s0
	s_delay_alu instid0(SALU_CYCLE_1)
	s_and_not1_b32 exec_lo, exec_lo, s0
	s_cbranch_execnz .LBB1_389
.LBB1_390:
	s_or_b32 exec_lo, exec_lo, s6
.LBB1_391:
	s_delay_alu instid0(SALU_CYCLE_1)
	s_or_b32 exec_lo, exec_lo, s1
	s_getpc_b64 s[0:1]
	s_add_u32 s0, s0, .str.1@rel32@lo+4
	s_addc_u32 s1, s1, .str.1@rel32@hi+12
	s_getpc_b64 s[2:3]
	s_add_u32 s2, s2, .str.1@rel32@lo+32
	s_addc_u32 s3, s3, .str.1@rel32@hi+40
	s_sub_i32 s4, s2, s0
	s_getpc_b64 s[2:3]
	s_add_u32 s2, s2, __ockl_fprintf_append_string_n@rel32@lo+4
	s_addc_u32 s3, s3, __ockl_fprintf_append_string_n@rel32@hi+12
	s_ashr_i32 s5, s4, 31
	s_waitcnt vmcnt(0)
	v_dual_mov_b32 v2, s0 :: v_dual_mov_b32 v3, s1
	v_dual_mov_b32 v4, s4 :: v_dual_mov_b32 v5, s5
	v_mov_b32_e32 v6, 1
	s_swappc_b64 s[30:31], s[2:3]
	s_trap 2
	s_sendmsg_rtn_b32 s0, sendmsg(MSG_RTN_GET_DOORBELL)
	s_mov_b32 ttmp2, m0
	s_waitcnt lgkmcnt(0)
	s_and_b32 s0, s0, 0x3ff
	s_delay_alu instid0(SALU_CYCLE_1) | instskip(NEXT) | instid1(SALU_CYCLE_1)
	s_bitset1_b32 s0, 10
	s_mov_b32 m0, s0
	s_sendmsg sendmsg(MSG_INTERRUPT)
	s_mov_b32 m0, ttmp2
.LBB1_392:                              ; =>This Inner Loop Header: Depth=1
	s_sethalt 5
	s_branch .LBB1_392
.Lfunc_end1:
	.size	__assert_fail, .Lfunc_end1-__assert_fail
                                        ; -- End function
	.section	.AMDGPU.csdata,"",@progbits
; Function info:
; codeLenInByte = 16148
; NumSgprs: 36
; NumVgprs: 41
; ScratchSize: 64
; MemoryBound: 0
	.text
	.p2align	2                               ; -- Begin function _ZN12_GLOBAL__N_17runRingI6__half10FuncMinMaxIS1_E11ProtoSimpleILi2ELi2ELi0ELi1ELi0ELi0EELi0ELi0ELi1ELi0EEEviiP15ncclDevWorkColl
	.type	_ZN12_GLOBAL__N_17runRingI6__half10FuncMinMaxIS1_E11ProtoSimpleILi2ELi2ELi0ELi1ELi0ELi0EELi0ELi0ELi1ELi0EEEviiP15ncclDevWorkColl,@function
_ZN12_GLOBAL__N_17runRingI6__half10FuncMinMaxIS1_E11ProtoSimpleILi2ELi2ELi0ELi1ELi0ELi0EELi0ELi0ELi1ELi0EEEviiP15ncclDevWorkColl: ; @_ZN12_GLOBAL__N_17runRingI6__half10FuncMinMaxIS1_E11ProtoSimpleILi2ELi2ELi0ELi1ELi0ELi0EELi0ELi0ELi1ELi0EEEviiP15ncclDevWorkColl
; %bb.0:
	s_waitcnt vmcnt(0) expcnt(0) lgkmcnt(0)
	s_mov_b32 s0, s33
	s_mov_b32 s33, s32
	s_or_saveexec_b32 s1, -1
	s_clause 0x1
	scratch_store_b32 off, v41, s33 offset:4
	; meta instruction
	scratch_store_b32 off, v42, s33 offset:8
	s_mov_b32 exec_lo, s1
	v_writelane_b32 v41, s0, 12
	s_add_i32 s32, s32, 16
	scratch_store_b32 off, v40, s33         ; 4-byte Folded Spill
	v_writelane_b32 v41, s34, 0
	v_writelane_b32 v41, s35, 1
	;; [unrolled: 1-line block ×12, first 2 shown]
	s_cbranch_execnz .LBB2_2160
; %bb.1:
	flat_load_b32 v7, v[2:3]
	ds_load_b32 v6, v0
	s_mov_b32 s0, exec_lo
                                        ; implicit-def: $vgpr14_vgpr15
                                        ; implicit-def: $vgpr16_vgpr17
                                        ; implicit-def: $vgpr4_vgpr5
	s_waitcnt lgkmcnt(0)
	v_readfirstlane_b32 s19, v6
	s_waitcnt vmcnt(0)
	v_and_b32_e32 v8, 0xff, v7
	s_delay_alu instid0(VALU_DEP_1)
	v_cmpx_ne_u32_e64 v8, v6
	s_xor_b32 s0, exec_lo, s0
	s_cbranch_execnz .LBB2_2162
; %bb.2:
	s_and_not1_saveexec_b32 s0, s0
	s_cbranch_execnz .LBB2_2167
.LBB2_3:
	s_or_b32 exec_lo, exec_lo, s0
	s_cbranch_execnz .LBB2_2168
.LBB2_4:
	ds_load_b64 v[6:7], v0
	s_mov_b32 s1, exec_lo
	s_waitcnt lgkmcnt(0)
	v_cmp_ne_u32_e32 vcc_lo, -1, v6
	v_cndmask_b32_e64 v15, 0, 1, vcc_lo
	v_cmp_ne_u32_e32 vcc_lo, -1, v7
	s_delay_alu instid0(VALU_DEP_2) | instskip(NEXT) | instid1(VALU_DEP_1)
	v_add_co_ci_u32_e64 v8, s0, 0, v15, vcc_lo
	v_lshlrev_b32_e32 v6, 1, v8
	s_delay_alu instid0(VALU_DEP_1)
	v_cmpx_le_i32_e64 v6, v1
	s_xor_b32 s18, exec_lo, s1
	s_cbranch_execz .LBB2_2413
; %bb.5:
	s_clause 0x3
	flat_load_b64 v[32:33], v[2:3] offset:104
	flat_load_b128 v[10:13], v[2:3] offset:16
	flat_load_u16 v7, v[2:3] offset:8
	flat_load_b32 v6, v[2:3] offset:4
	s_cbranch_execnz .LBB2_2170
; %bb.6:
	s_load_b32 s0, s[8:9], 0x0
	v_dual_mov_b32 v9, 0 :: v_dual_mov_b32 v30, 4
	s_waitcnt lgkmcnt(0)
	s_cmp_lt_u32 s12, s0
	s_cselect_b32 s0, 12, 18
	s_delay_alu instid0(SALU_CYCLE_1)
	s_add_u32 s0, s8, s0
	s_addc_u32 s1, s9, 0
	global_load_u16 v36, v9, s[0:1]
	ds_load_b32 v9, v0
	s_mov_b32 s1, exec_lo
	s_waitcnt lgkmcnt(0)
	v_readfirstlane_b32 s2, v9
	v_cmpx_ge_i32_e64 v0, v15
	s_cbranch_execz .LBB2_16
; %bb.7:
	v_cmp_le_u32_e64 s0, v8, v0
                                        ; implicit-def: $vgpr30
	s_delay_alu instid0(VALU_DEP_1) | instskip(NEXT) | instid1(SALU_CYCLE_1)
	s_and_saveexec_b32 s3, s0
	s_xor_b32 s0, exec_lo, s3
	s_cbranch_execz .LBB2_13
; %bb.8:
	v_cndmask_b32_e64 v9, 0, 1, vcc_lo
	s_mov_b32 s3, exec_lo
                                        ; implicit-def: $sgpr4
	s_delay_alu instid0(VALU_DEP_1) | instskip(NEXT) | instid1(VALU_DEP_1)
	v_sub_nc_u32_e32 v9, v1, v9
	v_cmpx_ge_u32_e64 v0, v9
	s_xor_b32 s3, exec_lo, s3
; %bb.9:
	s_mov_b32 s4, 16
                                        ; implicit-def: $vgpr8
; %bb.10:
	s_or_saveexec_b32 s3, s3
	v_mov_b32_e32 v30, s4
	s_xor_b32 exec_lo, exec_lo, s3
; %bb.11:
	v_sub_nc_u32_e32 v8, v1, v8
	s_delay_alu instid0(VALU_DEP_1) | instskip(SKIP_1) | instid1(VALU_DEP_1)
	v_cmp_ge_i32_e32 vcc_lo, v0, v8
	v_cndmask_b32_e64 v8, 0, 1, vcc_lo
	v_lshlrev_b32_e32 v30, 5, v8
; %bb.12:
	s_or_b32 exec_lo, exec_lo, s3
.LBB2_13:
	s_and_not1_saveexec_b32 s0, s0
; %bb.14:
	v_mov_b32_e32 v30, 8
; %bb.15:
	s_or_b32 exec_lo, exec_lo, s0
.LBB2_16:
	s_delay_alu instid0(SALU_CYCLE_1) | instskip(NEXT) | instid1(VALU_DEP_1)
	s_or_b32 exec_lo, exec_lo, s1
	v_and_b32_e32 v8, 36, v30
	s_delay_alu instid0(VALU_DEP_1)
	v_cmp_ne_u32_e32 vcc_lo, 0, v8
	v_mov_b32_e32 v8, -1
	s_and_saveexec_b32 s0, vcc_lo
	s_cbranch_execz .LBB2_19
; %bb.17:
	s_cbranch_execnz .LBB2_2172
; %bb.18:
	ds_load_b32 v8, v0
.LBB2_19:
	s_or_b32 exec_lo, exec_lo, s0
	v_and_b32_e32 v9, 24, v30
	s_mov_b32 s1, exec_lo
	s_delay_alu instid0(VALU_DEP_1)
	v_cmpx_ne_u32_e32 0, v9
	s_cbranch_execz .LBB2_22
; %bb.20:
	s_cbranch_execnz .LBB2_2174
; %bb.21:
	s_waitcnt lgkmcnt(0)
	ds_load_b32 v8, v0
.LBB2_22:
	s_or_b32 exec_lo, exec_lo, s1
	s_waitcnt vmcnt(1)
	v_lshrrev_b64 v[6:7], 31, v[6:7]
	v_mov_b32_e32 v20, 0
	v_mov_b32_e32 v21, 0
                                        ; implicit-def: $vgpr18_vgpr19
                                        ; implicit-def: $vgpr87
                                        ; implicit-def: $vgpr24_vgpr25
                                        ; implicit-def: $vgpr26_vgpr27
                                        ; implicit-def: $vgpr34_vgpr35
                                        ; implicit-def: $vgpr22_vgpr23
	s_delay_alu instid0(VALU_DEP_2) | instskip(NEXT) | instid1(VALU_DEP_2)
	v_dual_mov_b32 v6, v20 :: v_dual_and_b32 v37, 3, v6
	v_mov_b32_e32 v7, v21
	s_and_saveexec_b32 s0, vcc_lo
	s_cbranch_execz .LBB2_35
; %bb.23:
	s_cbranch_execnz .LBB2_2176
; %bb.24:
	ds_load_b64 v[6:7], v0
	s_waitcnt lgkmcnt(1)
	v_ashrrev_i32_e32 v9, 31, v8
	s_mov_b32 s1, exec_lo
	s_delay_alu instid0(VALU_DEP_1) | instskip(SKIP_2) | instid1(VALU_DEP_2)
	v_lshlrev_b64 v[18:19], 3, v[8:9]
	v_and_b32_e32 v9, 0xffff, v37
	s_waitcnt lgkmcnt(0)
	v_add_co_u32 v6, vcc_lo, v6, v18
	s_delay_alu instid0(VALU_DEP_3)
	v_add_co_ci_u32_e32 v7, vcc_lo, v7, v19, vcc_lo
	flat_load_b64 v[6:7], v[6:7]
	s_waitcnt vmcnt(0) lgkmcnt(0)
	v_mad_u64_u32 v[18:19], null, 0xa8, v9, v[6:7]
	flat_load_b32 v6, v[18:19] offset:640
	v_add_co_u32 v20, vcc_lo, 0x1f8, v18
	v_add_co_ci_u32_e32 v21, vcc_lo, 0, v19, vcc_lo
                                        ; implicit-def: $vgpr18_vgpr19
	s_waitcnt vmcnt(0) lgkmcnt(0)
	v_cmpx_eq_u32_e32 1, v6
	s_cbranch_execz .LBB2_27
; %bb.25:
	flat_load_b64 v[18:19], v[20:21] offset:144
	s_waitcnt vmcnt(0) lgkmcnt(0)
	flat_load_b64 v[6:7], v[18:19]
	s_cbranch_execnz .LBB2_2184
; %bb.26:
	s_waitcnt vmcnt(0) lgkmcnt(0)
	ds_store_b64 v0, v[6:7]
	flat_load_b64 v[6:7], v[18:19] offset:8
	v_or_b32_e32 v30, 0x2000, v30
	s_waitcnt vmcnt(0) lgkmcnt(0)
	ds_store_b64 v0, v[6:7]
	flat_load_b64 v[6:7], v[18:19] offset:16
	s_waitcnt vmcnt(0) lgkmcnt(0)
	ds_store_b64 v0, v[6:7]
.LBB2_27:
	s_or_b32 exec_lo, exec_lo, s1
	flat_load_b64 v[6:7], v[20:21] offset:104
	v_and_b32_e32 v9, 32, v30
	s_mov_b32 s1, exec_lo
                                        ; implicit-def: $vgpr22_vgpr23
	s_waitcnt vmcnt(0) lgkmcnt(0)
	v_add_co_u32 v6, vcc_lo, v6, 3
	v_add_co_ci_u32_e32 v25, vcc_lo, 0, v7, vcc_lo
	s_delay_alu instid0(VALU_DEP_2)
	v_and_b32_e32 v24, -4, v6
	v_cmpx_ne_u32_e32 0, v9
	s_cbranch_execz .LBB2_29
; %bb.28:
	flat_load_b64 v[22:23], v[20:21] offset:56
	s_waitcnt vmcnt(0) lgkmcnt(0)
	s_waitcnt_vscnt null, 0x0
	flat_store_b64 v[22:23], v[24:25]
.LBB2_29:
	s_or_b32 exec_lo, exec_lo, s1
	v_dual_mov_b32 v6, 0 :: v_dual_and_b32 v9, 4, v30
	v_mov_b32_e32 v7, 0
	s_mov_b32 s1, exec_lo
                                        ; implicit-def: $vgpr87
                                        ; implicit-def: $vgpr26_vgpr27
                                        ; implicit-def: $vgpr34_vgpr35
	s_delay_alu instid0(VALU_DEP_2)
	v_cmpx_ne_u32_e32 0, v9
	s_cbranch_execz .LBB2_34
; %bb.30:
	v_and_b32_e32 v6, 0x800, v30
	s_mov_b32 s3, exec_lo
	s_delay_alu instid0(VALU_DEP_1)
	v_cmpx_eq_u32_e32 0, v6
	s_cbranch_execz .LBB2_33
; %bb.31:
	s_cbranch_execnz .LBB2_2186
; %bb.32:
	ds_store_b64 v0, v[20:21]
.LBB2_33:
	s_or_b32 exec_lo, exec_lo, s3
	flat_load_b64 v[22:23], v[20:21] offset:48
	v_or_b32_e32 v28, 0x100, v30
	s_waitcnt vmcnt(0) lgkmcnt(0)
	flat_load_b64 v[34:35], v[22:23] glc
	s_clause 0x2
	flat_load_b32 v9, v[20:21] offset:72
	flat_load_b64 v[6:7], v[20:21] offset:96
	flat_load_b64 v[26:27], v[20:21] offset:16
	s_waitcnt vmcnt(2) lgkmcnt(2)
	v_ashrrev_i32_e32 v87, 1, v9
	s_waitcnt vmcnt(1) lgkmcnt(1)
	v_cmp_eq_u64_e32 vcc_lo, 0, v[6:7]
	v_cndmask_b32_e32 v30, v28, v30, vcc_lo
.LBB2_34:
	s_or_b32 exec_lo, exec_lo, s1
.LBB2_35:
	s_delay_alu instid0(SALU_CYCLE_1) | instskip(NEXT) | instid1(VALU_DEP_1)
	s_or_b32 exec_lo, exec_lo, s0
	v_and_b32_e32 v9, 24, v30
	s_mov_b32 s0, exec_lo
                                        ; implicit-def: $vgpr28_vgpr29
	s_delay_alu instid0(VALU_DEP_1)
	v_cmpx_ne_u32_e32 0, v9
	s_cbranch_execz .LBB2_45
; %bb.36:
	s_cbranch_execnz .LBB2_2178
; %bb.37:
	ds_load_b64 v[6:7], v0
	s_waitcnt lgkmcnt(1)
	v_ashrrev_i32_e32 v9, 31, v8
	v_or_b32_e32 v24, 0x100, v30
	s_mov_b32 s1, exec_lo
                                        ; implicit-def: $vgpr28_vgpr29
	s_delay_alu instid0(VALU_DEP_2) | instskip(SKIP_1) | instid1(VALU_DEP_1)
	v_lshlrev_b64 v[8:9], 3, v[8:9]
	s_waitcnt lgkmcnt(0)
	v_add_co_u32 v6, vcc_lo, v6, v8
	s_delay_alu instid0(VALU_DEP_2)
	v_add_co_ci_u32_e32 v7, vcc_lo, v7, v9, vcc_lo
	v_and_b32_e32 v8, 0xffff, v37
	flat_load_b64 v[6:7], v[6:7]
	s_waitcnt vmcnt(0) lgkmcnt(0)
	v_mad_u64_u32 v[20:21], null, 0xa8, v8, v[6:7]
	flat_load_b128 v[6:9], v[20:21] offset:96
	s_waitcnt vmcnt(0) lgkmcnt(0)
	v_cmp_eq_u64_e32 vcc_lo, 0, v[6:7]
	v_cndmask_b32_e32 v30, v24, v30, vcc_lo
	s_delay_alu instid0(VALU_DEP_1) | instskip(NEXT) | instid1(VALU_DEP_1)
	v_and_b32_e32 v24, 16, v30
	v_cmpx_ne_u32_e32 0, v24
; %bb.38:
	s_clause 0x2
	flat_load_b64 v[28:29], v[20:21] offset:120
	flat_load_b64 v[22:23], v[20:21] offset:48
	;; [unrolled: 1-line block ×3, first 2 shown]
; %bb.39:
	s_or_b32 exec_lo, exec_lo, s1
	v_and_b32_e32 v24, 8, v30
	s_mov_b32 s1, exec_lo
	s_delay_alu instid0(VALU_DEP_1)
	v_cmpx_ne_u32_e32 0, v24
	s_cbranch_execz .LBB2_44
; %bb.40:
	s_waitcnt vmcnt(1) lgkmcnt(1)
	v_and_b32_e32 v22, 0x800, v30
	s_mov_b32 s3, exec_lo
	s_delay_alu instid0(VALU_DEP_1)
	v_cmpx_eq_u32_e32 0, v22
	s_cbranch_execz .LBB2_43
; %bb.41:
	s_cbranch_execnz .LBB2_2188
; %bb.42:
	ds_store_b64 v0, v[20:21]
.LBB2_43:
	s_or_b32 exec_lo, exec_lo, s3
	flat_load_b64 v[22:23], v[20:21] offset:56
	s_waitcnt vmcnt(0) lgkmcnt(0)
	flat_load_b64 v[34:35], v[22:23] glc
	s_clause 0x1
	flat_load_b32 v24, v[20:21] offset:72
	flat_load_b64 v[26:27], v[20:21] offset:16
	s_waitcnt vmcnt(1) lgkmcnt(1)
	v_ashrrev_i32_e32 v87, 1, v24
.LBB2_44:
	s_or_b32 exec_lo, exec_lo, s1
	v_add_co_u32 v8, vcc_lo, v8, 3
	v_add_co_ci_u32_e32 v25, vcc_lo, 0, v9, vcc_lo
	s_delay_alu instid0(VALU_DEP_2)
	v_and_b32_e32 v24, -4, v8
.LBB2_45:
	s_or_b32 exec_lo, exec_lo, s0
	v_cmp_eq_u32_e64 s0, 0, v0
	s_delay_alu instid0(VALU_DEP_1)
	s_and_saveexec_b32 s1, s0
	s_cbranch_execz .LBB2_48
; %bb.46:
	s_waitcnt lgkmcnt(0)
	flat_load_b64 v[8:9], v[2:3] offset:32
	ds_store_2addr_b64 v0, v[12:13], v[10:11] offset1:1
	s_cbranch_execnz .LBB2_2180
; %bb.47:
	s_waitcnt vmcnt(0) lgkmcnt(1)
	ds_store_b64 v0, v[8:9]
	ds_store_b64 v0, v[32:33]
.LBB2_48:
	s_or_b32 exec_lo, exec_lo, s1
	v_mov_b32_e32 v32, 0
	s_waitcnt vmcnt(0)
	v_dual_mov_b32 v33, 0 :: v_dual_and_b32 v86, 0xffff, v36
	s_mov_b32 s20, exec_lo
	v_cmpx_lt_i64_e32 0, v[4:5]
	s_cbranch_execz .LBB2_2154
; %bb.49:
	s_waitcnt lgkmcnt(0)
	flat_load_b32 v8, v[2:3] offset:4
	v_dual_mov_b32 v3, 0 :: v_dual_and_b32 v2, 31, v31
	s_ashr_i32 s21, s19, 31
	s_add_u32 s22, s19, -1
	s_addc_u32 s23, s21, -1
	s_not_b32 s3, s19
	v_cmp_ge_i32_e32 vcc_lo, v0, v1
	v_cmp_eq_u32_e64 s1, 0, v2
	s_cmp_gt_i32 s19, 0
	s_cselect_b32 s26, s3, -1
	s_cbranch_execnz .LBB2_2182
; %bb.50:
	v_ashrrev_i32_e32 v9, 31, v0
	v_lshrrev_b32_e32 v99, 5, v1
	v_and_b32_e32 v2, 0x1fffff00, v14
	s_mov_b32 s3, 0
                                        ; implicit-def: $vgpr42 : SGPR spill to VGPR lane
	s_add_i32 s25, s19, s19
	v_lshrrev_b32_e32 v9, 27, v9
	v_lshlrev_b32_e32 v113, 6, v99
	v_writelane_b32 v42, s3, 0
	s_ashr_i32 s3, s2, 31
	s_add_i32 s26, s26, s25
	v_dual_mov_b32 v48, 0 :: v_dual_add_nc_u32 v9, v0, v9
	v_dual_mov_b32 v49, 0 :: v_dual_lshlrev_b32 v100, 9, v99
	s_delay_alu instid0(VALU_DEP_2) | instskip(SKIP_2) | instid1(VALU_DEP_4)
	v_dual_mov_b32 v51, v3 :: v_dual_and_b32 v10, 0xffffffe0, v9
	v_mov_b32_e32 v133, 1
	v_ashrrev_i32_e32 v97, 5, v9
	v_dual_mov_b32 v32, v48 :: v_dual_add_nc_u32 v101, 0xfffffe00, v100
	s_delay_alu instid0(VALU_DEP_4) | instskip(NEXT) | instid1(VALU_DEP_3)
	v_sub_nc_u32_e32 v98, v0, v10
	v_dual_mov_b32 v50, v2 :: v_dual_lshlrev_b32 v9, 10, v97
	s_delay_alu instid0(VALU_DEP_3)
	v_ashrrev_i32_e32 v112, 31, v101
	v_subrev_nc_u32_e32 v116, 64, v113
	s_lshr_b32 s3, s3, 29
	s_waitcnt vmcnt(0) lgkmcnt(0)
	v_dual_mov_b32 v33, v49 :: v_dual_and_b32 v8, 1, v8
	v_lshl_add_u32 v38, v98, 4, v9
	v_lshl_add_u32 v9, v99, 10, 0xfffffc00
	s_add_i32 s2, s2, s3
	v_ashrrev_i32_e32 v119, 31, v116
	s_ashr_i32 s3, s2, 31
	s_ashr_i32 s2, s2, 4
	v_ashrrev_i32_e32 v10, 31, v9
	v_add_co_u32 v102, s7, 0x400, v9
	v_lshl_add_u32 v9, v99, 8, 0xffffff00
	s_lshr_b32 s3, s3, 28
	s_delay_alu instid0(VALU_DEP_3) | instskip(SKIP_1) | instid1(VALU_DEP_3)
	v_add_co_ci_u32_e64 v103, s7, 0, v10, s7
	v_add_co_u32 v114, s7, 0x200, v101
	v_ashrrev_i32_e32 v10, 31, v9
	v_add_co_ci_u32_e64 v115, s7, 0, v112, s7
	v_add_co_u32 v117, s7, 0x100, v9
	s_delay_alu instid0(VALU_DEP_1)
	v_add_co_ci_u32_e64 v118, s7, 0, v10, s7
	v_add_co_u32 v128, s7, v116, 64
	s_add_i32 s2, s2, s3
	v_add_co_ci_u32_e64 v129, s7, 0, v119, s7
	v_cmp_eq_u32_e64 s7, 1, v8
	s_ashr_i32 s27, s26, 31
	s_ashr_i32 s28, s2, 4
	s_cmp_gt_i32 s19, 2
	v_lshlrev_b32_e32 v130, 4, v0
	s_cselect_b32 s29, -1, 0
	s_add_i32 s13, s19, 1
	s_xor_b32 s6, s7, -1
	v_mad_i64_i32 v[36:37], null, v2, s19, 0
	s_cmp_le_i32 s19, s13
	v_cmp_eq_u64_e64 s10, 0, v[28:29]
	v_cmp_ne_u64_e64 s11, 0, v[28:29]
	s_cselect_b32 s14, s19, 0
	v_ashrrev_i32_e32 v96, 31, v87
	v_cmp_eq_u32_e64 s2, 32, v1
	v_cmp_ne_u32_e64 s3, 32, v1
	v_cmp_ne_u32_e64 s4, v86, v1
	v_cmp_gt_i32_e64 s5, 1, v98
	v_cmp_lt_i32_e64 vcc_hi, v98, v15
	v_ashrrev_i32_e32 v39, 31, v38
	v_cmp_le_i32_e64 s12, v98, v15
	v_sub_nc_u32_e32 v131, 0, v97
	v_ashrrev_i32_e32 v132, 31, v130
	s_sub_i32 s14, s13, s14
	s_add_i32 s34, s19, -2
	s_ashr_i32 s31, s14, 31
	s_xor_b32 s16, vcc_lo, -1
	s_sub_i32 s35, 0, s19
	v_writelane_b32 v42, s6, 1
.LBB2_51:                               ; =>This Loop Header: Depth=1
                                        ;     Child Loop BB2_59 Depth 2
                                        ;       Child Loop BB2_68 Depth 3
                                        ;       Child Loop BB2_97 Depth 3
	;; [unrolled: 1-line block ×9, first 2 shown]
                                        ;     Child Loop BB2_225 Depth 2
                                        ;       Child Loop BB2_231 Depth 3
                                        ;       Child Loop BB2_260 Depth 3
	;; [unrolled: 1-line block ×3, first 2 shown]
                                        ;     Child Loop BB2_308 Depth 2
                                        ;       Child Loop BB2_310 Depth 3
                                        ;         Child Loop BB2_319 Depth 4
                                        ;         Child Loop BB2_349 Depth 4
	;; [unrolled: 1-line block ×9, first 2 shown]
                                        ;       Child Loop BB2_730 Depth 3
                                        ;         Child Loop BB2_736 Depth 4
                                        ;         Child Loop BB2_768 Depth 4
	;; [unrolled: 1-line block ×3, first 2 shown]
                                        ;     Child Loop BB2_817 Depth 2
                                        ;       Child Loop BB2_826 Depth 3
                                        ;       Child Loop BB2_856 Depth 3
	;; [unrolled: 1-line block ×4, first 2 shown]
                                        ;         Child Loop BB2_1001 Depth 4
                                        ;       Child Loop BB2_1008 Depth 3
                                        ;         Child Loop BB2_1105 Depth 4
                                        ;       Child Loop BB2_1119 Depth 3
                                        ;       Child Loop BB2_1170 Depth 3
                                        ;         Child Loop BB2_1183 Depth 4
                                        ;       Child Loop BB2_1200 Depth 3
                                        ;       Child Loop BB2_1302 Depth 3
	;; [unrolled: 1-line block ×6, first 2 shown]
                                        ;     Child Loop BB2_1530 Depth 2
                                        ;       Child Loop BB2_1536 Depth 3
                                        ;       Child Loop BB2_1566 Depth 3
	;; [unrolled: 1-line block ×3, first 2 shown]
                                        ;     Child Loop BB2_1614 Depth 2
                                        ;       Child Loop BB2_1616 Depth 3
                                        ;         Child Loop BB2_1625 Depth 4
                                        ;         Child Loop BB2_1655 Depth 4
	;; [unrolled: 1-line block ×4, first 2 shown]
                                        ;           Child Loop BB2_1704 Depth 5
                                        ;         Child Loop BB2_1711 Depth 4
                                        ;           Child Loop BB2_1712 Depth 5
                                        ;         Child Loop BB2_1723 Depth 4
                                        ;         Child Loop BB2_1729 Depth 4
                                        ;           Child Loop BB2_1730 Depth 5
                                        ;         Child Loop BB2_1744 Depth 4
                                        ;         Child Loop BB2_1750 Depth 4
	;; [unrolled: 1-line block ×6, first 2 shown]
                                        ;       Child Loop BB2_1825 Depth 3
                                        ;         Child Loop BB2_1831 Depth 4
                                        ;         Child Loop BB2_1863 Depth 4
	;; [unrolled: 1-line block ×3, first 2 shown]
                                        ;     Child Loop BB2_1913 Depth 2
                                        ;       Child Loop BB2_1922 Depth 3
                                        ;       Child Loop BB2_1949 Depth 3
	;; [unrolled: 1-line block ×9, first 2 shown]
                                        ;     Child Loop BB2_2075 Depth 2
                                        ;       Child Loop BB2_2081 Depth 3
                                        ;       Child Loop BB2_2108 Depth 3
	;; [unrolled: 1-line block ×3, first 2 shown]
	v_sub_co_u32 v52, vcc_lo, v4, v48
	v_sub_co_ci_u32_e32 v53, vcc_lo, v5, v49, vcc_lo
	s_mov_b32 s30, exec_lo
	s_delay_alu instid0(VALU_DEP_1)
	v_cmpx_lt_i64_e64 v[52:53], v[36:37]
	s_cbranch_execz .LBB2_57
; %bb.52:                               ;   in Loop: Header=BB2_51 Depth=1
	v_add_co_u32 v2, vcc_lo, s22, v52
	v_add_co_ci_u32_e32 v10, vcc_lo, s23, v53, vcc_lo
	v_mov_b32_e32 v8, v3
	s_delay_alu instid0(VALU_DEP_2) | instskip(NEXT) | instid1(VALU_DEP_1)
	v_or_b32_e32 v9, s21, v10
	v_cmp_ne_u64_e32 vcc_lo, 0, v[8:9]
                                        ; implicit-def: $vgpr8_vgpr9
	s_and_saveexec_b32 s13, vcc_lo
	s_delay_alu instid0(SALU_CYCLE_1)
	s_xor_b32 s36, exec_lo, s13
	s_cbranch_execz .LBB2_54
; %bb.53:                               ;   in Loop: Header=BB2_51 Depth=1
	s_mov_b32 s24, s27
	s_mov_b32 s27, s3
	;; [unrolled: 1-line block ×9, first 2 shown]
	s_add_u32 s16, s19, s21
	s_mov_b32 s37, s14
	s_mov_b32 s14, s21
	;; [unrolled: 1-line block ×3, first 2 shown]
	s_addc_u32 s17, s21, s21
	s_delay_alu instid0(SALU_CYCLE_1) | instskip(NEXT) | instid1(SALU_CYCLE_1)
	s_xor_b64 s[16:17], s[16:17], s[14:15]
	v_cvt_f32_u32_e32 v8, s16
	v_cvt_f32_u32_e32 v9, s17
	s_sub_u32 s13, 0, s16
	s_subb_u32 s38, 0, s17
	s_delay_alu instid0(VALU_DEP_1) | instskip(NEXT) | instid1(VALU_DEP_1)
	v_fmac_f32_e32 v8, 0x4f800000, v9
	v_rcp_f32_e32 v8, v8
	s_waitcnt_depctr 0xfff
	v_mul_f32_e32 v8, 0x5f7ffffc, v8
	s_delay_alu instid0(VALU_DEP_1) | instskip(NEXT) | instid1(VALU_DEP_1)
	v_mul_f32_e32 v9, 0x2f800000, v8
	v_trunc_f32_e32 v9, v9
	s_delay_alu instid0(VALU_DEP_1) | instskip(SKIP_1) | instid1(VALU_DEP_2)
	v_fmac_f32_e32 v8, 0xcf800000, v9
	v_cvt_u32_f32_e32 v9, v9
	v_cvt_u32_f32_e32 v8, v8
	s_delay_alu instid0(VALU_DEP_2) | instskip(NEXT) | instid1(VALU_DEP_2)
	v_mul_lo_u32 v11, s13, v9
	v_mul_hi_u32 v12, s13, v8
	v_mul_lo_u32 v13, s38, v8
	s_delay_alu instid0(VALU_DEP_2) | instskip(SKIP_1) | instid1(VALU_DEP_2)
	v_add_nc_u32_e32 v11, v12, v11
	v_mul_lo_u32 v12, s13, v8
	v_add_nc_u32_e32 v11, v11, v13
	s_delay_alu instid0(VALU_DEP_2) | instskip(NEXT) | instid1(VALU_DEP_2)
	v_mul_hi_u32 v13, v8, v12
	v_mul_lo_u32 v14, v8, v11
	v_mul_hi_u32 v15, v8, v11
	v_mul_hi_u32 v50, v9, v12
	v_mul_lo_u32 v12, v9, v12
	v_mul_hi_u32 v51, v9, v11
	v_mul_lo_u32 v11, v9, v11
	v_add_co_u32 v13, vcc_lo, v13, v14
	v_add_co_ci_u32_e32 v14, vcc_lo, 0, v15, vcc_lo
	s_delay_alu instid0(VALU_DEP_2) | instskip(NEXT) | instid1(VALU_DEP_2)
	v_add_co_u32 v12, vcc_lo, v13, v12
	v_add_co_ci_u32_e32 v12, vcc_lo, v14, v50, vcc_lo
	v_add_co_ci_u32_e32 v13, vcc_lo, 0, v51, vcc_lo
	v_ashrrev_i32_e32 v50, 31, v10
	s_delay_alu instid0(VALU_DEP_3) | instskip(NEXT) | instid1(VALU_DEP_3)
	v_add_co_u32 v11, vcc_lo, v12, v11
	v_add_co_ci_u32_e32 v12, vcc_lo, 0, v13, vcc_lo
	s_delay_alu instid0(VALU_DEP_2) | instskip(NEXT) | instid1(VALU_DEP_2)
	v_add_co_u32 v8, vcc_lo, v8, v11
	v_add_co_ci_u32_e32 v9, vcc_lo, v9, v12, vcc_lo
	s_delay_alu instid0(VALU_DEP_2) | instskip(SKIP_1) | instid1(VALU_DEP_3)
	v_mul_hi_u32 v11, s13, v8
	v_mul_lo_u32 v13, s38, v8
	v_mul_lo_u32 v12, s13, v9
	s_delay_alu instid0(VALU_DEP_1) | instskip(SKIP_1) | instid1(VALU_DEP_2)
	v_add_nc_u32_e32 v11, v11, v12
	v_mul_lo_u32 v12, s13, v8
	v_add_nc_u32_e32 v11, v11, v13
	s_delay_alu instid0(VALU_DEP_2) | instskip(NEXT) | instid1(VALU_DEP_2)
	v_mul_hi_u32 v13, v8, v12
	v_mul_lo_u32 v14, v8, v11
	v_mul_hi_u32 v15, v8, v11
	v_mul_hi_u32 v51, v9, v12
	v_mul_lo_u32 v12, v9, v12
	v_mul_hi_u32 v54, v9, v11
	v_mul_lo_u32 v11, v9, v11
	v_add_co_u32 v13, vcc_lo, v13, v14
	v_add_co_ci_u32_e32 v14, vcc_lo, 0, v15, vcc_lo
	s_delay_alu instid0(VALU_DEP_2) | instskip(NEXT) | instid1(VALU_DEP_2)
	v_add_co_u32 v12, vcc_lo, v13, v12
	v_add_co_ci_u32_e32 v12, vcc_lo, v14, v51, vcc_lo
	v_add_co_ci_u32_e32 v13, vcc_lo, 0, v54, vcc_lo
	v_add_co_u32 v2, vcc_lo, v2, v50
	v_add_co_ci_u32_e32 v10, vcc_lo, v10, v50, vcc_lo
	s_delay_alu instid0(VALU_DEP_4) | instskip(NEXT) | instid1(VALU_DEP_4)
	v_add_co_u32 v11, vcc_lo, v12, v11
	v_add_co_ci_u32_e32 v12, vcc_lo, 0, v13, vcc_lo
	s_delay_alu instid0(VALU_DEP_4) | instskip(NEXT) | instid1(VALU_DEP_3)
	v_xor_b32_e32 v2, v2, v50
	v_add_co_u32 v13, vcc_lo, v8, v11
	s_delay_alu instid0(VALU_DEP_3) | instskip(SKIP_1) | instid1(VALU_DEP_3)
	v_add_co_ci_u32_e32 v14, vcc_lo, v9, v12, vcc_lo
	v_xor_b32_e32 v15, v10, v50
	v_mul_hi_u32 v51, v2, v13
	s_delay_alu instid0(VALU_DEP_3) | instskip(NEXT) | instid1(VALU_DEP_3)
	v_mad_u64_u32 v[8:9], null, v2, v14, 0
	v_mad_u64_u32 v[10:11], null, v15, v13, 0
	;; [unrolled: 1-line block ×3, first 2 shown]
	s_delay_alu instid0(VALU_DEP_3) | instskip(NEXT) | instid1(VALU_DEP_4)
	v_add_co_u32 v8, vcc_lo, v51, v8
	v_add_co_ci_u32_e32 v9, vcc_lo, 0, v9, vcc_lo
	s_delay_alu instid0(VALU_DEP_2) | instskip(NEXT) | instid1(VALU_DEP_2)
	v_add_co_u32 v8, vcc_lo, v8, v10
	v_add_co_ci_u32_e32 v8, vcc_lo, v9, v11, vcc_lo
	v_add_co_ci_u32_e32 v9, vcc_lo, 0, v13, vcc_lo
	s_delay_alu instid0(VALU_DEP_2) | instskip(NEXT) | instid1(VALU_DEP_2)
	v_add_co_u32 v10, vcc_lo, v8, v12
	v_add_co_ci_u32_e32 v11, vcc_lo, 0, v9, vcc_lo
	s_delay_alu instid0(VALU_DEP_2) | instskip(SKIP_1) | instid1(VALU_DEP_3)
	v_mul_lo_u32 v12, s17, v10
	v_mad_u64_u32 v[8:9], null, s16, v10, 0
	v_mul_lo_u32 v13, s16, v11
	s_delay_alu instid0(VALU_DEP_2) | instskip(NEXT) | instid1(VALU_DEP_2)
	v_sub_co_u32 v2, vcc_lo, v2, v8
	v_add3_u32 v9, v9, v13, v12
	s_delay_alu instid0(VALU_DEP_1) | instskip(NEXT) | instid1(VALU_DEP_1)
	v_sub_nc_u32_e32 v12, v15, v9
	v_subrev_co_ci_u32_e64 v8, s13, s17, v12, vcc_lo
	v_add_co_u32 v12, s13, v10, 2
	s_delay_alu instid0(VALU_DEP_1) | instskip(SKIP_3) | instid1(VALU_DEP_3)
	v_add_co_ci_u32_e64 v13, s13, 0, v11, s13
	v_sub_co_u32 v14, s13, v2, s16
	v_sub_co_ci_u32_e32 v9, vcc_lo, v15, v9, vcc_lo
	v_subrev_co_ci_u32_e64 v8, s13, 0, v8, s13
	v_cmp_le_u32_e32 vcc_lo, s16, v14
	s_delay_alu instid0(VALU_DEP_3) | instskip(SKIP_1) | instid1(VALU_DEP_4)
	v_cmp_eq_u32_e64 s13, s17, v9
	v_cndmask_b32_e64 v14, 0, -1, vcc_lo
	v_cmp_le_u32_e32 vcc_lo, s17, v8
	v_cndmask_b32_e64 v15, 0, -1, vcc_lo
	v_cmp_le_u32_e32 vcc_lo, s16, v2
	s_mov_b32 s16, s12
	s_mov_b32 s12, s5
	;; [unrolled: 1-line block ×4, first 2 shown]
	v_cndmask_b32_e64 v2, 0, -1, vcc_lo
	v_cmp_le_u32_e32 vcc_lo, s17, v9
	s_mov_b32 s2, s29
	s_mov_b32 s29, s4
	;; [unrolled: 1-line block ×4, first 2 shown]
	v_cndmask_b32_e64 v51, 0, -1, vcc_lo
	v_cmp_eq_u32_e32 vcc_lo, s17, v8
	s_mov_b32 s27, s24
	s_delay_alu instid0(VALU_DEP_2) | instskip(SKIP_3) | instid1(VALU_DEP_3)
	v_cndmask_b32_e64 v2, v51, v2, s13
	v_cndmask_b32_e32 v8, v15, v14, vcc_lo
	v_add_co_u32 v14, vcc_lo, v10, 1
	v_add_co_ci_u32_e32 v15, vcc_lo, 0, v11, vcc_lo
	v_cmp_ne_u32_e32 vcc_lo, 0, v8
	s_delay_alu instid0(VALU_DEP_2) | instskip(SKIP_3) | instid1(VALU_DEP_3)
	v_dual_cndmask_b32 v8, v15, v13 :: v_dual_cndmask_b32 v9, v14, v12
	v_cmp_ne_u32_e32 vcc_lo, 0, v2
	v_xor_b32_e32 v2, s14, v50
	s_mov_b32 s14, s37
	v_dual_cndmask_b32 v8, v11, v8 :: v_dual_cndmask_b32 v9, v10, v9
	v_xor_b32_e32 v10, s15, v50
	s_delay_alu instid0(VALU_DEP_2) | instskip(NEXT) | instid1(VALU_DEP_2)
	v_xor_b32_e32 v9, v9, v2
	v_xor_b32_e32 v11, v8, v10
	s_delay_alu instid0(VALU_DEP_2) | instskip(NEXT) | instid1(VALU_DEP_2)
	v_sub_co_u32 v8, vcc_lo, v9, v2
	v_sub_co_ci_u32_e32 v9, vcc_lo, v11, v10, vcc_lo
                                        ; implicit-def: $vgpr2
.LBB2_54:                               ;   in Loop: Header=BB2_51 Depth=1
	s_and_not1_saveexec_b32 s13, s36
	s_cbranch_execz .LBB2_56
; %bb.55:                               ;   in Loop: Header=BB2_51 Depth=1
	v_cvt_f32_u32_e32 v8, s19
	s_delay_alu instid0(VALU_DEP_1) | instskip(SKIP_2) | instid1(VALU_DEP_1)
	v_rcp_iflag_f32_e32 v8, v8
	s_waitcnt_depctr 0xfff
	v_mul_f32_e32 v8, 0x4f7ffffe, v8
	v_cvt_u32_f32_e32 v8, v8
	s_delay_alu instid0(VALU_DEP_1) | instskip(NEXT) | instid1(VALU_DEP_1)
	v_mul_lo_u32 v9, s35, v8
	v_mul_hi_u32 v9, v8, v9
	s_delay_alu instid0(VALU_DEP_1) | instskip(NEXT) | instid1(VALU_DEP_1)
	v_add_nc_u32_e32 v8, v8, v9
	v_mul_hi_u32 v8, v2, v8
	s_delay_alu instid0(VALU_DEP_1) | instskip(NEXT) | instid1(VALU_DEP_1)
	v_mul_lo_u32 v9, v8, s19
	v_sub_nc_u32_e32 v2, v2, v9
	s_delay_alu instid0(VALU_DEP_1) | instskip(SKIP_1) | instid1(VALU_DEP_2)
	v_subrev_nc_u32_e32 v10, s19, v2
	v_cmp_le_u32_e32 vcc_lo, s19, v2
	v_dual_cndmask_b32 v2, v2, v10 :: v_dual_add_nc_u32 v9, 1, v8
	s_delay_alu instid0(VALU_DEP_1) | instskip(NEXT) | instid1(VALU_DEP_2)
	v_cndmask_b32_e32 v8, v8, v9, vcc_lo
	v_cmp_le_u32_e32 vcc_lo, s19, v2
	s_delay_alu instid0(VALU_DEP_2) | instskip(NEXT) | instid1(VALU_DEP_1)
	v_add_nc_u32_e32 v9, 1, v8
	v_cndmask_b32_e32 v2, v8, v9, vcc_lo
	s_delay_alu instid0(VALU_DEP_1)
	v_dual_mov_b32 v9, v3 :: v_dual_mov_b32 v8, v2
.LBB2_56:                               ;   in Loop: Header=BB2_51 Depth=1
	s_or_b32 exec_lo, exec_lo, s13
	s_delay_alu instid0(VALU_DEP_1) | instskip(NEXT) | instid1(VALU_DEP_2)
	v_add_co_u32 v2, vcc_lo, v8, 7
	v_add_co_ci_u32_e32 v51, vcc_lo, 0, v9, vcc_lo
	s_delay_alu instid0(VALU_DEP_2)
	v_and_b32_e32 v50, -8, v2
.LBB2_57:                               ;   in Loop: Header=BB2_51 Depth=1
	s_or_b32 exec_lo, exec_lo, s30
	s_delay_alu instid0(VALU_DEP_2) | instskip(NEXT) | instid1(VALU_DEP_2)
	v_mul_lo_u32 v2, v51, s26
	v_mul_lo_u32 v8, v50, s27
	v_mad_u64_u32 v[11:12], null, v50, s26, 0
	v_mov_b32_e32 v10, 0
	s_mov_b32 s17, 0
	s_delay_alu instid0(VALU_DEP_2) | instskip(NEXT) | instid1(VALU_DEP_3)
	v_add3_u32 v12, v12, v8, v2
	v_sub_co_u32 v8, vcc_lo, v52, v11
	s_delay_alu instid0(VALU_DEP_2) | instskip(NEXT) | instid1(VALU_DEP_1)
	v_sub_co_ci_u32_e32 v9, vcc_lo, v53, v12, vcc_lo
	v_cmp_lt_i64_e32 vcc_lo, v[50:51], v[8:9]
	v_cndmask_b32_e32 v8, v8, v50, vcc_lo
	v_add_co_u32 v54, vcc_lo, v48, v16
	v_add_co_ci_u32_e32 v55, vcc_lo, v49, v17, vcc_lo
	s_delay_alu instid0(VALU_DEP_3) | instskip(SKIP_1) | instid1(VALU_DEP_2)
	v_max_i32_e32 v68, 0, v8
	v_cmp_lt_i32_e32 vcc_lo, 0, v8
	v_add_nc_u32_e32 v2, 31, v68
	s_and_b32 s6, s16, vcc_lo
	s_delay_alu instid0(VALU_DEP_1) | instskip(NEXT) | instid1(VALU_DEP_1)
	v_lshrrev_b32_e32 v2, 1, v2
	v_dual_mov_b32 v2, 0 :: v_dual_and_b32 v9, 0x3ffffff0, v2
	s_delay_alu instid0(VALU_DEP_1)
	v_max_i32_e32 v8, s28, v9
	s_and_saveexec_b32 s15, s6
	s_cbranch_execz .LBB2_223
; %bb.58:                               ;   in Loop: Header=BB2_51 Depth=1
	v_lshlrev_b64 v[12:13], 1, v[11:12]
	v_mov_b32_e32 v10, 0
	s_mov_b32 s36, 1
	s_mov_b32 s30, -1
.LBB2_59:                               ;   Parent Loop BB2_51 Depth=1
                                        ; =>  This Loop Header: Depth=2
                                        ;       Child Loop BB2_68 Depth 3
                                        ;       Child Loop BB2_97 Depth 3
	;; [unrolled: 1-line block ×9, first 2 shown]
	s_and_saveexec_b32 s6, s0
	s_cbranch_execz .LBB2_62
; %bb.60:                               ;   in Loop: Header=BB2_59 Depth=2
	s_cbranch_execnz .LBB2_2205
; %bb.61:                               ;   in Loop: Header=BB2_59 Depth=2
	ds_load_b64 v[14:15], v0
	v_lshlrev_b64 v[64:65], 1, v[54:55]
	v_ashrrev_i32_e32 v11, 31, v10
	s_waitcnt lgkmcnt(0)
	s_delay_alu instid0(VALU_DEP_2) | instskip(NEXT) | instid1(VALU_DEP_3)
	v_add_co_u32 v2, vcc_lo, v14, v64
	v_add_co_ci_u32_e32 v9, vcc_lo, v15, v65, vcc_lo
	s_delay_alu instid0(VALU_DEP_3) | instskip(NEXT) | instid1(VALU_DEP_3)
	v_lshlrev_b64 v[14:15], 1, v[10:11]
	v_add_co_u32 v2, vcc_lo, v2, v12
	s_delay_alu instid0(VALU_DEP_3) | instskip(NEXT) | instid1(VALU_DEP_2)
	v_add_co_ci_u32_e32 v9, vcc_lo, v9, v13, vcc_lo
	v_add_co_u32 v14, vcc_lo, v2, v14
	s_delay_alu instid0(VALU_DEP_2)
	v_add_co_ci_u32_e32 v15, vcc_lo, v9, v15, vcc_lo
	v_mov_b32_e32 v2, v3
	ds_store_b64 v0, v[14:15]
	ds_store_b64 v0, v[2:3]
.LBB2_62:                               ;   in Loop: Header=BB2_59 Depth=2
	s_or_b32 exec_lo, exec_lo, s6
	v_and_b32_e32 v2, 8, v30
	s_mov_b32 s13, -1
	s_mov_b32 s6, exec_lo
	s_delay_alu instid0(VALU_DEP_1)
	v_cmpx_ne_u32_e32 0, v2
	s_cbranch_execz .LBB2_76
; %bb.63:                               ;   in Loop: Header=BB2_59 Depth=2
	v_add_co_u32 v64, vcc_lo, v34, 8
	v_add_co_ci_u32_e32 v65, vcc_lo, 0, v35, vcc_lo
	v_add_co_u32 v14, vcc_lo, v24, 2
	v_add_co_ci_u32_e32 v15, vcc_lo, 0, v25, vcc_lo
	v_mov_b32_e32 v2, 1
	s_mov_b32 s13, exec_lo
	s_delay_alu instid0(VALU_DEP_2)
	v_cmpx_lt_u64_e64 v[64:65], v[14:15]
	s_cbranch_execz .LBB2_75
; %bb.64:                               ;   in Loop: Header=BB2_59 Depth=2
	v_mov_b32_e32 v2, 0
	s_mov_b32 s24, 0
                                        ; implicit-def: $sgpr37
	s_branch .LBB2_68
.LBB2_65:                               ;   in Loop: Header=BB2_68 Depth=3
	s_or_b32 exec_lo, exec_lo, s41
	v_mov_b32_e32 v9, 0
	s_or_not1_b32 s40, s40, exec_lo
.LBB2_66:                               ;   in Loop: Header=BB2_68 Depth=3
	s_or_b32 exec_lo, exec_lo, s39
	s_delay_alu instid0(VALU_DEP_1) | instskip(SKIP_2) | instid1(SALU_CYCLE_1)
	v_mov_b32_e32 v2, v9
	s_and_not1_b32 vcc_lo, s37, exec_lo
	s_and_b32 s37, s40, exec_lo
	s_or_b32 s37, vcc_lo, s37
.LBB2_67:                               ;   in Loop: Header=BB2_68 Depth=3
	s_or_b32 exec_lo, exec_lo, s38
	s_waitcnt vmcnt(0) lgkmcnt(0)
	v_add_co_u32 v64, vcc_lo, v34, 8
	v_add_co_ci_u32_e32 v65, vcc_lo, 0, v35, vcc_lo
	s_xor_b32 s38, s37, -1
	s_delay_alu instid0(VALU_DEP_1) | instskip(SKIP_1) | instid1(SALU_CYCLE_1)
	v_cmp_ge_u64_e32 vcc_lo, v[64:65], v[14:15]
	s_or_b32 vcc_lo, s38, vcc_lo
	s_and_b32 vcc_lo, exec_lo, vcc_lo
	s_delay_alu instid0(SALU_CYCLE_1) | instskip(NEXT) | instid1(SALU_CYCLE_1)
	s_or_b32 s24, vcc_lo, s24
	s_and_not1_b32 exec_lo, exec_lo, s24
	s_cbranch_execz .LBB2_74
.LBB2_68:                               ;   Parent Loop BB2_51 Depth=1
                                        ;     Parent Loop BB2_59 Depth=2
                                        ; =>    This Inner Loop Header: Depth=3
	s_sleep 1
	flat_load_b64 v[34:35], v[22:23] glc
	v_and_b32_e32 v9, 64, v30
	s_and_not1_b32 s37, s37, exec_lo
	s_mov_b32 s38, exec_lo
	s_delay_alu instid0(VALU_DEP_1)
	v_cmpx_eq_u32_e32 0, v9
	s_cbranch_execz .LBB2_67
; %bb.69:                               ;   in Loop: Header=BB2_68 Depth=3
	v_add_nc_u32_e32 v9, 1, v2
	s_mov_b32 s40, -1
	s_mov_b32 s39, exec_lo
	v_cmpx_lt_i32_e32 0x270e, v2
	s_cbranch_execz .LBB2_66
; %bb.70:                               ;   in Loop: Header=BB2_68 Depth=3
	s_cbranch_execnz .LBB2_2227
; %bb.71:                               ;   in Loop: Header=BB2_68 Depth=3
	ds_load_b64 v[64:65], v0
	s_mov_b32 s41, exec_lo
	s_waitcnt vmcnt(0) lgkmcnt(0)
	s_waitcnt_vscnt null, 0x0
	flat_load_b32 v2, v[64:65] glc
	s_waitcnt vmcnt(0) lgkmcnt(0)
	buffer_gl1_inv
	buffer_gl0_inv
	v_cmpx_ne_u32_e32 0, v2
	s_cbranch_execz .LBB2_65
; %bb.72:                               ;   in Loop: Header=BB2_68 Depth=3
	ds_store_b32 v0, v2
	s_cbranch_execnz .LBB2_2246
; %bb.73:                               ;   in Loop: Header=BB2_68 Depth=3
	v_or_b32_e32 v30, 64, v30
	s_xor_b32 s40, exec_lo, -1
	s_branch .LBB2_65
.LBB2_74:                               ;   in Loop: Header=BB2_59 Depth=2
	s_or_b32 exec_lo, exec_lo, s24
	v_and_b32_e32 v2, 8, v30
.LBB2_75:                               ;   in Loop: Header=BB2_59 Depth=2
	s_or_b32 exec_lo, exec_lo, s13
	s_delay_alu instid0(VALU_DEP_1)
	v_cmp_eq_u32_e32 vcc_lo, 0, v2
	;;#ASMSTART
	s_wakeup
	;;#ASMEND
	s_or_not1_b32 s13, vcc_lo, exec_lo
.LBB2_76:                               ;   in Loop: Header=BB2_59 Depth=2
	s_or_b32 exec_lo, exec_lo, s6
	v_sub_nc_u32_e32 v2, v68, v10
	s_xor_b32 s13, s13, -1
	s_delay_alu instid0(VALU_DEP_1)
	v_min_i32_e32 v8, v8, v2
	s_and_saveexec_b32 s6, s13
	s_cbranch_execz .LBB2_84
; %bb.77:                               ;   in Loop: Header=BB2_59 Depth=2
	v_and_b32_e32 v2, 0x100, v30
	s_mov_b32 s24, 0
	s_mov_b32 s13, exec_lo
                                        ; implicit-def: $vgpr64_vgpr65
	s_delay_alu instid0(VALU_DEP_1)
	v_cmpx_ne_u32_e32 0, v2
	s_xor_b32 s13, exec_lo, s13
                                        ; implicit-def: $vgpr14_vgpr15
	s_cbranch_execnz .LBB2_92
; %bb.78:                               ;   in Loop: Header=BB2_59 Depth=2
	s_and_not1_saveexec_b32 s13, s13
	s_cbranch_execnz .LBB2_95
.LBB2_79:                               ;   in Loop: Header=BB2_59 Depth=2
	s_or_b32 exec_lo, exec_lo, s13
	s_and_saveexec_b32 s13, s24
.LBB2_80:                               ;   in Loop: Header=BB2_59 Depth=2
	v_mul_lo_u32 v2, v3, v87
	v_mul_lo_u32 v9, v14, v96
	v_mad_u64_u32 v[64:65], null, v14, v87, 0
	s_delay_alu instid0(VALU_DEP_1)
	v_add3_u32 v65, v65, v9, v2
.LBB2_81:                               ;   in Loop: Header=BB2_59 Depth=2
	s_or_b32 exec_lo, exec_lo, s13
	s_delay_alu instid0(VALU_DEP_1) | instskip(SKIP_2) | instid1(VALU_DEP_2)
	v_lshlrev_b64 v[14:15], 1, v[64:65]
	v_and_b32_e32 v2, 0x2000, v30
	s_mov_b32 s13, exec_lo
	v_add_co_u32 v14, vcc_lo, v26, v14
	s_delay_alu instid0(VALU_DEP_3)
	v_add_co_ci_u32_e32 v15, vcc_lo, v27, v15, vcc_lo
	ds_store_b64 v0, v[14:15] offset:784
	v_cmpx_ne_u32_e32 0, v2
	s_cbranch_execz .LBB2_83
; %bb.82:                               ;   in Loop: Header=BB2_59 Depth=2
	ds_load_b64 v[14:15], v0 offset:584
	s_waitcnt lgkmcnt(0)
	v_add_co_u32 v14, vcc_lo, v14, 1
	v_add_co_ci_u32_e32 v15, vcc_lo, 0, v15, vcc_lo
	ds_store_b64 v0, v[14:15] offset:584
.LBB2_83:                               ;   in Loop: Header=BB2_59 Depth=2
	s_or_b32 exec_lo, exec_lo, s13
	v_add_co_u32 v24, vcc_lo, v24, 2
	v_add_co_ci_u32_e32 v25, vcc_lo, 0, v25, vcc_lo
.LBB2_84:                               ;   in Loop: Header=BB2_59 Depth=2
	s_or_b32 exec_lo, exec_lo, s6
	s_and_saveexec_b32 s13, s3
	s_cbranch_execz .LBB2_110
; %bb.85:                               ;   in Loop: Header=BB2_59 Depth=2
	s_and_saveexec_b32 s6, s4
	s_delay_alu instid0(SALU_CYCLE_1)
	s_xor_b32 s6, exec_lo, s6
	s_cbranch_execz .LBB2_107
; %bb.86:                               ;   in Loop: Header=BB2_59 Depth=2
	s_and_saveexec_b32 s24, s1
	s_cbranch_execz .LBB2_106
; %bb.87:                               ;   in Loop: Header=BB2_59 Depth=2
	s_mov_b32 s38, exec_lo
	s_mov_b32 s37, exec_lo
	v_mbcnt_lo_u32_b32 v2, s38, 0
	s_waitcnt lgkmcnt(0)
	s_waitcnt_vscnt null, 0x0
	buffer_gl1_inv
	buffer_gl0_inv
	v_cmpx_eq_u32_e32 0, v2
	s_cbranch_execz .LBB2_89
; %bb.88:                               ;   in Loop: Header=BB2_59 Depth=2
	s_bcnt1_i32_b32 vcc_lo, s38
	s_delay_alu instid0(SALU_CYCLE_1)
	v_mov_b32_e32 v2, vcc_lo
	ds_add_u64 v0, v[2:3]
	s_cbranch_execnz .LBB2_2272
.LBB2_89:                               ;   in Loop: Header=BB2_59 Depth=2
	s_or_b32 exec_lo, exec_lo, s37
	s_cbranch_execnz .LBB2_2252
; %bb.90:                               ;   in Loop: Header=BB2_59 Depth=2
	ds_load_b64 v[14:15], v0
	v_add_co_u32 v32, vcc_lo, v32, v99
	v_add_co_ci_u32_e32 v33, vcc_lo, 0, v33, vcc_lo
	s_mov_b32 s37, exec_lo
	s_waitcnt lgkmcnt(0)
	s_delay_alu instid0(VALU_DEP_1)
	v_cmpx_lt_u64_e64 v[14:15], v[32:33]
	s_cbranch_execz .LBB2_105
; %bb.91:                               ;   in Loop: Header=BB2_59 Depth=2
	s_mov_b32 s38, 0
	s_mov_b32 s41, 0
                                        ; implicit-def: $sgpr39
                                        ; implicit-def: $sgpr40
	s_branch .LBB2_97
.LBB2_92:                               ;   in Loop: Header=BB2_59 Depth=2
	v_and_b32_e32 v14, 7, v24
	v_ashrrev_i32_e32 v9, 31, v8
	s_mov_b32 s24, -1
	s_mov_b32 s37, exec_lo
	s_delay_alu instid0(VALU_DEP_2) | instskip(NEXT) | instid1(VALU_DEP_2)
	v_mad_u64_u32 v[66:67], null, v14, 24, v[6:7]
	v_lshlrev_b64 v[64:65], 1, v[8:9]
	flat_load_b32 v2, v[66:67]
	flat_store_b64 v[66:67], v[64:65] offset:8
                                        ; implicit-def: $vgpr64_vgpr65
	s_waitcnt vmcnt(0) lgkmcnt(1)
	v_cmpx_eq_u32_e32 1, v2
	s_cbranch_execz .LBB2_94
; %bb.93:                               ;   in Loop: Header=BB2_59 Depth=2
	flat_load_b32 v14, v[66:67] offset:4 glc
	s_xor_b32 s24, exec_lo, -1
	s_waitcnt vmcnt(0) lgkmcnt(0)
	v_ashrrev_i32_e32 v15, 31, v14
	s_delay_alu instid0(VALU_DEP_1)
	v_lshrrev_b64 v[64:65], 1, v[14:15]
                                        ; implicit-def: $vgpr14_vgpr15
.LBB2_94:                               ;   in Loop: Header=BB2_59 Depth=2
	s_or_b32 exec_lo, exec_lo, s37
	s_delay_alu instid0(SALU_CYCLE_1)
	s_and_b32 s24, s24, exec_lo
	s_and_not1_saveexec_b32 s13, s13
	s_cbranch_execz .LBB2_79
.LBB2_95:                               ;   in Loop: Header=BB2_59 Depth=2
	v_and_b32_e32 v14, 7, v24
	s_or_b32 s24, s24, exec_lo
                                        ; implicit-def: $vgpr64_vgpr65
	s_or_b32 exec_lo, exec_lo, s13
	s_and_saveexec_b32 s13, s24
	s_cbranch_execnz .LBB2_80
	s_branch .LBB2_81
.LBB2_96:                               ;   in Loop: Header=BB2_97 Depth=3
	s_or_b32 exec_lo, exec_lo, s43
	s_delay_alu instid0(SALU_CYCLE_1) | instskip(NEXT) | instid1(SALU_CYCLE_1)
	s_and_b32 vcc_lo, exec_lo, vcc_lo
	s_or_b32 s38, vcc_lo, s38
	s_and_not1_b32 vcc_lo, s39, exec_lo
	s_and_b32 s39, s40, exec_lo
	s_delay_alu instid0(SALU_CYCLE_1)
	s_or_b32 s39, vcc_lo, s39
	s_and_not1_b32 exec_lo, exec_lo, s38
	s_cbranch_execz .LBB2_103
.LBB2_97:                               ;   Parent Loop BB2_51 Depth=1
                                        ;     Parent Loop BB2_59 Depth=2
                                        ; =>    This Inner Loop Header: Depth=3
	s_add_i32 s41, s41, 1
                                        ; implicit-def: $sgpr43
	s_delay_alu instid0(SALU_CYCLE_1) | instskip(SKIP_1) | instid1(SALU_CYCLE_1)
	s_cmpk_lg_i32 s41, 0x2710
	s_cselect_b32 s42, -1, 0
	s_and_b32 vcc_lo, exec_lo, s42
	s_cbranch_vccz .LBB2_101
.LBB2_98:                               ;   in Loop: Header=BB2_97 Depth=3
	s_and_not1_b32 s40, s40, exec_lo
	s_and_b32 s43, s43, exec_lo
	s_mov_b32 vcc_lo, -1
	s_or_b32 s40, s40, s43
	s_and_saveexec_b32 s43, s42
	s_cbranch_execz .LBB2_96
; %bb.99:                               ;   in Loop: Header=BB2_97 Depth=3
	s_sleep 1
	s_cbranch_execnz .LBB2_2300
; %bb.100:                              ;   in Loop: Header=BB2_97 Depth=3
	ds_load_b64 v[14:15], v0
	s_and_not1_b32 s40, s40, exec_lo
	s_waitcnt lgkmcnt(0)
	v_cmp_ge_u64_e32 vcc_lo, v[14:15], v[32:33]
	s_or_not1_b32 vcc_lo, vcc_lo, exec_lo
	s_branch .LBB2_96
.LBB2_101:                              ;   in Loop: Header=BB2_97 Depth=3
	s_cbranch_execnz .LBB2_2306
; %bb.102:                              ;   in Loop: Header=BB2_97 Depth=3
	ds_load_b64 v[14:15], v0
	s_and_not1_b32 s42, s42, exec_lo
	s_mov_b32 s41, 0
	s_mov_b32 s43, -1
	s_waitcnt lgkmcnt(0)
	flat_load_b32 v2, v[14:15] glc
	s_waitcnt vmcnt(0) lgkmcnt(0)
	buffer_gl1_inv
	buffer_gl0_inv
	v_cmp_eq_u32_e32 vcc_lo, 0, v2
	s_and_b32 vcc_lo, vcc_lo, exec_lo
	s_delay_alu instid0(SALU_CYCLE_1)
	s_or_b32 s42, s42, vcc_lo
	s_branch .LBB2_98
.LBB2_103:                              ;   in Loop: Header=BB2_59 Depth=2
	s_or_b32 exec_lo, exec_lo, s38
	s_and_saveexec_b32 vcc_lo, s39
	s_delay_alu instid0(SALU_CYCLE_1)
	s_xor_b32 vcc_lo, exec_lo, vcc_lo
	s_cbranch_execz .LBB2_105
; %bb.104:                              ;   in Loop: Header=BB2_59 Depth=2
	ds_store_b32 v0, v133
	s_cbranch_execnz .LBB2_2516
.LBB2_105:                              ;   in Loop: Header=BB2_59 Depth=2
	s_or_b32 exec_lo, exec_lo, s37
	;;#ASMSTART
	s_wakeup
	;;#ASMEND
.LBB2_106:                              ;   in Loop: Header=BB2_59 Depth=2
	s_or_b32 exec_lo, exec_lo, s24
.LBB2_107:                              ;   in Loop: Header=BB2_59 Depth=2
	s_and_not1_saveexec_b32 s6, s6
	s_cbranch_execz .LBB2_109
; %bb.108:                              ;   in Loop: Header=BB2_59 Depth=2
	s_waitcnt lgkmcnt(0)
	s_waitcnt_vscnt null, 0x0
	buffer_gl1_inv
	buffer_gl0_inv
	s_barrier
.LBB2_109:                              ;   in Loop: Header=BB2_59 Depth=2
	s_or_b32 exec_lo, exec_lo, s6
.LBB2_110:                              ;   in Loop: Header=BB2_59 Depth=2
	s_delay_alu instid0(SALU_CYCLE_1)
	s_or_b32 exec_lo, exec_lo, s13
	s_cbranch_execnz .LBB2_2203
; %bb.111:                              ;   in Loop: Header=BB2_59 Depth=2
	ds_load_b32 v11, v0
	v_and_b32_e32 v2, 0x4000, v30
	s_xor_b32 s6, s2, -1
	s_delay_alu instid0(VALU_DEP_1) | instskip(SKIP_1) | instid1(SALU_CYCLE_1)
	v_cmp_ne_u32_e32 vcc_lo, 0, v2
	s_and_b32 s6, s6, vcc_lo
	s_and_saveexec_b32 s13, s6
	s_cbranch_execz .LBB2_133
; %bb.112:                              ;   in Loop: Header=BB2_59 Depth=2
	s_and_saveexec_b32 s6, s4
	s_delay_alu instid0(SALU_CYCLE_1)
	s_xor_b32 s6, exec_lo, s6
	s_cbranch_execz .LBB2_130
; %bb.113:                              ;   in Loop: Header=BB2_59 Depth=2
	s_and_saveexec_b32 s24, s1
	s_cbranch_execz .LBB2_129
; %bb.114:                              ;   in Loop: Header=BB2_59 Depth=2
	s_mov_b32 s38, exec_lo
	s_mov_b32 s37, exec_lo
	v_mbcnt_lo_u32_b32 v2, s38, 0
	s_waitcnt lgkmcnt(0)
	s_waitcnt_vscnt null, 0x0
	buffer_gl1_inv
	buffer_gl0_inv
	v_cmpx_eq_u32_e32 0, v2
	s_cbranch_execz .LBB2_116
; %bb.115:                              ;   in Loop: Header=BB2_59 Depth=2
	s_bcnt1_i32_b32 vcc_lo, s38
	s_delay_alu instid0(SALU_CYCLE_1)
	v_mov_b32_e32 v2, vcc_lo
	ds_add_u64 v0, v[2:3]
	s_cbranch_execnz .LBB2_2298
.LBB2_116:                              ;   in Loop: Header=BB2_59 Depth=2
	s_or_b32 exec_lo, exec_lo, s37
	s_cbranch_execnz .LBB2_2286
; %bb.117:                              ;   in Loop: Header=BB2_59 Depth=2
	ds_load_b64 v[14:15], v0
	v_add_co_u32 v32, vcc_lo, v32, v99
	v_add_co_ci_u32_e32 v33, vcc_lo, 0, v33, vcc_lo
	s_mov_b32 s37, exec_lo
	s_waitcnt lgkmcnt(0)
	s_delay_alu instid0(VALU_DEP_1)
	v_cmpx_lt_u64_e64 v[14:15], v[32:33]
	s_cbranch_execz .LBB2_128
; %bb.118:                              ;   in Loop: Header=BB2_59 Depth=2
	s_mov_b32 s38, 0
	s_mov_b32 s41, 0
                                        ; implicit-def: $sgpr39
                                        ; implicit-def: $sgpr40
	s_branch .LBB2_120
.LBB2_119:                              ;   in Loop: Header=BB2_120 Depth=3
	s_or_b32 exec_lo, exec_lo, s43
	s_delay_alu instid0(SALU_CYCLE_1) | instskip(NEXT) | instid1(SALU_CYCLE_1)
	s_and_b32 vcc_lo, exec_lo, vcc_lo
	s_or_b32 s38, vcc_lo, s38
	s_and_not1_b32 vcc_lo, s39, exec_lo
	s_and_b32 s39, s40, exec_lo
	s_delay_alu instid0(SALU_CYCLE_1)
	s_or_b32 s39, vcc_lo, s39
	s_and_not1_b32 exec_lo, exec_lo, s38
	s_cbranch_execz .LBB2_126
.LBB2_120:                              ;   Parent Loop BB2_51 Depth=1
                                        ;     Parent Loop BB2_59 Depth=2
                                        ; =>    This Inner Loop Header: Depth=3
	s_add_i32 s41, s41, 1
                                        ; implicit-def: $sgpr43
	s_delay_alu instid0(SALU_CYCLE_1) | instskip(SKIP_1) | instid1(SALU_CYCLE_1)
	s_cmpk_lg_i32 s41, 0x2710
	s_cselect_b32 s42, -1, 0
	s_and_b32 vcc_lo, exec_lo, s42
	s_cbranch_vccz .LBB2_124
.LBB2_121:                              ;   in Loop: Header=BB2_120 Depth=3
	s_and_not1_b32 s40, s40, exec_lo
	s_and_b32 s43, s43, exec_lo
	s_mov_b32 vcc_lo, -1
	s_or_b32 s40, s40, s43
	s_and_saveexec_b32 s43, s42
	s_cbranch_execz .LBB2_119
; %bb.122:                              ;   in Loop: Header=BB2_120 Depth=3
	s_sleep 1
	s_cbranch_execnz .LBB2_2340
; %bb.123:                              ;   in Loop: Header=BB2_120 Depth=3
	ds_load_b64 v[14:15], v0
	s_and_not1_b32 s40, s40, exec_lo
	s_waitcnt lgkmcnt(0)
	v_cmp_ge_u64_e32 vcc_lo, v[14:15], v[32:33]
	s_or_not1_b32 vcc_lo, vcc_lo, exec_lo
	s_branch .LBB2_119
.LBB2_124:                              ;   in Loop: Header=BB2_120 Depth=3
	s_cbranch_execnz .LBB2_2358
; %bb.125:                              ;   in Loop: Header=BB2_120 Depth=3
	ds_load_b64 v[14:15], v0
	s_and_not1_b32 s42, s42, exec_lo
	s_mov_b32 s41, 0
	s_mov_b32 s43, -1
	s_waitcnt lgkmcnt(0)
	flat_load_b32 v2, v[14:15] glc
	s_waitcnt vmcnt(0) lgkmcnt(0)
	buffer_gl1_inv
	buffer_gl0_inv
	v_cmp_eq_u32_e32 vcc_lo, 0, v2
	s_and_b32 vcc_lo, vcc_lo, exec_lo
	s_delay_alu instid0(SALU_CYCLE_1)
	s_or_b32 s42, s42, vcc_lo
	s_branch .LBB2_121
.LBB2_126:                              ;   in Loop: Header=BB2_59 Depth=2
	s_or_b32 exec_lo, exec_lo, s38
	s_and_saveexec_b32 vcc_lo, s39
	s_delay_alu instid0(SALU_CYCLE_1)
	s_xor_b32 vcc_lo, exec_lo, vcc_lo
	s_cbranch_execz .LBB2_128
; %bb.127:                              ;   in Loop: Header=BB2_59 Depth=2
	ds_store_b32 v0, v133
	s_cbranch_execnz .LBB2_2570
.LBB2_128:                              ;   in Loop: Header=BB2_59 Depth=2
	s_or_b32 exec_lo, exec_lo, s37
	;;#ASMSTART
	s_wakeup
	;;#ASMEND
.LBB2_129:                              ;   in Loop: Header=BB2_59 Depth=2
	s_or_b32 exec_lo, exec_lo, s24
.LBB2_130:                              ;   in Loop: Header=BB2_59 Depth=2
	s_and_not1_saveexec_b32 s6, s6
	s_cbranch_execz .LBB2_132
; %bb.131:                              ;   in Loop: Header=BB2_59 Depth=2
	s_waitcnt lgkmcnt(0)
	s_waitcnt_vscnt null, 0x0
	buffer_gl1_inv
	buffer_gl0_inv
	s_barrier
.LBB2_132:                              ;   in Loop: Header=BB2_59 Depth=2
	s_or_b32 exec_lo, exec_lo, s6
.LBB2_133:                              ;   in Loop: Header=BB2_59 Depth=2
	s_delay_alu instid0(SALU_CYCLE_1)
	s_or_b32 exec_lo, exec_lo, s13
	s_cbranch_execnz .LBB2_2229
; %bb.134:                              ;   in Loop: Header=BB2_59 Depth=2
	ds_load_b64 v[14:15], v0
	v_mov_b32_e32 v9, 0
	s_waitcnt lgkmcnt(0)
	v_cmp_eq_u64_e32 vcc_lo, 0, v[14:15]
	s_or_b32 s6, vcc_lo, vcc_lo
	s_delay_alu instid0(SALU_CYCLE_1)
	s_and_b32 vcc_lo, exec_lo, s6
	s_cbranch_vccnz .LBB2_169
; %bb.135:                              ;   in Loop: Header=BB2_59 Depth=2
	s_mov_b32 s37, s14
	s_mov_b32 s13, -1
	s_mov_b32 s6, s5
	s_and_saveexec_b32 s14, s5
	s_cbranch_execz .LBB2_137
; %bb.136:                              ;   in Loop: Header=BB2_59 Depth=2
	ds_load_b32 v2, v0 offset:720
	s_waitcnt lgkmcnt(0)
	v_and_b32_e32 v2, 15, v2
	s_delay_alu instid0(VALU_DEP_1)
	v_cmp_eq_u32_e32 vcc_lo, 0, v2
	s_or_not1_b32 s13, vcc_lo, exec_lo
.LBB2_137:                              ;   in Loop: Header=BB2_59 Depth=2
	s_or_b32 exec_lo, exec_lo, s14
	s_and_saveexec_b32 s5, vcc_hi
	s_cbranch_execz .LBB2_139
; %bb.138:                              ;   in Loop: Header=BB2_59 Depth=2
	ds_load_b32 v2, v0 offset:784
	s_waitcnt lgkmcnt(0)
	v_and_b32_e32 v2, 15, v2
	s_delay_alu instid0(VALU_DEP_1) | instskip(SKIP_3) | instid1(SALU_CYCLE_1)
	v_cmp_eq_u32_e32 vcc_lo, 0, v2
	s_and_b32 s14, s13, vcc_lo
	s_and_not1_b32 s13, s13, exec_lo
	s_and_b32 s14, s14, exec_lo
	s_or_b32 s13, s13, s14
.LBB2_139:                              ;   in Loop: Header=BB2_59 Depth=2
	s_or_b32 exec_lo, exec_lo, s5
	v_cmp_eq_u32_e32 vcc_lo, 0, v11
	s_xor_b32 s5, s13, -1
	s_mov_b32 s13, -1
	v_cndmask_b32_e64 v2, 0, 1, s5
	;;#ASMSTART
	;;#ASMEND
	v_cndmask_b32_e32 v9, 0, v8, vcc_lo
	s_delay_alu instid0(VALU_DEP_2) | instskip(NEXT) | instid1(VALU_DEP_2)
	v_cmp_ne_u32_e32 vcc_lo, 0, v2
	v_dual_mov_b32 v11, 0 :: v_dual_lshlrev_b32 v2, 1, v9
	s_cbranch_vccz .LBB2_141
; %bb.140:                              ;   in Loop: Header=BB2_59 Depth=2
	v_mov_b32_e32 v66, v0
	v_mov_b32_e32 v70, v97
	s_branch .LBB2_156
.LBB2_141:                              ;   in Loop: Header=BB2_59 Depth=2
	s_delay_alu instid0(VALU_DEP_1) | instskip(SKIP_1) | instid1(VALU_DEP_1)
	v_ashrrev_i32_e32 v11, 31, v2
	s_mov_b32 s5, exec_lo
	v_lshrrev_b32_e32 v11, 22, v11
	s_delay_alu instid0(VALU_DEP_1) | instskip(NEXT) | instid1(VALU_DEP_1)
	v_add_nc_u32_e32 v11, v2, v11
	v_ashrrev_i32_e32 v11, 10, v11
	s_delay_alu instid0(VALU_DEP_1) | instskip(NEXT) | instid1(VALU_DEP_1)
	v_sub_nc_u32_e32 v67, v11, v97
	v_cmpx_lt_i32_e32 0, v67
	s_cbranch_execz .LBB2_146
; %bb.142:                              ;   in Loop: Header=BB2_59 Depth=2
	s_cbranch_execnz .LBB2_2310
; %bb.143:                              ;   in Loop: Header=BB2_59 Depth=2
	ds_load_b64 v[14:15], v0
	v_dual_mov_b32 v65, v39 :: v_dual_mov_b32 v64, v38
	s_mov_b32 s14, 0
.LBB2_144:                              ;   Parent Loop BB2_51 Depth=1
                                        ;     Parent Loop BB2_59 Depth=2
                                        ; =>    This Inner Loop Header: Depth=3
	s_waitcnt lgkmcnt(0)
	s_delay_alu instid0(VALU_DEP_1) | instskip(NEXT) | instid1(VALU_DEP_2)
	v_add_co_u32 v69, vcc_lo, v14, v64
	v_add_co_ci_u32_e32 v70, vcc_lo, v15, v65, vcc_lo
	v_sub_nc_u32_e32 v67, v67, v99
	v_add_co_u32 v64, s13, v64, v102
	s_clause 0x1
	global_load_b128 v[80:83], v[69:70], off slc dlc
	global_load_b128 v[144:147], v[69:70], off offset:512 slc dlc
	v_add_co_ci_u32_e64 v65, s13, v65, v103, s13
	v_cmp_gt_i32_e32 vcc_lo, 1, v67
	s_waitcnt vmcnt(1)
	global_store_b128 v[69:70], v[80:83], off glc slc dlc
	s_waitcnt vmcnt(0)
	global_store_b128 v[69:70], v[144:147], off offset:512 glc slc dlc
	s_or_b32 s14, vcc_lo, s14
	s_delay_alu instid0(SALU_CYCLE_1)
	s_and_not1_b32 exec_lo, exec_lo, s14
	s_cbranch_execnz .LBB2_144
; %bb.145:                              ;   in Loop: Header=BB2_59 Depth=2
	s_or_b32 exec_lo, exec_lo, s14
.LBB2_146:                              ;   in Loop: Header=BB2_59 Depth=2
	s_delay_alu instid0(SALU_CYCLE_1) | instskip(SKIP_3) | instid1(VALU_DEP_1)
	s_or_b32 exec_lo, exec_lo, s5
	v_dual_mov_b32 v11, 0 :: v_dual_lshlrev_b32 v64, 10, v11
	s_mov_b32 s13, 0
	s_mov_b32 s5, exec_lo
                                        ; implicit-def: $vgpr66
                                        ; implicit-def: $vgpr70
	v_cmpx_ne_u32_e64 v2, v64
	s_cbranch_execz .LBB2_155
; %bb.147:                              ;   in Loop: Header=BB2_59 Depth=2
	v_lshlrev_b32_e32 v11, 5, v67
	v_sub_nc_u32_e32 v15, v2, v64
	s_mov_b32 s24, exec_lo
	s_delay_alu instid0(VALU_DEP_2) | instskip(NEXT) | instid1(VALU_DEP_2)
	v_sub_nc_u32_e32 v11, v98, v11
	v_ashrrev_i32_e32 v65, 31, v15
	s_delay_alu instid0(VALU_DEP_2) | instskip(NEXT) | instid1(VALU_DEP_2)
	v_ashrrev_i32_e32 v14, 31, v11
	v_lshrrev_b32_e32 v65, 23, v65
	s_delay_alu instid0(VALU_DEP_2) | instskip(NEXT) | instid1(VALU_DEP_2)
	v_lshrrev_b32_e32 v14, 27, v14
	v_add_nc_u32_e32 v70, v15, v65
	s_delay_alu instid0(VALU_DEP_2) | instskip(NEXT) | instid1(VALU_DEP_2)
	v_add_nc_u32_e32 v14, v11, v14
	v_and_b32_e32 v65, 0xfffffe00, v70
	v_ashrrev_i32_e32 v70, 9, v70
	s_delay_alu instid0(VALU_DEP_3) | instskip(NEXT) | instid1(VALU_DEP_3)
	v_and_b32_e32 v66, 0xffffffe0, v14
	v_sub_nc_u32_e32 v69, v15, v65
	v_ashrrev_i32_e32 v14, 5, v14
	s_delay_alu instid0(VALU_DEP_3) | instskip(NEXT) | instid1(VALU_DEP_3)
	v_sub_nc_u32_e32 v67, v11, v66
	v_cmp_lt_i32_e32 vcc_lo, 15, v69
	s_delay_alu instid0(VALU_DEP_2) | instskip(SKIP_1) | instid1(VALU_DEP_2)
	v_lshlrev_b32_e32 v11, 4, v67
	v_add_co_ci_u32_e64 v70, s13, 0, v70, vcc_lo
	v_lshl_add_u32 v66, v14, 9, v11
	s_delay_alu instid0(VALU_DEP_2) | instskip(NEXT) | instid1(VALU_DEP_2)
	v_sub_nc_u32_e32 v71, v70, v14
	v_sub_nc_u32_e32 v11, v15, v66
	s_delay_alu instid0(VALU_DEP_1)
	v_cmpx_lt_i32_e32 15, v11
	s_cbranch_execz .LBB2_152
; %bb.148:                              ;   in Loop: Header=BB2_59 Depth=2
	s_cbranch_execnz .LBB2_2376
; %bb.149:                              ;   in Loop: Header=BB2_59 Depth=2
	ds_load_b64 v[14:15], v0
	v_add_nc_u32_e32 v66, v66, v64
	s_mov_b32 s38, 0
	s_delay_alu instid0(VALU_DEP_1)
	v_ashrrev_i32_e32 v70, 31, v66
.LBB2_150:                              ;   Parent Loop BB2_51 Depth=1
                                        ;     Parent Loop BB2_59 Depth=2
                                        ; =>    This Inner Loop Header: Depth=3
	s_waitcnt lgkmcnt(0)
	v_add_co_u32 v84, s13, v14, v66
	s_delay_alu instid0(VALU_DEP_1)
	v_add_co_ci_u32_e64 v85, s13, v15, v70, s13
	v_sub_nc_u32_e32 v11, v11, v100
	v_add_co_u32 v66, s14, v66, v114
	global_load_b128 v[80:83], v[84:85], off slc dlc
	v_sub_nc_u32_e32 v71, v71, v99
	v_cmp_gt_i32_e64 s13, 16, v11
	v_add_co_ci_u32_e64 v70, s14, v70, v115, s14
	s_delay_alu instid0(VALU_DEP_2)
	s_or_b32 s38, s13, s38
	s_waitcnt vmcnt(0)
	global_store_b128 v[84:85], v[80:83], off glc slc dlc
	s_and_not1_b32 exec_lo, exec_lo, s38
	s_cbranch_execnz .LBB2_150
; %bb.151:                              ;   in Loop: Header=BB2_59 Depth=2
	s_or_b32 exec_lo, exec_lo, s38
.LBB2_152:                              ;   in Loop: Header=BB2_59 Depth=2
	s_delay_alu instid0(SALU_CYCLE_1) | instskip(SKIP_3) | instid1(VALU_DEP_1)
	s_or_b32 exec_lo, exec_lo, s24
	v_dual_mov_b32 v11, 0 :: v_dual_and_b32 v14, 14, v2
	s_mov_b32 s14, 0
	s_mov_b32 s24, exec_lo
                                        ; implicit-def: $vgpr66
                                        ; implicit-def: $vgpr70
	v_cndmask_b32_e32 v2, v69, v14, vcc_lo
	s_delay_alu instid0(VALU_DEP_1)
	v_cmpx_ne_u32_e32 0, v2
; %bb.153:                              ;   in Loop: Header=BB2_59 Depth=2
	v_cmp_lt_i32_e64 s13, 0, v71
	v_sub_nc_u32_e32 v14, v69, v14
	s_mov_b32 s14, exec_lo
	s_delay_alu instid0(VALU_DEP_2) | instskip(NEXT) | instid1(VALU_DEP_1)
	v_cndmask_b32_e64 v11, 0, v99, s13
	v_sub_nc_u32_e32 v11, v11, v71
	s_delay_alu instid0(VALU_DEP_1) | instskip(NEXT) | instid1(VALU_DEP_1)
	v_lshl_add_u32 v66, v11, 5, v67
	v_ashrrev_i32_e32 v11, 31, v66
	s_delay_alu instid0(VALU_DEP_1) | instskip(NEXT) | instid1(VALU_DEP_1)
	v_lshrrev_b32_e32 v11, 27, v11
	v_dual_cndmask_b32 v14, 0, v14 :: v_dual_add_nc_u32 v15, v66, v11
	s_delay_alu instid0(VALU_DEP_1) | instskip(NEXT) | instid1(VALU_DEP_2)
	v_add3_u32 v11, v65, v64, v14
	v_ashrrev_i32_e32 v70, 5, v15
; %bb.154:                              ;   in Loop: Header=BB2_59 Depth=2
	s_or_b32 exec_lo, exec_lo, s24
	s_delay_alu instid0(SALU_CYCLE_1)
	s_and_b32 s13, s14, exec_lo
.LBB2_155:                              ;   in Loop: Header=BB2_59 Depth=2
	s_or_b32 exec_lo, exec_lo, s5
.LBB2_156:                              ;   in Loop: Header=BB2_59 Depth=2
	s_and_saveexec_b32 s14, s13
	s_cbranch_execz .LBB2_168
; %bb.157:                              ;   in Loop: Header=BB2_59 Depth=2
	v_ashrrev_i32_e32 v14, 31, v2
	s_mov_b32 s5, exec_lo
	s_delay_alu instid0(VALU_DEP_1) | instskip(NEXT) | instid1(VALU_DEP_1)
	v_lshrrev_b32_e32 v14, 24, v14
	v_add_nc_u32_e32 v14, v2, v14
	s_delay_alu instid0(VALU_DEP_1) | instskip(NEXT) | instid1(VALU_DEP_1)
	v_ashrrev_i32_e32 v69, 8, v14
	v_sub_nc_u32_e32 v67, v69, v70
	s_delay_alu instid0(VALU_DEP_1)
	v_cmpx_lt_i32_e32 0, v67
	s_cbranch_execz .LBB2_162
; %bb.158:                              ;   in Loop: Header=BB2_59 Depth=2
	s_cbranch_execnz .LBB2_2304
; %bb.159:                              ;   in Loop: Header=BB2_59 Depth=2
	v_ashrrev_i32_e32 v14, 31, v66
	s_mov_b32 s24, 0
	s_delay_alu instid0(VALU_DEP_1) | instskip(NEXT) | instid1(VALU_DEP_1)
	v_lshrrev_b32_e32 v14, 27, v14
	v_add_nc_u32_e32 v14, v66, v14
	s_delay_alu instid0(VALU_DEP_1) | instskip(SKIP_3) | instid1(VALU_DEP_1)
	v_and_b32_e32 v64, 0x7fffffe0, v14
	ds_load_b64 v[14:15], v0
	v_lshlrev_b32_e32 v65, 8, v70
	v_sub_nc_u32_e32 v64, v66, v64
	v_lshlrev_b32_e32 v64, 1, v64
	s_delay_alu instid0(VALU_DEP_1) | instskip(NEXT) | instid1(VALU_DEP_1)
	v_add3_u32 v70, v64, v11, v65
	v_ashrrev_i32_e32 v71, 31, v70
	s_waitcnt lgkmcnt(0)
	v_dual_mov_b32 v65, v15 :: v_dual_mov_b32 v64, v14
	s_set_inst_prefetch_distance 0x1
.LBB2_160:                              ;   Parent Loop BB2_51 Depth=1
                                        ;     Parent Loop BB2_59 Depth=2
                                        ; =>    This Inner Loop Header: Depth=3
	s_delay_alu instid0(VALU_DEP_1) | instskip(NEXT) | instid1(VALU_DEP_2)
	v_add_co_u32 v80, vcc_lo, v70, v64
	v_add_co_ci_u32_e32 v81, vcc_lo, v71, v65, vcc_lo
	v_sub_nc_u32_e32 v67, v67, v99
	s_clause 0x3
	flat_load_u16 v82, v[80:81] slc dlc
	flat_load_u16 v83, v[80:81] offset:64 slc dlc
	flat_load_u16 v84, v[80:81] offset:128 slc dlc
	;; [unrolled: 1-line block ×3, first 2 shown]
	v_add_co_u32 v80, vcc_lo, v70, v14
	v_add_co_ci_u32_e32 v81, vcc_lo, v71, v15, vcc_lo
	v_add_co_u32 v64, vcc_lo, v64, v117
	v_add_co_ci_u32_e32 v65, vcc_lo, v65, v118, vcc_lo
	v_add_co_u32 v14, vcc_lo, v14, v117
	v_cmp_gt_i32_e64 s13, 1, v67
	v_add_co_ci_u32_e32 v15, vcc_lo, v15, v118, vcc_lo
	s_waitcnt vmcnt(3) lgkmcnt(3)
	flat_store_b16 v[80:81], v82 glc slc dlc
	s_waitcnt vmcnt(2) lgkmcnt(3)
	flat_store_b16 v[80:81], v83 offset:64 glc slc dlc
	s_waitcnt vmcnt(1) lgkmcnt(3)
	flat_store_b16 v[80:81], v84 offset:128 glc slc dlc
	;; [unrolled: 2-line block ×3, first 2 shown]
	s_or_b32 s24, s13, s24
	s_delay_alu instid0(SALU_CYCLE_1)
	s_and_not1_b32 exec_lo, exec_lo, s24
	s_cbranch_execnz .LBB2_160
; %bb.161:                              ;   in Loop: Header=BB2_59 Depth=2
	s_set_inst_prefetch_distance 0x2
	s_or_b32 exec_lo, exec_lo, s24
.LBB2_162:                              ;   in Loop: Header=BB2_59 Depth=2
	s_delay_alu instid0(SALU_CYCLE_1) | instskip(SKIP_2) | instid1(VALU_DEP_1)
	s_or_b32 exec_lo, exec_lo, s5
	v_lshlrev_b32_e32 v14, 8, v69
	s_mov_b32 s5, exec_lo
	v_cmpx_ne_u32_e64 v2, v14
	s_cbranch_execz .LBB2_167
; %bb.163:                              ;   in Loop: Header=BB2_59 Depth=2
	v_ashrrev_i32_e32 v15, 31, v66
	v_lshlrev_b32_e32 v64, 5, v67
	s_delay_alu instid0(VALU_DEP_2) | instskip(NEXT) | instid1(VALU_DEP_1)
	v_lshrrev_b32_e32 v15, 27, v15
	v_add_nc_u32_e32 v15, v66, v15
	s_delay_alu instid0(VALU_DEP_1) | instskip(NEXT) | instid1(VALU_DEP_1)
	v_and_b32_e32 v15, 0xffffffe0, v15
	v_sub_nc_u32_e32 v15, v66, v15
	s_delay_alu instid0(VALU_DEP_1) | instskip(NEXT) | instid1(VALU_DEP_1)
	v_sub_nc_u32_e32 v15, v15, v64
	v_ashrrev_i32_e32 v64, 31, v15
	s_delay_alu instid0(VALU_DEP_1) | instskip(NEXT) | instid1(VALU_DEP_1)
	v_lshrrev_b32_e32 v64, 27, v64
	v_add_nc_u32_e32 v64, v15, v64
	s_delay_alu instid0(VALU_DEP_1) | instskip(SKIP_1) | instid1(VALU_DEP_2)
	v_and_b32_e32 v65, 0x7fffffe0, v64
	v_lshlrev_b32_e32 v64, 1, v64
	v_sub_nc_u32_e32 v15, v15, v65
	s_delay_alu instid0(VALU_DEP_2) | instskip(NEXT) | instid1(VALU_DEP_2)
	v_and_b32_e32 v64, 0xffffffc0, v64
	v_lshlrev_b32_e32 v15, 1, v15
	s_delay_alu instid0(VALU_DEP_1) | instskip(NEXT) | instid1(VALU_DEP_1)
	v_add3_u32 v64, v64, v15, v14
	v_sub_nc_u32_e32 v2, v2, v64
	s_delay_alu instid0(VALU_DEP_1)
	v_cmp_lt_i32_e32 vcc_lo, 1, v2
	s_and_b32 exec_lo, exec_lo, vcc_lo
	s_cbranch_execz .LBB2_167
; %bb.164:                              ;   in Loop: Header=BB2_59 Depth=2
	s_cbranch_execnz .LBB2_2368
; %bb.165:                              ;   in Loop: Header=BB2_59 Depth=2
	ds_load_b64 v[14:15], v0
	v_add_nc_u32_e32 v11, v64, v11
	s_mov_b32 s24, 0
	s_delay_alu instid0(VALU_DEP_1)
	v_ashrrev_i32_e32 v64, 31, v11
.LBB2_166:                              ;   Parent Loop BB2_51 Depth=1
                                        ;     Parent Loop BB2_59 Depth=2
                                        ; =>    This Inner Loop Header: Depth=3
	s_waitcnt lgkmcnt(0)
	v_add_co_u32 v65, vcc_lo, v14, v11
	s_delay_alu instid0(VALU_DEP_2)
	v_add_co_ci_u32_e32 v66, vcc_lo, v15, v64, vcc_lo
	v_sub_nc_u32_e32 v2, v2, v113
	v_add_co_u32 v11, s13, v11, v128
	flat_load_u16 v67, v[65:66] slc dlc
	v_add_co_ci_u32_e64 v64, s13, v64, v129, s13
	v_cmp_gt_i32_e32 vcc_lo, 2, v2
	s_or_b32 s24, vcc_lo, s24
	s_waitcnt vmcnt(0) lgkmcnt(0)
	flat_store_b16 v[65:66], v67 glc slc dlc
	s_and_not1_b32 exec_lo, exec_lo, s24
	s_cbranch_execnz .LBB2_166
.LBB2_167:                              ;   in Loop: Header=BB2_59 Depth=2
	s_or_b32 exec_lo, exec_lo, s5
.LBB2_168:                              ;   in Loop: Header=BB2_59 Depth=2
	s_delay_alu instid0(SALU_CYCLE_1)
	s_or_b32 exec_lo, exec_lo, s14
	s_mov_b32 s14, s37
	s_mov_b32 s5, s6
.LBB2_169:                              ;   in Loop: Header=BB2_59 Depth=2
	s_and_saveexec_b32 s13, s3
	s_cbranch_execz .LBB2_191
; %bb.170:                              ;   in Loop: Header=BB2_59 Depth=2
	s_mov_b32 s6, s29
	s_mov_b32 s37, s4
	s_and_saveexec_b32 s24, s4
	s_delay_alu instid0(SALU_CYCLE_1)
	s_xor_b32 s4, exec_lo, s24
	s_cbranch_execz .LBB2_188
; %bb.171:                              ;   in Loop: Header=BB2_59 Depth=2
	s_and_saveexec_b32 s24, s1
	s_cbranch_execz .LBB2_187
; %bb.172:                              ;   in Loop: Header=BB2_59 Depth=2
	s_mov_b32 s38, exec_lo
	s_mov_b32 s29, exec_lo
	v_mbcnt_lo_u32_b32 v2, s38, 0
	s_waitcnt lgkmcnt(0)
	s_waitcnt_vscnt null, 0x0
	buffer_gl1_inv
	buffer_gl0_inv
	v_cmpx_eq_u32_e32 0, v2
	s_cbranch_execz .LBB2_174
; %bb.173:                              ;   in Loop: Header=BB2_59 Depth=2
	s_bcnt1_i32_b32 vcc_lo, s38
	s_delay_alu instid0(SALU_CYCLE_1)
	v_mov_b32_e32 v2, vcc_lo
	ds_add_u64 v0, v[2:3]
	s_cbranch_execnz .LBB2_2342
.LBB2_174:                              ;   in Loop: Header=BB2_59 Depth=2
	s_or_b32 exec_lo, exec_lo, s29
	s_cbranch_execnz .LBB2_2318
; %bb.175:                              ;   in Loop: Header=BB2_59 Depth=2
	ds_load_b64 v[14:15], v0
	v_add_co_u32 v32, vcc_lo, v32, v99
	v_add_co_ci_u32_e32 v33, vcc_lo, 0, v33, vcc_lo
	s_mov_b32 s29, exec_lo
	s_waitcnt lgkmcnt(0)
	s_delay_alu instid0(VALU_DEP_1)
	v_cmpx_lt_u64_e64 v[14:15], v[32:33]
	s_cbranch_execz .LBB2_186
; %bb.176:                              ;   in Loop: Header=BB2_59 Depth=2
	s_mov_b32 s38, 0
	s_mov_b32 s41, 0
                                        ; implicit-def: $sgpr39
                                        ; implicit-def: $sgpr40
	s_branch .LBB2_178
.LBB2_177:                              ;   in Loop: Header=BB2_178 Depth=3
	s_or_b32 exec_lo, exec_lo, s43
	s_delay_alu instid0(SALU_CYCLE_1) | instskip(NEXT) | instid1(SALU_CYCLE_1)
	s_and_b32 vcc_lo, exec_lo, vcc_lo
	s_or_b32 s38, vcc_lo, s38
	s_and_not1_b32 vcc_lo, s39, exec_lo
	s_and_b32 s39, s40, exec_lo
	s_delay_alu instid0(SALU_CYCLE_1)
	s_or_b32 s39, vcc_lo, s39
	s_and_not1_b32 exec_lo, exec_lo, s38
	s_cbranch_execz .LBB2_184
.LBB2_178:                              ;   Parent Loop BB2_51 Depth=1
                                        ;     Parent Loop BB2_59 Depth=2
                                        ; =>    This Inner Loop Header: Depth=3
	s_add_i32 s41, s41, 1
                                        ; implicit-def: $sgpr43
	s_delay_alu instid0(SALU_CYCLE_1) | instskip(SKIP_1) | instid1(SALU_CYCLE_1)
	s_cmpk_lg_i32 s41, 0x2710
	s_cselect_b32 s42, -1, 0
	s_and_b32 vcc_lo, exec_lo, s42
	s_cbranch_vccz .LBB2_182
.LBB2_179:                              ;   in Loop: Header=BB2_178 Depth=3
	s_and_not1_b32 s40, s40, exec_lo
	s_and_b32 s43, s43, exec_lo
	s_mov_b32 vcc_lo, -1
	s_or_b32 s40, s40, s43
	s_and_saveexec_b32 s43, s42
	s_cbranch_execz .LBB2_177
; %bb.180:                              ;   in Loop: Header=BB2_178 Depth=3
	s_sleep 1
	s_cbranch_execnz .LBB2_2394
; %bb.181:                              ;   in Loop: Header=BB2_178 Depth=3
	ds_load_b64 v[14:15], v0
	s_and_not1_b32 s40, s40, exec_lo
	s_waitcnt lgkmcnt(0)
	v_cmp_ge_u64_e32 vcc_lo, v[14:15], v[32:33]
	s_or_not1_b32 vcc_lo, vcc_lo, exec_lo
	s_branch .LBB2_177
.LBB2_182:                              ;   in Loop: Header=BB2_178 Depth=3
	s_cbranch_execnz .LBB2_2404
; %bb.183:                              ;   in Loop: Header=BB2_178 Depth=3
	ds_load_b64 v[14:15], v0
	s_and_not1_b32 s42, s42, exec_lo
	s_mov_b32 s41, 0
	s_mov_b32 s43, -1
	s_waitcnt lgkmcnt(0)
	flat_load_b32 v2, v[14:15] glc
	s_waitcnt vmcnt(0) lgkmcnt(0)
	buffer_gl1_inv
	buffer_gl0_inv
	v_cmp_eq_u32_e32 vcc_lo, 0, v2
	s_and_b32 vcc_lo, vcc_lo, exec_lo
	s_delay_alu instid0(SALU_CYCLE_1)
	s_or_b32 s42, s42, vcc_lo
	s_branch .LBB2_179
.LBB2_184:                              ;   in Loop: Header=BB2_59 Depth=2
	s_or_b32 exec_lo, exec_lo, s38
	s_and_saveexec_b32 vcc_lo, s39
	s_delay_alu instid0(SALU_CYCLE_1)
	s_xor_b32 vcc_lo, exec_lo, vcc_lo
	s_cbranch_execz .LBB2_186
; %bb.185:                              ;   in Loop: Header=BB2_59 Depth=2
	ds_store_b32 v0, v133
	s_cbranch_execnz .LBB2_2618
.LBB2_186:                              ;   in Loop: Header=BB2_59 Depth=2
	s_or_b32 exec_lo, exec_lo, s29
	;;#ASMSTART
	s_wakeup
	;;#ASMEND
.LBB2_187:                              ;   in Loop: Header=BB2_59 Depth=2
	s_or_b32 exec_lo, exec_lo, s24
.LBB2_188:                              ;   in Loop: Header=BB2_59 Depth=2
	s_and_not1_saveexec_b32 s4, s4
	s_cbranch_execz .LBB2_190
; %bb.189:                              ;   in Loop: Header=BB2_59 Depth=2
	s_waitcnt lgkmcnt(0)
	s_waitcnt_vscnt null, 0x0
	buffer_gl1_inv
	buffer_gl0_inv
	s_barrier
.LBB2_190:                              ;   in Loop: Header=BB2_59 Depth=2
	s_or_b32 exec_lo, exec_lo, s4
	s_mov_b32 s29, s6
	s_mov_b32 s4, s37
.LBB2_191:                              ;   in Loop: Header=BB2_59 Depth=2
	s_or_b32 exec_lo, exec_lo, s13
                                        ; implicit-def: $vgpr2
	s_and_saveexec_b32 s6, s7
	s_delay_alu instid0(SALU_CYCLE_1)
	s_xor_b32 s6, exec_lo, s6
	s_cbranch_execz .LBB2_195
; %bb.192:                              ;   in Loop: Header=BB2_59 Depth=2
	v_and_b32_e32 v2, 16, v30
	v_cmp_lt_i32_e32 vcc_lo, 0, v9
	s_delay_alu instid0(VALU_DEP_2) | instskip(SKIP_1) | instid1(VALU_DEP_2)
	v_cmp_ne_u32_e64 s13, 0, v2
	v_and_b32_e32 v2, 16, v30
	s_and_b32 s24, s13, vcc_lo
	s_delay_alu instid0(SALU_CYCLE_1)
	s_and_saveexec_b32 s13, s24
	s_cbranch_execz .LBB2_194
; %bb.193:                              ;   in Loop: Header=BB2_59 Depth=2
	v_mov_b32_e32 v2, 1
	s_waitcnt lgkmcnt(0)
	s_waitcnt_vscnt null, 0x0
	buffer_gl1_inv
	buffer_gl0_inv
.LBB2_194:                              ;   in Loop: Header=BB2_59 Depth=2
	s_or_b32 exec_lo, exec_lo, s13
.LBB2_195:                              ;   in Loop: Header=BB2_59 Depth=2
	s_and_not1_saveexec_b32 s13, s6
	s_cbranch_execz .LBB2_217
; %bb.196:                              ;   in Loop: Header=BB2_59 Depth=2
	s_mov_b32 s6, s29
	s_mov_b32 s37, s4
	s_and_saveexec_b32 s24, s4
	s_delay_alu instid0(SALU_CYCLE_1)
	s_xor_b32 s4, exec_lo, s24
	s_cbranch_execz .LBB2_214
; %bb.197:                              ;   in Loop: Header=BB2_59 Depth=2
	s_and_saveexec_b32 s24, s1
	s_cbranch_execz .LBB2_213
; %bb.198:                              ;   in Loop: Header=BB2_59 Depth=2
	s_mov_b32 s38, exec_lo
	s_mov_b32 s29, exec_lo
	v_mbcnt_lo_u32_b32 v2, s38, 0
	;;#ASMSTART
	s_waitcnt lgkmcnt(0) vmcnt(0)
	;;#ASMEND
	s_delay_alu instid0(VALU_DEP_1)
	v_cmpx_eq_u32_e32 0, v2
	s_cbranch_execz .LBB2_200
; %bb.199:                              ;   in Loop: Header=BB2_59 Depth=2
	s_bcnt1_i32_b32 vcc_lo, s38
	s_delay_alu instid0(SALU_CYCLE_1)
	v_mov_b32_e32 v2, vcc_lo
	ds_add_u64 v0, v[2:3]
	s_cbranch_execnz .LBB2_2350
.LBB2_200:                              ;   in Loop: Header=BB2_59 Depth=2
	s_or_b32 exec_lo, exec_lo, s29
	s_cbranch_execnz .LBB2_2324
; %bb.201:                              ;   in Loop: Header=BB2_59 Depth=2
	ds_load_b64 v[14:15], v0
	v_add_co_u32 v32, vcc_lo, v32, v99
	v_add_co_ci_u32_e32 v33, vcc_lo, 0, v33, vcc_lo
	s_mov_b32 s29, exec_lo
	s_waitcnt lgkmcnt(0)
	s_delay_alu instid0(VALU_DEP_1)
	v_cmpx_lt_u64_e64 v[14:15], v[32:33]
	s_cbranch_execz .LBB2_212
; %bb.202:                              ;   in Loop: Header=BB2_59 Depth=2
	s_mov_b32 s38, 0
	s_mov_b32 s41, 0
                                        ; implicit-def: $sgpr39
                                        ; implicit-def: $sgpr40
	s_branch .LBB2_204
.LBB2_203:                              ;   in Loop: Header=BB2_204 Depth=3
	s_or_b32 exec_lo, exec_lo, s43
	s_delay_alu instid0(SALU_CYCLE_1) | instskip(NEXT) | instid1(SALU_CYCLE_1)
	s_and_b32 vcc_lo, exec_lo, vcc_lo
	s_or_b32 s38, vcc_lo, s38
	s_and_not1_b32 vcc_lo, s39, exec_lo
	s_and_b32 s39, s40, exec_lo
	s_delay_alu instid0(SALU_CYCLE_1)
	s_or_b32 s39, vcc_lo, s39
	s_and_not1_b32 exec_lo, exec_lo, s38
	s_cbranch_execz .LBB2_210
.LBB2_204:                              ;   Parent Loop BB2_51 Depth=1
                                        ;     Parent Loop BB2_59 Depth=2
                                        ; =>    This Inner Loop Header: Depth=3
	s_add_i32 s41, s41, 1
                                        ; implicit-def: $sgpr43
	s_delay_alu instid0(SALU_CYCLE_1) | instskip(SKIP_1) | instid1(SALU_CYCLE_1)
	s_cmpk_lg_i32 s41, 0x2710
	s_cselect_b32 s42, -1, 0
	s_and_b32 vcc_lo, exec_lo, s42
	s_cbranch_vccz .LBB2_208
.LBB2_205:                              ;   in Loop: Header=BB2_204 Depth=3
	s_and_not1_b32 s40, s40, exec_lo
	s_and_b32 s43, s43, exec_lo
	s_mov_b32 vcc_lo, -1
	s_or_b32 s40, s40, s43
	s_and_saveexec_b32 s43, s42
	s_cbranch_execz .LBB2_203
; %bb.206:                              ;   in Loop: Header=BB2_204 Depth=3
	s_sleep 1
	s_cbranch_execnz .LBB2_2398
; %bb.207:                              ;   in Loop: Header=BB2_204 Depth=3
	ds_load_b64 v[14:15], v0
	s_and_not1_b32 s40, s40, exec_lo
	s_waitcnt lgkmcnt(0)
	v_cmp_ge_u64_e32 vcc_lo, v[14:15], v[32:33]
	s_or_not1_b32 vcc_lo, vcc_lo, exec_lo
	s_branch .LBB2_203
.LBB2_208:                              ;   in Loop: Header=BB2_204 Depth=3
	s_cbranch_execnz .LBB2_2416
; %bb.209:                              ;   in Loop: Header=BB2_204 Depth=3
	ds_load_b64 v[14:15], v0
	s_and_not1_b32 s42, s42, exec_lo
	s_mov_b32 s41, 0
	s_mov_b32 s43, -1
	s_waitcnt lgkmcnt(0)
	s_waitcnt_vscnt null, 0x0
	flat_load_b32 v2, v[14:15] glc
	s_waitcnt vmcnt(0) lgkmcnt(0)
	buffer_gl1_inv
	buffer_gl0_inv
	v_cmp_eq_u32_e32 vcc_lo, 0, v2
	s_and_b32 vcc_lo, vcc_lo, exec_lo
	s_delay_alu instid0(SALU_CYCLE_1)
	s_or_b32 s42, s42, vcc_lo
	s_branch .LBB2_205
.LBB2_210:                              ;   in Loop: Header=BB2_59 Depth=2
	s_or_b32 exec_lo, exec_lo, s38
	s_and_saveexec_b32 vcc_lo, s39
	s_delay_alu instid0(SALU_CYCLE_1)
	s_xor_b32 vcc_lo, exec_lo, vcc_lo
	s_cbranch_execz .LBB2_212
; %bb.211:                              ;   in Loop: Header=BB2_59 Depth=2
	ds_store_b32 v0, v133
	s_cbranch_execnz .LBB2_2622
.LBB2_212:                              ;   in Loop: Header=BB2_59 Depth=2
	s_or_b32 exec_lo, exec_lo, s29
	;;#ASMSTART
	s_wakeup
	;;#ASMEND
.LBB2_213:                              ;   in Loop: Header=BB2_59 Depth=2
	s_or_b32 exec_lo, exec_lo, s24
.LBB2_214:                              ;   in Loop: Header=BB2_59 Depth=2
	s_and_not1_saveexec_b32 s4, s4
	s_cbranch_execz .LBB2_216
; %bb.215:                              ;   in Loop: Header=BB2_59 Depth=2
	;;#ASMSTART
	s_waitcnt lgkmcnt(0) vmcnt(0)
	;;#ASMEND
	s_waitcnt lgkmcnt(0)
	s_waitcnt_vscnt null, 0x0
	s_barrier
.LBB2_216:                              ;   in Loop: Header=BB2_59 Depth=2
	s_or_b32 exec_lo, exec_lo, s4
	v_and_b32_e32 v2, 16, v30
	s_mov_b32 s29, s6
	s_mov_b32 s4, s37
.LBB2_217:                              ;   in Loop: Header=BB2_59 Depth=2
	s_or_b32 exec_lo, exec_lo, s13
	s_delay_alu instid0(SALU_CYCLE_1)
	s_mov_b32 s6, exec_lo
	v_cmpx_ne_u32_e32 0, v2
	s_cbranch_execz .LBB2_221
; %bb.218:                              ;   in Loop: Header=BB2_59 Depth=2
	s_and_saveexec_b32 s13, s11
	s_cbranch_execz .LBB2_220
; %bb.219:                              ;   in Loop: Header=BB2_59 Depth=2
	s_waitcnt lgkmcnt(0)
	s_waitcnt_vscnt null, 0x0
	flat_store_b32 v[28:29], v133
.LBB2_220:                              ;   in Loop: Header=BB2_59 Depth=2
	s_or_b32 exec_lo, exec_lo, s13
	v_add_co_u32 v24, vcc_lo, v24, 2
	v_add_co_ci_u32_e32 v25, vcc_lo, 0, v25, vcc_lo
	s_waitcnt lgkmcnt(0)
	s_waitcnt_vscnt null, 0x0
	flat_store_b64 v[22:23], v[24:25]
.LBB2_221:                              ;   in Loop: Header=BB2_59 Depth=2
	s_or_b32 exec_lo, exec_lo, s6
	v_add_nc_u32_e32 v10, v8, v10
	s_xor_b32 s6, s30, -1
	v_mov_b32_e32 v2, s36
	s_mov_b32 s30, 0
	s_mov_b32 s36, 2
	v_cmp_ge_i32_e32 vcc_lo, v10, v68
	s_or_b32 s6, s6, vcc_lo
	s_delay_alu instid0(SALU_CYCLE_1) | instskip(NEXT) | instid1(SALU_CYCLE_1)
	s_and_b32 s6, exec_lo, s6
	s_or_b32 s17, s6, s17
	s_delay_alu instid0(SALU_CYCLE_1)
	s_and_not1_b32 exec_lo, exec_lo, s17
	s_cbranch_execnz .LBB2_59
; %bb.222:                              ;   in Loop: Header=BB2_51 Depth=1
	s_or_b32 exec_lo, exec_lo, s17
.LBB2_223:                              ;   in Loop: Header=BB2_51 Depth=1
	s_delay_alu instid0(SALU_CYCLE_1) | instskip(NEXT) | instid1(SALU_CYCLE_1)
	s_or_b32 exec_lo, exec_lo, s15
	s_mov_b32 s15, exec_lo
	v_cmpx_gt_i32_e32 2, v2
	s_cbranch_execz .LBB2_306
; %bb.224:                              ;   in Loop: Header=BB2_51 Depth=1
	v_cmp_eq_u32_e64 s13, 0, v2
	s_mov_b32 s17, 0
.LBB2_225:                              ;   Parent Loop BB2_51 Depth=1
                                        ; =>  This Loop Header: Depth=2
                                        ;       Child Loop BB2_231 Depth 3
                                        ;       Child Loop BB2_260 Depth 3
	;; [unrolled: 1-line block ×3, first 2 shown]
	v_and_b32_e32 v2, 8, v30
	s_mov_b32 s24, -1
	s_mov_b32 s6, exec_lo
	s_delay_alu instid0(VALU_DEP_1)
	v_cmpx_ne_u32_e32 0, v2
	s_cbranch_execz .LBB2_239
; %bb.226:                              ;   in Loop: Header=BB2_225 Depth=2
	v_add_co_u32 v13, vcc_lo, v34, 8
	v_add_co_ci_u32_e32 v14, vcc_lo, 0, v35, vcc_lo
	v_add_co_u32 v11, vcc_lo, v24, 2
	v_add_co_ci_u32_e32 v12, vcc_lo, 0, v25, vcc_lo
	v_mov_b32_e32 v2, 1
	s_mov_b32 s24, exec_lo
	s_delay_alu instid0(VALU_DEP_2)
	v_cmpx_lt_u64_e64 v[13:14], v[11:12]
	s_cbranch_execz .LBB2_238
; %bb.227:                              ;   in Loop: Header=BB2_225 Depth=2
	v_mov_b32_e32 v2, 0
	s_mov_b32 s30, 0
                                        ; implicit-def: $sgpr36
	s_branch .LBB2_231
.LBB2_228:                              ;   in Loop: Header=BB2_231 Depth=3
	s_or_b32 exec_lo, exec_lo, s40
	v_mov_b32_e32 v9, 0
	s_or_not1_b32 s39, s39, exec_lo
.LBB2_229:                              ;   in Loop: Header=BB2_231 Depth=3
	s_or_b32 exec_lo, exec_lo, s38
	s_delay_alu instid0(VALU_DEP_1) | instskip(SKIP_2) | instid1(SALU_CYCLE_1)
	v_mov_b32_e32 v2, v9
	s_and_not1_b32 vcc_lo, s36, exec_lo
	s_and_b32 s36, s39, exec_lo
	s_or_b32 s36, vcc_lo, s36
.LBB2_230:                              ;   in Loop: Header=BB2_231 Depth=3
	s_or_b32 exec_lo, exec_lo, s37
	s_waitcnt vmcnt(0) lgkmcnt(0)
	v_add_co_u32 v13, vcc_lo, v34, 8
	v_add_co_ci_u32_e32 v14, vcc_lo, 0, v35, vcc_lo
	s_xor_b32 s37, s36, -1
	s_delay_alu instid0(VALU_DEP_1) | instskip(SKIP_1) | instid1(SALU_CYCLE_1)
	v_cmp_ge_u64_e32 vcc_lo, v[13:14], v[11:12]
	s_or_b32 vcc_lo, s37, vcc_lo
	s_and_b32 vcc_lo, exec_lo, vcc_lo
	s_delay_alu instid0(SALU_CYCLE_1) | instskip(NEXT) | instid1(SALU_CYCLE_1)
	s_or_b32 s30, vcc_lo, s30
	s_and_not1_b32 exec_lo, exec_lo, s30
	s_cbranch_execz .LBB2_237
.LBB2_231:                              ;   Parent Loop BB2_51 Depth=1
                                        ;     Parent Loop BB2_225 Depth=2
                                        ; =>    This Inner Loop Header: Depth=3
	s_sleep 1
	flat_load_b64 v[34:35], v[22:23] glc
	v_and_b32_e32 v9, 64, v30
	s_and_not1_b32 s36, s36, exec_lo
	s_mov_b32 s37, exec_lo
	s_delay_alu instid0(VALU_DEP_1)
	v_cmpx_eq_u32_e32 0, v9
	s_cbranch_execz .LBB2_230
; %bb.232:                              ;   in Loop: Header=BB2_231 Depth=3
	v_add_nc_u32_e32 v9, 1, v2
	s_mov_b32 s39, -1
	s_mov_b32 s38, exec_lo
	v_cmpx_lt_i32_e32 0x270e, v2
	s_cbranch_execz .LBB2_229
; %bb.233:                              ;   in Loop: Header=BB2_231 Depth=3
	s_cbranch_execnz .LBB2_2223
; %bb.234:                              ;   in Loop: Header=BB2_231 Depth=3
	ds_load_b64 v[13:14], v0
	s_mov_b32 s40, exec_lo
	s_waitcnt vmcnt(0) lgkmcnt(0)
	s_waitcnt_vscnt null, 0x0
	flat_load_b32 v2, v[13:14] glc
	s_waitcnt vmcnt(0) lgkmcnt(0)
	buffer_gl1_inv
	buffer_gl0_inv
	v_cmpx_ne_u32_e32 0, v2
	s_cbranch_execz .LBB2_228
; %bb.235:                              ;   in Loop: Header=BB2_231 Depth=3
	ds_store_b32 v0, v2
	s_cbranch_execnz .LBB2_2235
; %bb.236:                              ;   in Loop: Header=BB2_231 Depth=3
	v_or_b32_e32 v30, 64, v30
	s_xor_b32 s39, exec_lo, -1
	s_branch .LBB2_228
.LBB2_237:                              ;   in Loop: Header=BB2_225 Depth=2
	s_or_b32 exec_lo, exec_lo, s30
	v_and_b32_e32 v2, 8, v30
.LBB2_238:                              ;   in Loop: Header=BB2_225 Depth=2
	s_or_b32 exec_lo, exec_lo, s24
	s_delay_alu instid0(VALU_DEP_1)
	v_cmp_eq_u32_e32 vcc_lo, 0, v2
	;;#ASMSTART
	s_wakeup
	;;#ASMEND
	s_or_not1_b32 s24, vcc_lo, exec_lo
.LBB2_239:                              ;   in Loop: Header=BB2_225 Depth=2
	s_or_b32 exec_lo, exec_lo, s6
	v_sub_nc_u32_e32 v2, v68, v10
	s_xor_b32 s6, s13, -1
	s_delay_alu instid0(SALU_CYCLE_1) | instskip(NEXT) | instid1(SALU_CYCLE_1)
	s_and_b32 s6, exec_lo, s6
	s_or_b32 s17, s6, s17
	s_delay_alu instid0(VALU_DEP_1) | instskip(SKIP_1) | instid1(SALU_CYCLE_1)
	v_min_i32_e32 v8, v8, v2
	s_xor_b32 s13, s24, -1
	s_and_saveexec_b32 s6, s13
	s_cbranch_execz .LBB2_247
; %bb.240:                              ;   in Loop: Header=BB2_225 Depth=2
	v_and_b32_e32 v2, 0x100, v30
	s_mov_b32 s24, 0
	s_mov_b32 s13, exec_lo
                                        ; implicit-def: $vgpr13_vgpr14
	s_delay_alu instid0(VALU_DEP_1)
	v_cmpx_ne_u32_e32 0, v2
	s_xor_b32 s13, exec_lo, s13
                                        ; implicit-def: $vgpr11_vgpr12
	s_cbranch_execnz .LBB2_255
; %bb.241:                              ;   in Loop: Header=BB2_225 Depth=2
	s_and_not1_saveexec_b32 s13, s13
	s_cbranch_execnz .LBB2_258
.LBB2_242:                              ;   in Loop: Header=BB2_225 Depth=2
	s_or_b32 exec_lo, exec_lo, s13
	s_and_saveexec_b32 s13, s24
.LBB2_243:                              ;   in Loop: Header=BB2_225 Depth=2
	v_mul_lo_u32 v2, v3, v87
	v_mul_lo_u32 v9, v11, v96
	v_mad_u64_u32 v[13:14], null, v11, v87, 0
	s_delay_alu instid0(VALU_DEP_1)
	v_add3_u32 v14, v14, v9, v2
.LBB2_244:                              ;   in Loop: Header=BB2_225 Depth=2
	s_or_b32 exec_lo, exec_lo, s13
	s_delay_alu instid0(VALU_DEP_1) | instskip(SKIP_2) | instid1(VALU_DEP_2)
	v_lshlrev_b64 v[11:12], 1, v[13:14]
	v_and_b32_e32 v2, 0x2000, v30
	s_mov_b32 s13, exec_lo
	v_add_co_u32 v11, vcc_lo, v26, v11
	s_delay_alu instid0(VALU_DEP_3)
	v_add_co_ci_u32_e32 v12, vcc_lo, v27, v12, vcc_lo
	ds_store_b64 v0, v[11:12] offset:784
	v_cmpx_ne_u32_e32 0, v2
	s_cbranch_execz .LBB2_246
; %bb.245:                              ;   in Loop: Header=BB2_225 Depth=2
	ds_load_b64 v[11:12], v0 offset:584
	s_waitcnt lgkmcnt(0)
	v_add_co_u32 v11, vcc_lo, v11, 1
	v_add_co_ci_u32_e32 v12, vcc_lo, 0, v12, vcc_lo
	ds_store_b64 v0, v[11:12] offset:584
.LBB2_246:                              ;   in Loop: Header=BB2_225 Depth=2
	s_or_b32 exec_lo, exec_lo, s13
	v_add_co_u32 v24, vcc_lo, v24, 2
	v_add_co_ci_u32_e32 v25, vcc_lo, 0, v25, vcc_lo
.LBB2_247:                              ;   in Loop: Header=BB2_225 Depth=2
	s_or_b32 exec_lo, exec_lo, s6
	s_and_saveexec_b32 s13, s3
	s_cbranch_execz .LBB2_273
; %bb.248:                              ;   in Loop: Header=BB2_225 Depth=2
	s_and_saveexec_b32 s6, s4
	s_delay_alu instid0(SALU_CYCLE_1)
	s_xor_b32 s6, exec_lo, s6
	s_cbranch_execz .LBB2_270
; %bb.249:                              ;   in Loop: Header=BB2_225 Depth=2
	s_and_saveexec_b32 s24, s1
	s_cbranch_execz .LBB2_269
; %bb.250:                              ;   in Loop: Header=BB2_225 Depth=2
	s_mov_b32 s36, exec_lo
	s_mov_b32 s30, exec_lo
	v_mbcnt_lo_u32_b32 v2, s36, 0
	s_waitcnt lgkmcnt(0)
	s_waitcnt_vscnt null, 0x0
	buffer_gl1_inv
	buffer_gl0_inv
	v_cmpx_eq_u32_e32 0, v2
	s_cbranch_execz .LBB2_252
; %bb.251:                              ;   in Loop: Header=BB2_225 Depth=2
	s_bcnt1_i32_b32 vcc_lo, s36
	s_delay_alu instid0(SALU_CYCLE_1)
	v_mov_b32_e32 v2, vcc_lo
	ds_add_u64 v0, v[2:3]
	s_cbranch_execnz .LBB2_2266
.LBB2_252:                              ;   in Loop: Header=BB2_225 Depth=2
	s_or_b32 exec_lo, exec_lo, s30
	s_cbranch_execnz .LBB2_2248
; %bb.253:                              ;   in Loop: Header=BB2_225 Depth=2
	ds_load_b64 v[11:12], v0
	v_add_co_u32 v32, vcc_lo, v32, v99
	v_add_co_ci_u32_e32 v33, vcc_lo, 0, v33, vcc_lo
	s_mov_b32 s30, exec_lo
	s_waitcnt lgkmcnt(0)
	s_delay_alu instid0(VALU_DEP_1)
	v_cmpx_lt_u64_e64 v[11:12], v[32:33]
	s_cbranch_execz .LBB2_268
; %bb.254:                              ;   in Loop: Header=BB2_225 Depth=2
	s_mov_b32 s36, 0
	s_mov_b32 s39, 0
                                        ; implicit-def: $sgpr37
                                        ; implicit-def: $sgpr38
	s_branch .LBB2_260
.LBB2_255:                              ;   in Loop: Header=BB2_225 Depth=2
	v_and_b32_e32 v11, 7, v24
	v_ashrrev_i32_e32 v9, 31, v8
	s_mov_b32 s24, -1
	s_mov_b32 s30, exec_lo
	s_delay_alu instid0(VALU_DEP_2) | instskip(NEXT) | instid1(VALU_DEP_2)
	v_mad_u64_u32 v[64:65], null, v11, 24, v[6:7]
	v_lshlrev_b64 v[12:13], 1, v[8:9]
	flat_load_b32 v2, v[64:65]
	flat_store_b64 v[64:65], v[12:13] offset:8
                                        ; implicit-def: $vgpr13_vgpr14
	s_waitcnt vmcnt(0) lgkmcnt(1)
	v_cmpx_eq_u32_e32 1, v2
	s_cbranch_execz .LBB2_257
; %bb.256:                              ;   in Loop: Header=BB2_225 Depth=2
	flat_load_b32 v11, v[64:65] offset:4 glc
	s_xor_b32 s24, exec_lo, -1
	s_waitcnt vmcnt(0) lgkmcnt(0)
	v_ashrrev_i32_e32 v12, 31, v11
	s_delay_alu instid0(VALU_DEP_1)
	v_lshrrev_b64 v[13:14], 1, v[11:12]
                                        ; implicit-def: $vgpr11_vgpr12
.LBB2_257:                              ;   in Loop: Header=BB2_225 Depth=2
	s_or_b32 exec_lo, exec_lo, s30
	s_delay_alu instid0(SALU_CYCLE_1)
	s_and_b32 s24, s24, exec_lo
	s_and_not1_saveexec_b32 s13, s13
	s_cbranch_execz .LBB2_242
.LBB2_258:                              ;   in Loop: Header=BB2_225 Depth=2
	v_and_b32_e32 v11, 7, v24
	s_or_b32 s24, s24, exec_lo
                                        ; implicit-def: $vgpr13_vgpr14
	s_or_b32 exec_lo, exec_lo, s13
	s_and_saveexec_b32 s13, s24
	s_cbranch_execnz .LBB2_243
	s_branch .LBB2_244
.LBB2_259:                              ;   in Loop: Header=BB2_260 Depth=3
	s_or_b32 exec_lo, exec_lo, s41
	s_delay_alu instid0(SALU_CYCLE_1) | instskip(NEXT) | instid1(SALU_CYCLE_1)
	s_and_b32 vcc_lo, exec_lo, vcc_lo
	s_or_b32 s36, vcc_lo, s36
	s_and_not1_b32 vcc_lo, s37, exec_lo
	s_and_b32 s37, s38, exec_lo
	s_delay_alu instid0(SALU_CYCLE_1)
	s_or_b32 s37, vcc_lo, s37
	s_and_not1_b32 exec_lo, exec_lo, s36
	s_cbranch_execz .LBB2_266
.LBB2_260:                              ;   Parent Loop BB2_51 Depth=1
                                        ;     Parent Loop BB2_225 Depth=2
                                        ; =>    This Inner Loop Header: Depth=3
	s_add_i32 s39, s39, 1
                                        ; implicit-def: $sgpr41
	s_delay_alu instid0(SALU_CYCLE_1) | instskip(SKIP_1) | instid1(SALU_CYCLE_1)
	s_cmpk_lg_i32 s39, 0x2710
	s_cselect_b32 s40, -1, 0
	s_and_b32 vcc_lo, exec_lo, s40
	s_cbranch_vccz .LBB2_264
.LBB2_261:                              ;   in Loop: Header=BB2_260 Depth=3
	s_and_not1_b32 s38, s38, exec_lo
	s_and_b32 s41, s41, exec_lo
	s_mov_b32 vcc_lo, -1
	s_or_b32 s38, s38, s41
	s_and_saveexec_b32 s41, s40
	s_cbranch_execz .LBB2_259
; %bb.262:                              ;   in Loop: Header=BB2_260 Depth=3
	s_sleep 1
	s_cbranch_execnz .LBB2_2296
; %bb.263:                              ;   in Loop: Header=BB2_260 Depth=3
	ds_load_b64 v[11:12], v0
	s_and_not1_b32 s38, s38, exec_lo
	s_waitcnt lgkmcnt(0)
	v_cmp_ge_u64_e32 vcc_lo, v[11:12], v[32:33]
	s_or_not1_b32 vcc_lo, vcc_lo, exec_lo
	s_branch .LBB2_259
.LBB2_264:                              ;   in Loop: Header=BB2_260 Depth=3
	s_cbranch_execnz .LBB2_2302
; %bb.265:                              ;   in Loop: Header=BB2_260 Depth=3
	ds_load_b64 v[11:12], v0
	s_and_not1_b32 s40, s40, exec_lo
	s_mov_b32 s39, 0
	s_mov_b32 s41, -1
	s_waitcnt lgkmcnt(0)
	flat_load_b32 v2, v[11:12] glc
	s_waitcnt vmcnt(0) lgkmcnt(0)
	buffer_gl1_inv
	buffer_gl0_inv
	v_cmp_eq_u32_e32 vcc_lo, 0, v2
	s_and_b32 vcc_lo, vcc_lo, exec_lo
	s_delay_alu instid0(SALU_CYCLE_1)
	s_or_b32 s40, s40, vcc_lo
	s_branch .LBB2_261
.LBB2_266:                              ;   in Loop: Header=BB2_225 Depth=2
	s_or_b32 exec_lo, exec_lo, s36
	s_and_saveexec_b32 vcc_lo, s37
	s_delay_alu instid0(SALU_CYCLE_1)
	s_xor_b32 vcc_lo, exec_lo, vcc_lo
	s_cbranch_execz .LBB2_268
; %bb.267:                              ;   in Loop: Header=BB2_225 Depth=2
	ds_store_b32 v0, v133
	s_cbranch_execnz .LBB2_2510
.LBB2_268:                              ;   in Loop: Header=BB2_225 Depth=2
	s_or_b32 exec_lo, exec_lo, s30
	;;#ASMSTART
	s_wakeup
	;;#ASMEND
.LBB2_269:                              ;   in Loop: Header=BB2_225 Depth=2
	s_or_b32 exec_lo, exec_lo, s24
.LBB2_270:                              ;   in Loop: Header=BB2_225 Depth=2
	s_and_not1_saveexec_b32 s6, s6
	s_cbranch_execz .LBB2_272
; %bb.271:                              ;   in Loop: Header=BB2_225 Depth=2
	s_waitcnt lgkmcnt(0)
	s_waitcnt_vscnt null, 0x0
	buffer_gl1_inv
	buffer_gl0_inv
	s_barrier
.LBB2_272:                              ;   in Loop: Header=BB2_225 Depth=2
	s_or_b32 exec_lo, exec_lo, s6
.LBB2_273:                              ;   in Loop: Header=BB2_225 Depth=2
	s_delay_alu instid0(SALU_CYCLE_1) | instskip(SKIP_1) | instid1(SALU_CYCLE_1)
	s_or_b32 exec_lo, exec_lo, s13
                                        ; implicit-def: $vgpr2
	s_and_saveexec_b32 s6, s7
	s_xor_b32 s6, exec_lo, s6
	s_cbranch_execz .LBB2_278
; %bb.274:                              ;   in Loop: Header=BB2_225 Depth=2
	s_cbranch_execnz .LBB2_2221
; %bb.275:                              ;   in Loop: Header=BB2_225 Depth=2
	ds_load_b32 v2, v0
	v_cmp_lt_i32_e32 vcc_lo, 0, v8
	s_waitcnt lgkmcnt(0)
	v_readfirstlane_b32 s13, v2
	v_and_b32_e32 v2, 16, v30
	s_delay_alu instid0(VALU_DEP_2) | instskip(NEXT) | instid1(VALU_DEP_1)
	s_cmp_eq_u32 s13, 0
	v_cmp_ne_u32_e64 s13, 0, v2
	s_cselect_b32 s24, -1, 0
	v_and_b32_e32 v2, 16, v30
	s_and_b32 s24, vcc_lo, s24
	s_delay_alu instid0(VALU_DEP_2) | instid1(SALU_CYCLE_1)
	s_and_b32 s24, s13, s24
	s_delay_alu instid0(SALU_CYCLE_1)
	s_and_saveexec_b32 s13, s24
	s_cbranch_execz .LBB2_277
; %bb.276:                              ;   in Loop: Header=BB2_225 Depth=2
	v_mov_b32_e32 v2, 1
	s_waitcnt_vscnt null, 0x0
	buffer_gl1_inv
	buffer_gl0_inv
.LBB2_277:                              ;   in Loop: Header=BB2_225 Depth=2
	s_or_b32 exec_lo, exec_lo, s13
.LBB2_278:                              ;   in Loop: Header=BB2_225 Depth=2
	s_and_not1_saveexec_b32 s13, s6
	s_cbranch_execz .LBB2_300
; %bb.279:                              ;   in Loop: Header=BB2_225 Depth=2
	s_and_saveexec_b32 s6, s4
	s_delay_alu instid0(SALU_CYCLE_1)
	s_xor_b32 s6, exec_lo, s6
	s_cbranch_execz .LBB2_297
; %bb.280:                              ;   in Loop: Header=BB2_225 Depth=2
	s_and_saveexec_b32 s24, s1
	s_cbranch_execz .LBB2_296
; %bb.281:                              ;   in Loop: Header=BB2_225 Depth=2
	s_mov_b32 s36, exec_lo
	s_mov_b32 s30, exec_lo
	v_mbcnt_lo_u32_b32 v2, s36, 0
	;;#ASMSTART
	s_waitcnt lgkmcnt(0) vmcnt(0)
	;;#ASMEND
	s_delay_alu instid0(VALU_DEP_1)
	v_cmpx_eq_u32_e32 0, v2
	s_cbranch_execz .LBB2_283
; %bb.282:                              ;   in Loop: Header=BB2_225 Depth=2
	s_bcnt1_i32_b32 vcc_lo, s36
	s_delay_alu instid0(SALU_CYCLE_1)
	v_mov_b32_e32 v2, vcc_lo
	ds_add_u64 v0, v[2:3]
	s_cbranch_execnz .LBB2_2284
.LBB2_283:                              ;   in Loop: Header=BB2_225 Depth=2
	s_or_b32 exec_lo, exec_lo, s30
	s_cbranch_execnz .LBB2_2262
; %bb.284:                              ;   in Loop: Header=BB2_225 Depth=2
	ds_load_b64 v[11:12], v0
	v_add_co_u32 v32, vcc_lo, v32, v99
	v_add_co_ci_u32_e32 v33, vcc_lo, 0, v33, vcc_lo
	s_mov_b32 s30, exec_lo
	s_waitcnt lgkmcnt(0)
	s_delay_alu instid0(VALU_DEP_1)
	v_cmpx_lt_u64_e64 v[11:12], v[32:33]
	s_cbranch_execz .LBB2_295
; %bb.285:                              ;   in Loop: Header=BB2_225 Depth=2
	s_mov_b32 s36, 0
	s_mov_b32 s39, 0
                                        ; implicit-def: $sgpr37
                                        ; implicit-def: $sgpr38
	s_branch .LBB2_287
.LBB2_286:                              ;   in Loop: Header=BB2_287 Depth=3
	s_or_b32 exec_lo, exec_lo, s41
	s_delay_alu instid0(SALU_CYCLE_1) | instskip(NEXT) | instid1(SALU_CYCLE_1)
	s_and_b32 vcc_lo, exec_lo, vcc_lo
	s_or_b32 s36, vcc_lo, s36
	s_and_not1_b32 vcc_lo, s37, exec_lo
	s_and_b32 s37, s38, exec_lo
	s_delay_alu instid0(SALU_CYCLE_1)
	s_or_b32 s37, vcc_lo, s37
	s_and_not1_b32 exec_lo, exec_lo, s36
	s_cbranch_execz .LBB2_293
.LBB2_287:                              ;   Parent Loop BB2_51 Depth=1
                                        ;     Parent Loop BB2_225 Depth=2
                                        ; =>    This Inner Loop Header: Depth=3
	s_add_i32 s39, s39, 1
                                        ; implicit-def: $sgpr41
	s_delay_alu instid0(SALU_CYCLE_1) | instskip(SKIP_1) | instid1(SALU_CYCLE_1)
	s_cmpk_lg_i32 s39, 0x2710
	s_cselect_b32 s40, -1, 0
	s_and_b32 vcc_lo, exec_lo, s40
	s_cbranch_vccz .LBB2_291
.LBB2_288:                              ;   in Loop: Header=BB2_287 Depth=3
	s_and_not1_b32 s38, s38, exec_lo
	s_and_b32 s41, s41, exec_lo
	s_mov_b32 vcc_lo, -1
	s_or_b32 s38, s38, s41
	s_and_saveexec_b32 s41, s40
	s_cbranch_execz .LBB2_286
; %bb.289:                              ;   in Loop: Header=BB2_287 Depth=3
	s_sleep 1
	s_cbranch_execnz .LBB2_2308
; %bb.290:                              ;   in Loop: Header=BB2_287 Depth=3
	ds_load_b64 v[11:12], v0
	s_and_not1_b32 s38, s38, exec_lo
	s_waitcnt lgkmcnt(0)
	v_cmp_ge_u64_e32 vcc_lo, v[11:12], v[32:33]
	s_or_not1_b32 vcc_lo, vcc_lo, exec_lo
	s_branch .LBB2_286
.LBB2_291:                              ;   in Loop: Header=BB2_287 Depth=3
	s_cbranch_execnz .LBB2_2320
; %bb.292:                              ;   in Loop: Header=BB2_287 Depth=3
	ds_load_b64 v[11:12], v0
	s_and_not1_b32 s40, s40, exec_lo
	s_mov_b32 s39, 0
	s_mov_b32 s41, -1
	s_waitcnt lgkmcnt(0)
	s_waitcnt_vscnt null, 0x0
	flat_load_b32 v2, v[11:12] glc
	s_waitcnt vmcnt(0) lgkmcnt(0)
	buffer_gl1_inv
	buffer_gl0_inv
	v_cmp_eq_u32_e32 vcc_lo, 0, v2
	s_and_b32 vcc_lo, vcc_lo, exec_lo
	s_delay_alu instid0(SALU_CYCLE_1)
	s_or_b32 s40, s40, vcc_lo
	s_branch .LBB2_288
.LBB2_293:                              ;   in Loop: Header=BB2_225 Depth=2
	s_or_b32 exec_lo, exec_lo, s36
	s_and_saveexec_b32 vcc_lo, s37
	s_delay_alu instid0(SALU_CYCLE_1)
	s_xor_b32 vcc_lo, exec_lo, vcc_lo
	s_cbranch_execz .LBB2_295
; %bb.294:                              ;   in Loop: Header=BB2_225 Depth=2
	ds_store_b32 v0, v133
	s_cbranch_execnz .LBB2_2528
.LBB2_295:                              ;   in Loop: Header=BB2_225 Depth=2
	s_or_b32 exec_lo, exec_lo, s30
	;;#ASMSTART
	s_wakeup
	;;#ASMEND
.LBB2_296:                              ;   in Loop: Header=BB2_225 Depth=2
	s_or_b32 exec_lo, exec_lo, s24
.LBB2_297:                              ;   in Loop: Header=BB2_225 Depth=2
	s_and_not1_saveexec_b32 s6, s6
	s_cbranch_execz .LBB2_299
; %bb.298:                              ;   in Loop: Header=BB2_225 Depth=2
	;;#ASMSTART
	s_waitcnt lgkmcnt(0) vmcnt(0)
	;;#ASMEND
	s_waitcnt lgkmcnt(0)
	s_waitcnt_vscnt null, 0x0
	s_barrier
.LBB2_299:                              ;   in Loop: Header=BB2_225 Depth=2
	s_or_b32 exec_lo, exec_lo, s6
	v_and_b32_e32 v2, 16, v30
.LBB2_300:                              ;   in Loop: Header=BB2_225 Depth=2
	s_or_b32 exec_lo, exec_lo, s13
	s_delay_alu instid0(SALU_CYCLE_1) | instskip(NEXT) | instid1(VALU_DEP_1)
	s_mov_b32 s6, exec_lo
	v_cmpx_ne_u32_e32 0, v2
	s_cbranch_execz .LBB2_304
; %bb.301:                              ;   in Loop: Header=BB2_225 Depth=2
	s_and_saveexec_b32 s13, s11
	s_cbranch_execz .LBB2_303
; %bb.302:                              ;   in Loop: Header=BB2_225 Depth=2
	s_waitcnt lgkmcnt(0)
	s_waitcnt_vscnt null, 0x0
	flat_store_b32 v[28:29], v133
.LBB2_303:                              ;   in Loop: Header=BB2_225 Depth=2
	s_or_b32 exec_lo, exec_lo, s13
	v_add_co_u32 v24, vcc_lo, v24, 2
	v_add_co_ci_u32_e32 v25, vcc_lo, 0, v25, vcc_lo
	s_waitcnt lgkmcnt(0)
	s_waitcnt_vscnt null, 0x0
	flat_store_b64 v[22:23], v[24:25]
.LBB2_304:                              ;   in Loop: Header=BB2_225 Depth=2
	s_or_b32 exec_lo, exec_lo, s6
	v_add_nc_u32_e32 v10, v8, v10
	s_mov_b32 s13, 0
	s_and_not1_b32 exec_lo, exec_lo, s17
	s_cbranch_execnz .LBB2_225
; %bb.305:                              ;   in Loop: Header=BB2_51 Depth=1
	s_or_b32 exec_lo, exec_lo, s17
.LBB2_306:                              ;   in Loop: Header=BB2_51 Depth=1
	s_delay_alu instid0(SALU_CYCLE_1) | instskip(NEXT) | instid1(SALU_CYCLE_1)
	s_or_b32 exec_lo, exec_lo, s15
	s_and_not1_b32 vcc_lo, exec_lo, s29
	s_cbranch_vccnz .LBB2_815
; %bb.307:                              ;   in Loop: Header=BB2_51 Depth=1
	s_mov_b32 s17, 2
.LBB2_308:                              ;   Parent Loop BB2_51 Depth=1
                                        ; =>  This Loop Header: Depth=2
                                        ;       Child Loop BB2_310 Depth 3
                                        ;         Child Loop BB2_319 Depth 4
                                        ;         Child Loop BB2_349 Depth 4
	;; [unrolled: 1-line block ×9, first 2 shown]
                                        ;       Child Loop BB2_730 Depth 3
                                        ;         Child Loop BB2_736 Depth 4
                                        ;         Child Loop BB2_768 Depth 4
                                        ;         Child Loop BB2_790 Depth 4
	s_delay_alu instid0(SALU_CYCLE_1) | instskip(SKIP_3) | instid1(SALU_CYCLE_1)
	s_sub_i32 s6, s25, s17
	v_mov_b32_e32 v66, 0
	s_cmp_le_i32 s19, s6
	s_cselect_b32 s13, s19, 0
	s_sub_i32 s6, s6, s13
	s_delay_alu instid0(SALU_CYCLE_1) | instskip(SKIP_4) | instid1(VALU_DEP_1)
	s_ashr_i32 s13, s6, 31
	v_mul_lo_u32 v2, v51, s6
	v_mad_u64_u32 v[8:9], null, v50, s6, 0
	v_mul_lo_u32 v10, v50, s13
	s_mov_b32 s13, 0
	v_add3_u32 v9, v9, v10, v2
	s_delay_alu instid0(VALU_DEP_3) | instskip(NEXT) | instid1(VALU_DEP_2)
	v_sub_co_u32 v10, vcc_lo, v52, v8
	v_sub_co_ci_u32_e32 v11, vcc_lo, v53, v9, vcc_lo
	s_delay_alu instid0(VALU_DEP_1) | instskip(SKIP_1) | instid1(VALU_DEP_1)
	v_cmp_lt_i64_e32 vcc_lo, v[50:51], v[10:11]
	v_cndmask_b32_e32 v10, v10, v50, vcc_lo
	v_max_i32_e32 v84, 0, v10
	v_cmp_lt_i32_e32 vcc_lo, 0, v10
	s_delay_alu instid0(VALU_DEP_2) | instskip(SKIP_1) | instid1(VALU_DEP_1)
	v_add_nc_u32_e32 v2, 31, v84
	s_and_b32 s6, s16, vcc_lo
	v_lshrrev_b32_e32 v2, 1, v2
	s_delay_alu instid0(VALU_DEP_1) | instskip(NEXT) | instid1(VALU_DEP_1)
	v_dual_mov_b32 v2, 0 :: v_dual_and_b32 v11, 0x3ffffff0, v2
	v_max_i32_e32 v64, s28, v11
	s_and_saveexec_b32 s30, s6
	s_cbranch_execz .LBB2_728
; %bb.309:                              ;   in Loop: Header=BB2_308 Depth=2
	v_lshlrev_b64 v[68:69], 1, v[8:9]
	v_mov_b32_e32 v66, 0
	s_mov_b32 s24, 1
	s_mov_b32 s15, -1
.LBB2_310:                              ;   Parent Loop BB2_51 Depth=1
                                        ;     Parent Loop BB2_308 Depth=2
                                        ; =>    This Loop Header: Depth=3
                                        ;         Child Loop BB2_319 Depth 4
                                        ;         Child Loop BB2_349 Depth 4
	;; [unrolled: 1-line block ×9, first 2 shown]
	s_and_saveexec_b32 s6, s0
	s_cbranch_execz .LBB2_313
; %bb.311:                              ;   in Loop: Header=BB2_310 Depth=3
	s_cbranch_execnz .LBB2_2231
; %bb.312:                              ;   in Loop: Header=BB2_310 Depth=3
	ds_load_b64 v[8:9], v0
	v_lshlrev_b64 v[10:11], 1, v[54:55]
	v_ashrrev_i32_e32 v67, 31, v66
	s_waitcnt lgkmcnt(0)
	s_delay_alu instid0(VALU_DEP_2) | instskip(NEXT) | instid1(VALU_DEP_3)
	v_add_co_u32 v2, vcc_lo, v8, v10
	v_add_co_ci_u32_e32 v10, vcc_lo, v9, v11, vcc_lo
	s_delay_alu instid0(VALU_DEP_3) | instskip(NEXT) | instid1(VALU_DEP_3)
	v_lshlrev_b64 v[8:9], 1, v[66:67]
	v_add_co_u32 v2, vcc_lo, v2, v68
	s_delay_alu instid0(VALU_DEP_3) | instskip(NEXT) | instid1(VALU_DEP_2)
	v_add_co_ci_u32_e32 v10, vcc_lo, v10, v69, vcc_lo
	v_add_co_u32 v8, vcc_lo, v2, v8
	s_delay_alu instid0(VALU_DEP_2)
	v_add_co_ci_u32_e32 v9, vcc_lo, v10, v9, vcc_lo
	v_mov_b32_e32 v2, v3
	ds_store_b64 v0, v[8:9]
	ds_store_b64 v0, v[2:3]
.LBB2_313:                              ;   in Loop: Header=BB2_310 Depth=3
	s_or_b32 exec_lo, exec_lo, s6
	v_and_b32_e32 v2, 12, v30
	s_mov_b32 s36, -1
	s_mov_b32 s6, exec_lo
	s_delay_alu instid0(VALU_DEP_1)
	v_cmpx_ne_u32_e32 0, v2
	v_writelane_b32 v42, s13, 10
	v_writelane_b32 v42, s15, 11
	;; [unrolled: 1-line block ×3, first 2 shown]
	s_cbranch_execz .LBB2_327
; %bb.314:                              ;   in Loop: Header=BB2_310 Depth=3
	v_and_b32_e32 v2, 8, v30
	s_mov_b32 s13, s29
	s_delay_alu instid0(VALU_DEP_1) | instskip(SKIP_3) | instid1(VALU_DEP_1)
	v_add_co_u32 v10, vcc_lo, v34, v2
	v_add_co_ci_u32_e32 v11, vcc_lo, 0, v35, vcc_lo
	v_add_co_u32 v8, vcc_lo, v24, 2
	v_add_co_ci_u32_e32 v9, vcc_lo, 0, v25, vcc_lo
	v_cmp_lt_u64_e32 vcc_lo, v[10:11], v[8:9]
	v_mov_b32_e32 v10, 1
	s_and_saveexec_b32 s15, vcc_lo
	s_cbranch_execz .LBB2_326
; %bb.315:                              ;   in Loop: Header=BB2_310 Depth=3
	v_mov_b32_e32 v10, 0
	s_mov_b32 s24, 0
                                        ; implicit-def: $sgpr29
	s_branch .LBB2_319
.LBB2_316:                              ;   in Loop: Header=BB2_319 Depth=4
	s_or_b32 exec_lo, exec_lo, s39
	v_mov_b32_e32 v11, 0
	s_or_not1_b32 s38, s38, exec_lo
.LBB2_317:                              ;   in Loop: Header=BB2_319 Depth=4
	s_or_b32 exec_lo, exec_lo, s37
	s_delay_alu instid0(VALU_DEP_1) | instskip(SKIP_2) | instid1(SALU_CYCLE_1)
	v_mov_b32_e32 v10, v11
	s_and_not1_b32 s29, s29, exec_lo
	s_and_b32 vcc_lo, s38, exec_lo
	s_or_b32 s29, s29, vcc_lo
.LBB2_318:                              ;   in Loop: Header=BB2_319 Depth=4
	s_or_b32 exec_lo, exec_lo, s36
	s_waitcnt vmcnt(0) lgkmcnt(0)
	v_add_co_u32 v11, vcc_lo, v34, v2
	v_add_co_ci_u32_e32 v12, vcc_lo, 0, v35, vcc_lo
	s_xor_b32 s36, s29, -1
	s_delay_alu instid0(VALU_DEP_1) | instskip(SKIP_1) | instid1(SALU_CYCLE_1)
	v_cmp_ge_u64_e32 vcc_lo, v[11:12], v[8:9]
	s_or_b32 vcc_lo, s36, vcc_lo
	s_and_b32 vcc_lo, exec_lo, vcc_lo
	s_delay_alu instid0(SALU_CYCLE_1) | instskip(NEXT) | instid1(SALU_CYCLE_1)
	s_or_b32 s24, vcc_lo, s24
	s_and_not1_b32 exec_lo, exec_lo, s24
	s_cbranch_execz .LBB2_325
.LBB2_319:                              ;   Parent Loop BB2_51 Depth=1
                                        ;     Parent Loop BB2_308 Depth=2
                                        ;       Parent Loop BB2_310 Depth=3
                                        ; =>      This Inner Loop Header: Depth=4
	s_sleep 1
	flat_load_b64 v[34:35], v[22:23] glc
	v_and_b32_e32 v11, 64, v30
	s_and_not1_b32 s29, s29, exec_lo
	s_mov_b32 s36, exec_lo
	s_delay_alu instid0(VALU_DEP_1)
	v_cmpx_eq_u32_e32 0, v11
	s_cbranch_execz .LBB2_318
; %bb.320:                              ;   in Loop: Header=BB2_319 Depth=4
	v_add_nc_u32_e32 v11, 1, v10
	s_mov_b32 s38, -1
	s_mov_b32 s37, exec_lo
	v_cmpx_lt_i32_e32 0x270e, v10
	s_cbranch_execz .LBB2_317
; %bb.321:                              ;   in Loop: Header=BB2_319 Depth=4
	s_cbranch_execnz .LBB2_2264
; %bb.322:                              ;   in Loop: Header=BB2_319 Depth=4
	ds_load_b64 v[10:11], v0
	s_mov_b32 s39, exec_lo
	s_waitcnt vmcnt(0) lgkmcnt(0)
	s_waitcnt_vscnt null, 0x0
	flat_load_b32 v10, v[10:11] glc
	s_waitcnt vmcnt(0) lgkmcnt(0)
	buffer_gl1_inv
	buffer_gl0_inv
	v_cmpx_ne_u32_e32 0, v10
	s_cbranch_execz .LBB2_316
; %bb.323:                              ;   in Loop: Header=BB2_319 Depth=4
	ds_store_b32 v0, v10
	s_cbranch_execnz .LBB2_2314
; %bb.324:                              ;   in Loop: Header=BB2_319 Depth=4
	v_or_b32_e32 v30, 64, v30
	s_xor_b32 s38, exec_lo, -1
	s_branch .LBB2_316
.LBB2_325:                              ;   in Loop: Header=BB2_310 Depth=3
	s_or_b32 exec_lo, exec_lo, s24
	v_and_b32_e32 v10, 12, v30
.LBB2_326:                              ;   in Loop: Header=BB2_310 Depth=3
	s_or_b32 exec_lo, exec_lo, s15
	s_delay_alu instid0(VALU_DEP_1)
	v_cmp_eq_u32_e32 vcc_lo, 0, v10
	s_mov_b32 s29, s13
	;;#ASMSTART
	s_wakeup
	;;#ASMEND
	s_or_not1_b32 s36, vcc_lo, exec_lo
.LBB2_327:                              ;   in Loop: Header=BB2_310 Depth=3
	s_or_b32 exec_lo, exec_lo, s6
	v_sub_nc_u32_e32 v2, v84, v66
	s_xor_b32 s13, s36, -1
	s_delay_alu instid0(VALU_DEP_1)
	v_min_i32_e32 v64, v64, v2
	s_and_saveexec_b32 s6, s13
	s_cbranch_execz .LBB2_340
; %bb.328:                              ;   in Loop: Header=BB2_310 Depth=3
	v_and_b32_e32 v2, 0x108, v30
	s_mov_b32 s15, s29
	s_delay_alu instid0(VALU_DEP_1) | instskip(SKIP_2) | instid1(SALU_CYCLE_1)
	v_cmp_ne_u32_e32 vcc_lo, 0x108, v2
	v_and_b32_e32 v2, 7, v24
	s_and_saveexec_b32 s13, vcc_lo
	s_xor_b32 s13, exec_lo, s13
	s_delay_alu instid0(SALU_CYCLE_1)
	s_and_not1_saveexec_b32 s13, s13
	s_cbranch_execz .LBB2_330
; %bb.329:                              ;   in Loop: Header=BB2_310 Depth=3
	v_ashrrev_i32_e32 v65, 31, v64
	v_mad_u64_u32 v[8:9], null, v2, 24, v[6:7]
	s_delay_alu instid0(VALU_DEP_2)
	v_lshlrev_b64 v[10:11], 1, v[64:65]
	flat_store_b64 v[8:9], v[10:11] offset:8
.LBB2_330:                              ;   in Loop: Header=BB2_310 Depth=3
	s_or_b32 exec_lo, exec_lo, s13
	v_and_b32_e32 v8, 0x100, v30
	s_mov_b32 s13, -1
	s_delay_alu instid0(VALU_DEP_1)
	v_cmp_ne_u32_e32 vcc_lo, 0, v8
                                        ; implicit-def: $vgpr8_vgpr9
	s_and_saveexec_b32 s24, vcc_lo
	s_cbranch_execnz .LBB2_333
; %bb.331:                              ;   in Loop: Header=BB2_310 Depth=3
	s_or_b32 exec_lo, exec_lo, s24
	s_and_saveexec_b32 s24, s13
	s_cbranch_execnz .LBB2_336
.LBB2_332:                              ;   in Loop: Header=BB2_310 Depth=3
	s_or_b32 exec_lo, exec_lo, s24
	s_cbranch_execnz .LBB2_2258
	s_branch .LBB2_337
.LBB2_333:                              ;   in Loop: Header=BB2_310 Depth=3
	v_mad_u64_u32 v[10:11], null, v2, 24, v[6:7]
	s_delay_alu instid0(VALU_DEP_1) | instskip(NEXT) | instid1(VALU_DEP_1)
	v_mov_b32_e32 v8, v11
	v_mad_u64_u32 v[11:12], null, v3, 24, v[8:9]
	flat_load_b32 v8, v[10:11]
	s_waitcnt vmcnt(0) lgkmcnt(0)
	v_cmp_ne_u32_e32 vcc_lo, 1, v8
	v_cmp_eq_u32_e64 s13, 1, v8
                                        ; implicit-def: $vgpr8_vgpr9
	s_delay_alu instid0(VALU_DEP_1)
	s_and_saveexec_b32 s29, s13
	s_cbranch_execz .LBB2_335
; %bb.334:                              ;   in Loop: Header=BB2_310 Depth=3
	flat_load_b32 v8, v[10:11] offset:4 glc
	s_waitcnt vmcnt(0) lgkmcnt(0)
	v_ashrrev_i32_e32 v9, 31, v8
	s_delay_alu instid0(VALU_DEP_1)
	v_lshrrev_b64 v[8:9], 1, v[8:9]
.LBB2_335:                              ;   in Loop: Header=BB2_310 Depth=3
	s_or_b32 exec_lo, exec_lo, s29
	s_delay_alu instid0(SALU_CYCLE_1)
	s_or_not1_b32 s13, vcc_lo, exec_lo
	s_or_b32 exec_lo, exec_lo, s24
	s_and_saveexec_b32 s24, s13
	s_cbranch_execz .LBB2_332
.LBB2_336:                              ;   in Loop: Header=BB2_310 Depth=3
	v_mul_lo_u32 v10, v3, v87
	v_mul_lo_u32 v11, v2, v96
	v_mad_u64_u32 v[8:9], null, v2, v87, 0
	s_delay_alu instid0(VALU_DEP_1)
	v_add3_u32 v9, v9, v11, v10
	s_or_b32 exec_lo, exec_lo, s24
	s_cbranch_execnz .LBB2_2258
.LBB2_337:                              ;   in Loop: Header=BB2_310 Depth=3
	s_delay_alu instid0(VALU_DEP_1) | instskip(SKIP_2) | instid1(VALU_DEP_2)
	v_lshlrev_b64 v[8:9], 1, v[8:9]
	v_and_b32_e32 v2, 0x2000, v30
	s_mov_b32 s13, exec_lo
	v_add_co_u32 v8, vcc_lo, v26, v8
	s_delay_alu instid0(VALU_DEP_3)
	v_add_co_ci_u32_e32 v9, vcc_lo, v27, v9, vcc_lo
	ds_store_b64 v0, v[8:9]
	v_cmpx_ne_u32_e32 0, v2
	s_cbranch_execz .LBB2_339
; %bb.338:                              ;   in Loop: Header=BB2_310 Depth=3
	ds_load_b64 v[8:9], v0 offset:584
	s_waitcnt lgkmcnt(0)
	v_add_co_u32 v8, vcc_lo, v8, 1
	v_add_co_ci_u32_e32 v9, vcc_lo, 0, v9, vcc_lo
	ds_store_b64 v0, v[8:9] offset:584
.LBB2_339:                              ;   in Loop: Header=BB2_310 Depth=3
	s_or_b32 exec_lo, exec_lo, s13
	v_add_co_u32 v24, vcc_lo, v24, 2
	v_add_co_ci_u32_e32 v25, vcc_lo, 0, v25, vcc_lo
	s_mov_b32 s29, s15
.LBB2_340:                              ;   in Loop: Header=BB2_310 Depth=3
	s_or_b32 exec_lo, exec_lo, s6
	s_and_saveexec_b32 s13, s3
	s_cbranch_execz .LBB2_362
; %bb.341:                              ;   in Loop: Header=BB2_310 Depth=3
	s_mov_b32 s6, s29
	s_mov_b32 s15, s4
	s_and_saveexec_b32 s24, s4
	s_delay_alu instid0(SALU_CYCLE_1)
	s_xor_b32 s4, exec_lo, s24
	s_cbranch_execz .LBB2_359
; %bb.342:                              ;   in Loop: Header=BB2_310 Depth=3
	s_and_saveexec_b32 s24, s1
	s_cbranch_execz .LBB2_358
; %bb.343:                              ;   in Loop: Header=BB2_310 Depth=3
	s_mov_b32 s36, exec_lo
	s_mov_b32 s29, exec_lo
	v_mbcnt_lo_u32_b32 v2, s36, 0
	s_waitcnt lgkmcnt(0)
	s_waitcnt_vscnt null, 0x0
	buffer_gl1_inv
	buffer_gl0_inv
	v_cmpx_eq_u32_e32 0, v2
	s_cbranch_execz .LBB2_345
; %bb.344:                              ;   in Loop: Header=BB2_310 Depth=3
	s_bcnt1_i32_b32 vcc_lo, s36
	s_delay_alu instid0(SALU_CYCLE_1)
	v_mov_b32_e32 v2, vcc_lo
	ds_add_u64 v0, v[2:3]
	s_cbranch_execnz .LBB2_2370
.LBB2_345:                              ;   in Loop: Header=BB2_310 Depth=3
	s_or_b32 exec_lo, exec_lo, s29
	s_cbranch_execnz .LBB2_2336
; %bb.346:                              ;   in Loop: Header=BB2_310 Depth=3
	ds_load_b64 v[8:9], v0
	v_add_co_u32 v32, vcc_lo, v32, v99
	v_add_co_ci_u32_e32 v33, vcc_lo, 0, v33, vcc_lo
	s_mov_b32 s29, exec_lo
	s_waitcnt lgkmcnt(0)
	s_delay_alu instid0(VALU_DEP_1)
	v_cmpx_lt_u64_e64 v[8:9], v[32:33]
	s_cbranch_execz .LBB2_357
; %bb.347:                              ;   in Loop: Header=BB2_310 Depth=3
	s_mov_b32 s36, 0
	s_mov_b32 s39, 0
                                        ; implicit-def: $sgpr37
                                        ; implicit-def: $sgpr38
	s_branch .LBB2_349
.LBB2_348:                              ;   in Loop: Header=BB2_349 Depth=4
	s_or_b32 exec_lo, exec_lo, s41
	s_delay_alu instid0(SALU_CYCLE_1) | instskip(NEXT) | instid1(SALU_CYCLE_1)
	s_and_b32 vcc_lo, exec_lo, vcc_lo
	s_or_b32 s36, vcc_lo, s36
	s_and_not1_b32 vcc_lo, s37, exec_lo
	s_and_b32 s37, s38, exec_lo
	s_delay_alu instid0(SALU_CYCLE_1)
	s_or_b32 s37, vcc_lo, s37
	s_and_not1_b32 exec_lo, exec_lo, s36
	s_cbranch_execz .LBB2_355
.LBB2_349:                              ;   Parent Loop BB2_51 Depth=1
                                        ;     Parent Loop BB2_308 Depth=2
                                        ;       Parent Loop BB2_310 Depth=3
                                        ; =>      This Inner Loop Header: Depth=4
	s_add_i32 s39, s39, 1
                                        ; implicit-def: $sgpr41
	s_delay_alu instid0(SALU_CYCLE_1) | instskip(SKIP_1) | instid1(SALU_CYCLE_1)
	s_cmpk_lg_i32 s39, 0x2710
	s_cselect_b32 s40, -1, 0
	s_and_b32 vcc_lo, exec_lo, s40
	s_cbranch_vccz .LBB2_353
.LBB2_350:                              ;   in Loop: Header=BB2_349 Depth=4
	s_and_not1_b32 s38, s38, exec_lo
	s_and_b32 s41, s41, exec_lo
	s_mov_b32 vcc_lo, -1
	s_or_b32 s38, s38, s41
	s_and_saveexec_b32 s41, s40
	s_cbranch_execz .LBB2_348
; %bb.351:                              ;   in Loop: Header=BB2_349 Depth=4
	s_sleep 1
	s_cbranch_execnz .LBB2_2418
; %bb.352:                              ;   in Loop: Header=BB2_349 Depth=4
	ds_load_b64 v[8:9], v0
	s_and_not1_b32 s38, s38, exec_lo
	s_waitcnt lgkmcnt(0)
	v_cmp_ge_u64_e32 vcc_lo, v[8:9], v[32:33]
	s_or_not1_b32 vcc_lo, vcc_lo, exec_lo
	s_branch .LBB2_348
.LBB2_353:                              ;   in Loop: Header=BB2_349 Depth=4
	s_cbranch_execnz .LBB2_2426
; %bb.354:                              ;   in Loop: Header=BB2_349 Depth=4
	ds_load_b64 v[8:9], v0
	s_and_not1_b32 s40, s40, exec_lo
	s_mov_b32 s39, 0
	s_mov_b32 s41, -1
	s_waitcnt lgkmcnt(0)
	flat_load_b32 v2, v[8:9] glc
	s_waitcnt vmcnt(0) lgkmcnt(0)
	buffer_gl1_inv
	buffer_gl0_inv
	v_cmp_eq_u32_e32 vcc_lo, 0, v2
	s_and_b32 vcc_lo, vcc_lo, exec_lo
	s_delay_alu instid0(SALU_CYCLE_1)
	s_or_b32 s40, s40, vcc_lo
	s_branch .LBB2_350
.LBB2_355:                              ;   in Loop: Header=BB2_310 Depth=3
	s_or_b32 exec_lo, exec_lo, s36
	s_and_saveexec_b32 vcc_lo, s37
	s_delay_alu instid0(SALU_CYCLE_1)
	s_xor_b32 vcc_lo, exec_lo, vcc_lo
	s_cbranch_execz .LBB2_357
; %bb.356:                              ;   in Loop: Header=BB2_310 Depth=3
	ds_store_b32 v0, v133
	s_cbranch_execnz .LBB2_2628
.LBB2_357:                              ;   in Loop: Header=BB2_310 Depth=3
	s_or_b32 exec_lo, exec_lo, s29
	;;#ASMSTART
	s_wakeup
	;;#ASMEND
.LBB2_358:                              ;   in Loop: Header=BB2_310 Depth=3
	s_or_b32 exec_lo, exec_lo, s24
.LBB2_359:                              ;   in Loop: Header=BB2_310 Depth=3
	s_and_not1_saveexec_b32 s4, s4
	s_cbranch_execz .LBB2_361
; %bb.360:                              ;   in Loop: Header=BB2_310 Depth=3
	s_waitcnt lgkmcnt(0)
	s_waitcnt_vscnt null, 0x0
	buffer_gl1_inv
	buffer_gl0_inv
	s_barrier
.LBB2_361:                              ;   in Loop: Header=BB2_310 Depth=3
	s_or_b32 exec_lo, exec_lo, s4
	s_mov_b32 s29, s6
	s_mov_b32 s4, s15
.LBB2_362:                              ;   in Loop: Header=BB2_310 Depth=3
	v_writelane_b32 v42, s14, 5
	v_writelane_b32 v42, s35, 8
	;; [unrolled: 1-line block ×5, first 2 shown]
	s_or_b32 exec_lo, exec_lo, s13
	s_cbranch_execnz .LBB2_2237
; %bb.363:                              ;   in Loop: Header=BB2_310 Depth=3
	ds_load_b32 v8, v0
	v_and_b32_e32 v2, 0x4000, v30
	s_mov_b32 s6, s11
	s_xor_b32 s11, s2, -1
	s_delay_alu instid0(VALU_DEP_1) | instskip(SKIP_1) | instid1(SALU_CYCLE_1)
	v_cmp_ne_u32_e32 vcc_lo, 0, v2
	s_and_b32 s11, s11, vcc_lo
	s_and_saveexec_b32 s13, s11
	s_cbranch_execz .LBB2_385
; %bb.364:                              ;   in Loop: Header=BB2_310 Depth=3
	s_and_saveexec_b32 s11, s4
	s_delay_alu instid0(SALU_CYCLE_1)
	s_xor_b32 s11, exec_lo, s11
	s_cbranch_execz .LBB2_382
; %bb.365:                              ;   in Loop: Header=BB2_310 Depth=3
	s_and_saveexec_b32 s14, s1
	s_cbranch_execz .LBB2_381
; %bb.366:                              ;   in Loop: Header=BB2_310 Depth=3
	s_mov_b32 s16, exec_lo
	s_mov_b32 s15, exec_lo
	v_mbcnt_lo_u32_b32 v2, s16, 0
	s_waitcnt lgkmcnt(0)
	s_waitcnt_vscnt null, 0x0
	buffer_gl1_inv
	buffer_gl0_inv
	v_cmpx_eq_u32_e32 0, v2
	s_cbranch_execz .LBB2_368
; %bb.367:                              ;   in Loop: Header=BB2_310 Depth=3
	s_bcnt1_i32_b32 s16, s16
	s_delay_alu instid0(SALU_CYCLE_1)
	v_mov_b32_e32 v2, s16
	ds_add_u64 v0, v[2:3]
	s_cbranch_execnz .LBB2_2402
.LBB2_368:                              ;   in Loop: Header=BB2_310 Depth=3
	s_or_b32 exec_lo, exec_lo, s15
	s_cbranch_execnz .LBB2_2392
; %bb.369:                              ;   in Loop: Header=BB2_310 Depth=3
	ds_load_b64 v[9:10], v0
	v_add_co_u32 v32, vcc_lo, v32, v99
	v_add_co_ci_u32_e32 v33, vcc_lo, 0, v33, vcc_lo
	s_mov_b32 s15, exec_lo
	s_waitcnt lgkmcnt(0)
	s_delay_alu instid0(VALU_DEP_1)
	v_cmpx_lt_u64_e64 v[9:10], v[32:33]
	s_cbranch_execz .LBB2_380
; %bb.370:                              ;   in Loop: Header=BB2_310 Depth=3
	s_mov_b32 s16, 0
	s_mov_b32 s34, 0
                                        ; implicit-def: $sgpr24
                                        ; implicit-def: $sgpr31
	s_branch .LBB2_372
.LBB2_371:                              ;   in Loop: Header=BB2_372 Depth=4
	s_or_b32 exec_lo, exec_lo, s36
	s_delay_alu instid0(SALU_CYCLE_1) | instskip(NEXT) | instid1(SALU_CYCLE_1)
	s_and_b32 vcc_lo, exec_lo, vcc_lo
	s_or_b32 s16, vcc_lo, s16
	s_and_not1_b32 s24, s24, exec_lo
	s_and_b32 vcc_lo, s31, exec_lo
	s_delay_alu instid0(SALU_CYCLE_1)
	s_or_b32 s24, s24, vcc_lo
	s_and_not1_b32 exec_lo, exec_lo, s16
	s_cbranch_execz .LBB2_378
.LBB2_372:                              ;   Parent Loop BB2_51 Depth=1
                                        ;     Parent Loop BB2_308 Depth=2
                                        ;       Parent Loop BB2_310 Depth=3
                                        ; =>      This Inner Loop Header: Depth=4
	s_add_i32 s34, s34, 1
                                        ; implicit-def: $sgpr36
	s_delay_alu instid0(SALU_CYCLE_1) | instskip(SKIP_1) | instid1(SALU_CYCLE_1)
	s_cmpk_lg_i32 s34, 0x2710
	s_cselect_b32 s35, -1, 0
	s_and_b32 vcc_lo, exec_lo, s35
	s_cbranch_vccz .LBB2_376
.LBB2_373:                              ;   in Loop: Header=BB2_372 Depth=4
	s_and_not1_b32 s31, s31, exec_lo
	s_and_b32 s36, s36, exec_lo
	s_mov_b32 vcc_lo, -1
	s_or_b32 s31, s31, s36
	s_and_saveexec_b32 s36, s35
	s_cbranch_execz .LBB2_371
; %bb.374:                              ;   in Loop: Header=BB2_372 Depth=4
	s_sleep 1
	s_cbranch_execnz .LBB2_2464
; %bb.375:                              ;   in Loop: Header=BB2_372 Depth=4
	ds_load_b64 v[9:10], v0
	s_and_not1_b32 s31, s31, exec_lo
	s_waitcnt lgkmcnt(0)
	v_cmp_ge_u64_e32 vcc_lo, v[9:10], v[32:33]
	s_or_not1_b32 vcc_lo, vcc_lo, exec_lo
	s_branch .LBB2_371
.LBB2_376:                              ;   in Loop: Header=BB2_372 Depth=4
	s_cbranch_execnz .LBB2_2478
; %bb.377:                              ;   in Loop: Header=BB2_372 Depth=4
	ds_load_b64 v[9:10], v0
	s_and_not1_b32 s35, s35, exec_lo
	s_mov_b32 s34, 0
	s_mov_b32 s36, -1
	s_waitcnt lgkmcnt(0)
	flat_load_b32 v2, v[9:10] glc
	s_waitcnt vmcnt(0) lgkmcnt(0)
	buffer_gl1_inv
	buffer_gl0_inv
	v_cmp_eq_u32_e32 vcc_lo, 0, v2
	s_and_b32 vcc_lo, vcc_lo, exec_lo
	s_delay_alu instid0(SALU_CYCLE_1)
	s_or_b32 s35, s35, vcc_lo
	s_branch .LBB2_373
.LBB2_378:                              ;   in Loop: Header=BB2_310 Depth=3
	s_or_b32 exec_lo, exec_lo, s16
	s_and_saveexec_b32 s16, s24
	s_delay_alu instid0(SALU_CYCLE_1)
	s_xor_b32 s16, exec_lo, s16
	s_cbranch_execz .LBB2_380
; %bb.379:                              ;   in Loop: Header=BB2_310 Depth=3
	ds_store_b32 v0, v133
	s_cbranch_execnz .LBB2_2660
.LBB2_380:                              ;   in Loop: Header=BB2_310 Depth=3
	s_or_b32 exec_lo, exec_lo, s15
	;;#ASMSTART
	s_wakeup
	;;#ASMEND
.LBB2_381:                              ;   in Loop: Header=BB2_310 Depth=3
	s_or_b32 exec_lo, exec_lo, s14
.LBB2_382:                              ;   in Loop: Header=BB2_310 Depth=3
	s_and_not1_saveexec_b32 s11, s11
	s_cbranch_execz .LBB2_384
; %bb.383:                              ;   in Loop: Header=BB2_310 Depth=3
	s_waitcnt lgkmcnt(0)
	s_waitcnt_vscnt null, 0x0
	buffer_gl1_inv
	buffer_gl0_inv
	s_barrier
.LBB2_384:                              ;   in Loop: Header=BB2_310 Depth=3
	s_or_b32 exec_lo, exec_lo, s11
.LBB2_385:                              ;   in Loop: Header=BB2_310 Depth=3
	s_delay_alu instid0(SALU_CYCLE_1)
	s_or_b32 exec_lo, exec_lo, s13
	s_cbranch_execnz .LBB2_2280
; %bb.386:                              ;   in Loop: Header=BB2_310 Depth=3
	ds_load_b64 v[9:10], v0
	v_mov_b32_e32 v65, 0
	s_waitcnt lgkmcnt(0)
	v_cmp_eq_u64_e32 vcc_lo, 0, v[9:10]
	s_or_b32 s11, vcc_lo, vcc_lo
	s_delay_alu instid0(SALU_CYCLE_1)
	s_and_b32 vcc_lo, exec_lo, s11
	s_cbranch_vccnz .LBB2_674
; %bb.387:                              ;   in Loop: Header=BB2_310 Depth=3
	s_cbranch_execnz .LBB2_2334
; %bb.388:                              ;   in Loop: Header=BB2_310 Depth=3
	ds_load_b64 v[9:10], v0
	s_mov_b32 s11, -1
	s_waitcnt lgkmcnt(0)
	v_readfirstlane_b32 s31, v9
	s_and_saveexec_b32 s13, s12
	s_cbranch_execz .LBB2_390
; %bb.389:                              ;   in Loop: Header=BB2_310 Depth=3
	ds_load_b32 v2, v0 offset:720
	s_waitcnt lgkmcnt(0)
	v_and_b32_e32 v2, 15, v2
	s_delay_alu instid0(VALU_DEP_1)
	v_cmp_eq_u32_e32 vcc_lo, 0, v2
	s_or_not1_b32 s11, vcc_lo, exec_lo
.LBB2_390:                              ;   in Loop: Header=BB2_310 Depth=3
	s_or_b32 exec_lo, exec_lo, s13
	s_and_saveexec_b32 s13, vcc_hi
	s_cbranch_execz .LBB2_392
; %bb.391:                              ;   in Loop: Header=BB2_310 Depth=3
	ds_load_b32 v2, v0 offset:784
	s_waitcnt lgkmcnt(0)
	v_and_b32_e32 v2, 15, v2
	s_delay_alu instid0(VALU_DEP_1) | instskip(SKIP_3) | instid1(SALU_CYCLE_1)
	v_cmp_eq_u32_e32 vcc_lo, 0, v2
	s_and_b32 s14, s11, vcc_lo
	s_and_not1_b32 s11, s11, exec_lo
	s_and_b32 s14, s14, exec_lo
	s_or_b32 s11, s11, s14
.LBB2_392:                              ;   in Loop: Header=BB2_310 Depth=3
	s_or_b32 exec_lo, exec_lo, s13
	v_cmp_eq_u32_e32 vcc_lo, 0, v8
	s_xor_b32 s11, s11, -1
	v_mov_b32_e32 v14, 0
	v_cndmask_b32_e64 v2, 0, 1, s11
	;;#ASMSTART
	;;#ASMEND
	v_cndmask_b32_e32 v65, 0, v64, vcc_lo
	s_delay_alu instid0(VALU_DEP_2) | instskip(SKIP_1) | instid1(VALU_DEP_2)
	v_cmp_ne_u32_e32 vcc_lo, 0, v2
	s_mov_b32 s11, -1
	v_lshlrev_b32_e32 v2, 1, v65
	s_cbranch_vccz .LBB2_394
; %bb.393:                              ;   in Loop: Header=BB2_310 Depth=3
	v_dual_mov_b32 v15, v0 :: v_dual_mov_b32 v8, v97
	s_branch .LBB2_601
.LBB2_394:                              ;   in Loop: Header=BB2_310 Depth=3
	s_delay_alu instid0(VALU_DEP_1) | instskip(SKIP_2) | instid1(VALU_DEP_2)
	v_ashrrev_i32_e32 v8, 31, v2
	v_sub_nc_u32_e32 v85, v2, v130
	s_mov_b32 s34, exec_lo
	v_lshrrev_b32_e32 v8, 23, v8
	s_delay_alu instid0(VALU_DEP_1) | instskip(NEXT) | instid1(VALU_DEP_1)
	v_add_nc_u32_e32 v8, v2, v8
	v_and_b32_e32 v67, 0xfffffe00, v8
	v_ashrrev_i32_e32 v8, 9, v8
	s_delay_alu instid0(VALU_DEP_2) | instskip(NEXT) | instid1(VALU_DEP_1)
	v_sub_nc_u32_e32 v134, v2, v67
	v_cmp_lt_i32_e64 s13, 15, v134
	s_delay_alu instid0(VALU_DEP_1)
	v_add_co_ci_u32_e64 v135, vcc_lo, v8, v131, s13
	v_cmpx_lt_i32_e32 15, v85
	s_cbranch_execz .LBB2_495
; %bb.395:                              ;   in Loop: Header=BB2_310 Depth=3
	s_cbranch_execnz .LBB2_2476
; %bb.396:                              ;   in Loop: Header=BB2_310 Depth=3
	ds_load_b128 v[8:11], v0
	ds_load_b64 v[12:13], v0
	s_bitcmp1_b32 s31, 0
	s_mov_b32 s35, 0
	s_cselect_b32 s36, -1, 0
	s_waitcnt lgkmcnt(1)
	v_add_co_u32 v70, vcc_lo, v8, v130
	v_add_co_ci_u32_e32 v71, vcc_lo, v9, v132, vcc_lo
	v_add_co_u32 v80, vcc_lo, v10, v130
	v_add_co_ci_u32_e32 v81, vcc_lo, v11, v132, vcc_lo
	s_waitcnt lgkmcnt(0)
	v_add_co_u32 v82, vcc_lo, v12, v130
	v_add_co_ci_u32_e32 v83, vcc_lo, v13, v132, vcc_lo
	s_branch .LBB2_400
.LBB2_397:                              ;   in Loop: Header=BB2_400 Depth=4
	s_or_b32 exec_lo, exec_lo, s11
	s_delay_alu instid0(VALU_DEP_1)
	v_mov_b32_e32 v147, v145
.LBB2_398:                              ;   in Loop: Header=BB2_400 Depth=4
	s_or_b32 exec_lo, exec_lo, s16
	s_delay_alu instid0(VALU_DEP_1)
	v_mov_b32_e32 v15, v147
.LBB2_399:                              ;   in Loop: Header=BB2_400 Depth=4
	v_lshlrev_b32_e32 v8, 16, v8
	v_and_b32_e32 v11, 0xffff, v144
	v_lshlrev_b32_e32 v14, 16, v14
	v_and_b32_e32 v13, 0xffff, v13
	;; [unrolled: 2-line block ×3, first 2 shown]
	v_or_b32_e32 v8, v8, v11
	v_lshlrev_b32_e32 v11, 16, v15
	v_and_b32_e32 v10, 0xffff, v10
	v_or_b32_e32 v13, v14, v13
	v_add_co_u32 v70, vcc_lo, v70, v114
	v_or3_b32 v9, v12, v9, 0
	v_or3_b32 v8, 0, 0, v8
	;; [unrolled: 1-line block ×4, first 2 shown]
	v_sub_nc_u32_e32 v85, v85, v100
	v_add_co_ci_u32_e32 v71, vcc_lo, v71, v115, vcc_lo
	v_add_co_u32 v80, vcc_lo, v80, v114
	v_add_co_ci_u32_e32 v81, vcc_lo, v81, v115, vcc_lo
	global_store_b128 v[82:83], v[8:11], off glc slc dlc
	v_cmp_gt_i32_e32 vcc_lo, 16, v85
	v_add_co_u32 v82, s14, v82, v114
	s_delay_alu instid0(VALU_DEP_1) | instskip(SKIP_2) | instid1(SALU_CYCLE_1)
	v_add_co_ci_u32_e64 v83, s14, v83, v115, s14
	v_sub_nc_u32_e32 v135, v135, v99
	s_or_b32 s35, vcc_lo, s35
	s_and_not1_b32 exec_lo, exec_lo, s35
	s_cbranch_execz .LBB2_494
.LBB2_400:                              ;   Parent Loop BB2_51 Depth=1
                                        ;     Parent Loop BB2_308 Depth=2
                                        ;       Parent Loop BB2_310 Depth=3
                                        ; =>      This Inner Loop Header: Depth=4
	global_load_b128 v[12:15], v[70:71], off slc dlc
	global_load_b128 v[8:11], v[80:81], off slc dlc
	s_mov_b32 s16, -1
	s_and_b32 vcc_lo, exec_lo, s36
	s_waitcnt vmcnt(1)
	v_and_b32_e32 v144, 0x7fff, v12
	s_waitcnt vmcnt(0)
	v_and_b32_e32 v145, 0x7fff, v8
	v_perm_b32 v146, v8, v12, 0x5040100
	s_delay_alu instid0(VALU_DEP_3) | instskip(NEXT) | instid1(VALU_DEP_3)
	v_cmp_lt_u16_e64 s14, 0x7c00, v144
	v_cmp_gt_u16_e64 s15, 0x7c01, v145
                                        ; implicit-def: $vgpr144
	s_delay_alu instid0(VALU_DEP_1) | instskip(NEXT) | instid1(SALU_CYCLE_1)
	s_and_b32 s11, s14, s15
	s_xor_b32 s11, s11, -1
	s_cbranch_vccz .LBB2_406
; %bb.401:                              ;   in Loop: Header=BB2_400 Depth=4
	v_mov_b32_e32 v144, v8
	s_and_saveexec_b32 s24, s11
	s_cbranch_execz .LBB2_405
; %bb.402:                              ;   in Loop: Header=BB2_400 Depth=4
	v_mov_b32_e32 v144, v12
	s_or_b32 s16, s14, s15
	s_delay_alu instid0(SALU_CYCLE_1)
	s_and_saveexec_b32 s37, s16
; %bb.403:                              ;   in Loop: Header=BB2_400 Depth=4
	v_lshrrev_b32_e32 v144, 16, v146
	v_cmp_lt_u16_e64 vcc_lo, 0x7c00, v145
	s_delay_alu instid0(VALU_DEP_2) | instskip(NEXT) | instid1(VALU_DEP_1)
	v_cmp_gt_f16_e64 s16, v146, v144
	v_cndmask_b32_e64 v144, v144, v146, s16
	s_delay_alu instid0(VALU_DEP_3)
	s_and_b32 s16, s14, vcc_lo
	s_delay_alu instid0(VALU_DEP_1) | instid1(SALU_CYCLE_1)
	v_cndmask_b32_e64 v144, v144, 0x7fff, s16
; %bb.404:                              ;   in Loop: Header=BB2_400 Depth=4
	s_or_b32 exec_lo, exec_lo, s37
.LBB2_405:                              ;   in Loop: Header=BB2_400 Depth=4
	s_delay_alu instid0(SALU_CYCLE_1)
	s_or_b32 exec_lo, exec_lo, s24
	s_mov_b32 s16, 0
.LBB2_406:                              ;   in Loop: Header=BB2_400 Depth=4
	s_delay_alu instid0(SALU_CYCLE_1)
	s_and_not1_b32 vcc_lo, exec_lo, s16
	s_cbranch_vccnz .LBB2_412
; %bb.407:                              ;   in Loop: Header=BB2_400 Depth=4
	v_mov_b32_e32 v144, v8
	s_and_saveexec_b32 s16, s11
	s_cbranch_execz .LBB2_411
; %bb.408:                              ;   in Loop: Header=BB2_400 Depth=4
	v_mov_b32_e32 v144, v12
	s_or_b32 s15, s14, s15
	s_delay_alu instid0(SALU_CYCLE_1)
	s_and_saveexec_b32 s11, s15
; %bb.409:                              ;   in Loop: Header=BB2_400 Depth=4
	v_lshrrev_b32_e32 v144, 16, v146
	v_cmp_lt_u16_e64 vcc_lo, 0x7c00, v145
	s_delay_alu instid0(VALU_DEP_2) | instskip(NEXT) | instid1(VALU_DEP_2)
	v_cmp_gt_f16_e64 s15, v146, v144
	s_and_b32 s14, s14, vcc_lo
	s_delay_alu instid0(VALU_DEP_1) | instskip(NEXT) | instid1(VALU_DEP_1)
	v_cndmask_b32_e64 v144, v146, v144, s15
	v_cndmask_b32_e64 v144, v144, 0x7fff, s14
; %bb.410:                              ;   in Loop: Header=BB2_400 Depth=4
	s_or_b32 exec_lo, exec_lo, s11
.LBB2_411:                              ;   in Loop: Header=BB2_400 Depth=4
	s_delay_alu instid0(SALU_CYCLE_1)
	s_or_b32 exec_lo, exec_lo, s16
.LBB2_412:                              ;   in Loop: Header=BB2_400 Depth=4
	v_mov_b32_e32 v148, v12
	v_mov_b32_e32 v12, v13
	;; [unrolled: 1-line block ×3, first 2 shown]
	s_mov_b32 s16, -1
	s_and_b32 vcc_lo, exec_lo, s36
	v_lshrrev_b32_e32 v145, 16, v148
	s_delay_alu instid0(VALU_DEP_1) | instskip(NEXT) | instid1(VALU_DEP_1)
	v_dual_mov_b32 v149, v8 :: v_dual_and_b32 v8, 0x7fff, v145
	v_lshrrev_b32_e32 v147, 16, v149
	v_perm_b32 v9, v149, v148, 0x7060302
	s_delay_alu instid0(VALU_DEP_3) | instskip(NEXT) | instid1(VALU_DEP_3)
	v_cmp_lt_u16_e64 s14, 0x7c00, v8
	v_and_b32_e32 v146, 0x7fff, v147
                                        ; implicit-def: $vgpr8
	s_delay_alu instid0(VALU_DEP_1) | instskip(NEXT) | instid1(VALU_DEP_1)
	v_cmp_gt_u16_e64 s15, 0x7c01, v146
	s_and_b32 s11, s14, s15
	s_delay_alu instid0(SALU_CYCLE_1)
	s_xor_b32 s11, s11, -1
	s_cbranch_vccz .LBB2_418
; %bb.413:                              ;   in Loop: Header=BB2_400 Depth=4
	v_mov_b32_e32 v8, v147
	s_and_saveexec_b32 s24, s11
	s_cbranch_execz .LBB2_417
; %bb.414:                              ;   in Loop: Header=BB2_400 Depth=4
	v_mov_b32_e32 v8, v145
	s_or_b32 s16, s14, s15
	s_delay_alu instid0(SALU_CYCLE_1)
	s_and_saveexec_b32 s37, s16
; %bb.415:                              ;   in Loop: Header=BB2_400 Depth=4
	v_lshrrev_b32_e32 v8, 16, v9
	v_cmp_lt_u16_e64 vcc_lo, 0x7c00, v146
	s_delay_alu instid0(VALU_DEP_2) | instskip(NEXT) | instid1(VALU_DEP_1)
	v_cmp_gt_f16_e64 s16, v9, v8
	v_cndmask_b32_e64 v8, v8, v9, s16
	s_delay_alu instid0(VALU_DEP_3)
	s_and_b32 s16, s14, vcc_lo
	s_delay_alu instid0(VALU_DEP_1) | instid1(SALU_CYCLE_1)
	v_cndmask_b32_e64 v8, v8, 0x7fff, s16
; %bb.416:                              ;   in Loop: Header=BB2_400 Depth=4
	s_or_b32 exec_lo, exec_lo, s37
.LBB2_417:                              ;   in Loop: Header=BB2_400 Depth=4
	s_delay_alu instid0(SALU_CYCLE_1)
	s_or_b32 exec_lo, exec_lo, s24
	s_mov_b32 s16, 0
.LBB2_418:                              ;   in Loop: Header=BB2_400 Depth=4
	s_delay_alu instid0(SALU_CYCLE_1)
	s_and_not1_b32 vcc_lo, exec_lo, s16
	s_cbranch_vccnz .LBB2_424
; %bb.419:                              ;   in Loop: Header=BB2_400 Depth=4
	s_and_saveexec_b32 s16, s11
	s_cbranch_execz .LBB2_423
; %bb.420:                              ;   in Loop: Header=BB2_400 Depth=4
	s_or_b32 s15, s14, s15
	s_delay_alu instid0(SALU_CYCLE_1)
	s_and_saveexec_b32 s11, s15
; %bb.421:                              ;   in Loop: Header=BB2_400 Depth=4
	v_lshrrev_b32_e32 v8, 16, v9
	v_cmp_lt_u16_e64 vcc_lo, 0x7c00, v146
	s_delay_alu instid0(VALU_DEP_2) | instskip(NEXT) | instid1(VALU_DEP_2)
	v_cmp_gt_f16_e64 s15, v9, v8
	s_and_b32 s14, s14, vcc_lo
	s_delay_alu instid0(VALU_DEP_1) | instskip(NEXT) | instid1(VALU_DEP_1)
	v_cndmask_b32_e64 v8, v9, v8, s15
	v_cndmask_b32_e64 v145, v8, 0x7fff, s14
; %bb.422:                              ;   in Loop: Header=BB2_400 Depth=4
	s_or_b32 exec_lo, exec_lo, s11
	s_delay_alu instid0(VALU_DEP_1)
	v_mov_b32_e32 v147, v145
.LBB2_423:                              ;   in Loop: Header=BB2_400 Depth=4
	s_or_b32 exec_lo, exec_lo, s16
	s_delay_alu instid0(VALU_DEP_1)
	v_mov_b32_e32 v8, v147
.LBB2_424:                              ;   in Loop: Header=BB2_400 Depth=4
	v_and_b32_e32 v9, 0x7fff, v12
	v_and_b32_e32 v145, 0x7fff, v13
	v_perm_b32 v146, v13, v12, 0x5040100
	s_mov_b32 s16, -1
	s_and_b32 vcc_lo, exec_lo, s36
	v_cmp_lt_u16_e64 s14, 0x7c00, v9
	v_cmp_gt_u16_e64 s15, 0x7c01, v145
                                        ; implicit-def: $vgpr9
	s_delay_alu instid0(VALU_DEP_1) | instskip(NEXT) | instid1(SALU_CYCLE_1)
	s_and_b32 s11, s14, s15
	s_xor_b32 s11, s11, -1
	s_cbranch_vccz .LBB2_430
; %bb.425:                              ;   in Loop: Header=BB2_400 Depth=4
	v_mov_b32_e32 v9, v13
	s_and_saveexec_b32 s24, s11
	s_cbranch_execz .LBB2_429
; %bb.426:                              ;   in Loop: Header=BB2_400 Depth=4
	v_mov_b32_e32 v9, v12
	s_or_b32 s16, s14, s15
	s_delay_alu instid0(SALU_CYCLE_1)
	s_and_saveexec_b32 s37, s16
; %bb.427:                              ;   in Loop: Header=BB2_400 Depth=4
	v_lshrrev_b32_e32 v9, 16, v146
	v_cmp_lt_u16_e64 vcc_lo, 0x7c00, v145
	s_delay_alu instid0(VALU_DEP_2) | instskip(NEXT) | instid1(VALU_DEP_1)
	v_cmp_gt_f16_e64 s16, v146, v9
	v_cndmask_b32_e64 v9, v9, v146, s16
	s_delay_alu instid0(VALU_DEP_3)
	s_and_b32 s16, s14, vcc_lo
	s_delay_alu instid0(VALU_DEP_1) | instid1(SALU_CYCLE_1)
	v_cndmask_b32_e64 v9, v9, 0x7fff, s16
; %bb.428:                              ;   in Loop: Header=BB2_400 Depth=4
	s_or_b32 exec_lo, exec_lo, s37
.LBB2_429:                              ;   in Loop: Header=BB2_400 Depth=4
	s_delay_alu instid0(SALU_CYCLE_1)
	s_or_b32 exec_lo, exec_lo, s24
	s_mov_b32 s16, 0
.LBB2_430:                              ;   in Loop: Header=BB2_400 Depth=4
	s_delay_alu instid0(SALU_CYCLE_1)
	s_and_not1_b32 vcc_lo, exec_lo, s16
	s_cbranch_vccnz .LBB2_436
; %bb.431:                              ;   in Loop: Header=BB2_400 Depth=4
	v_mov_b32_e32 v9, v13
	s_and_saveexec_b32 s16, s11
	s_cbranch_execz .LBB2_435
; %bb.432:                              ;   in Loop: Header=BB2_400 Depth=4
	v_mov_b32_e32 v9, v12
	s_or_b32 s15, s14, s15
	s_delay_alu instid0(SALU_CYCLE_1)
	s_and_saveexec_b32 s11, s15
; %bb.433:                              ;   in Loop: Header=BB2_400 Depth=4
	v_lshrrev_b32_e32 v9, 16, v146
	v_cmp_lt_u16_e64 vcc_lo, 0x7c00, v145
	s_delay_alu instid0(VALU_DEP_2) | instskip(NEXT) | instid1(VALU_DEP_2)
	v_cmp_gt_f16_e64 s15, v146, v9
	s_and_b32 s14, s14, vcc_lo
	s_delay_alu instid0(VALU_DEP_1) | instskip(NEXT) | instid1(VALU_DEP_1)
	v_cndmask_b32_e64 v9, v146, v9, s15
	v_cndmask_b32_e64 v9, v9, 0x7fff, s14
; %bb.434:                              ;   in Loop: Header=BB2_400 Depth=4
	s_or_b32 exec_lo, exec_lo, s11
.LBB2_435:                              ;   in Loop: Header=BB2_400 Depth=4
	s_delay_alu instid0(SALU_CYCLE_1)
	s_or_b32 exec_lo, exec_lo, s16
.LBB2_436:                              ;   in Loop: Header=BB2_400 Depth=4
	v_lshrrev_b32_e32 v145, 16, v12
	v_lshrrev_b32_e32 v147, 16, v13
	v_perm_b32 v13, v13, v12, 0x7060302
	s_mov_b32 s16, -1
	s_and_b32 vcc_lo, exec_lo, s36
	v_and_b32_e32 v148, 0x7fff, v145
	v_and_b32_e32 v146, 0x7fff, v147
                                        ; implicit-def: $vgpr12
	s_delay_alu instid0(VALU_DEP_2) | instskip(NEXT) | instid1(VALU_DEP_2)
	v_cmp_lt_u16_e64 s14, 0x7c00, v148
	v_cmp_gt_u16_e64 s15, 0x7c01, v146
	s_delay_alu instid0(VALU_DEP_1) | instskip(NEXT) | instid1(SALU_CYCLE_1)
	s_and_b32 s11, s14, s15
	s_xor_b32 s11, s11, -1
	s_cbranch_vccz .LBB2_442
; %bb.437:                              ;   in Loop: Header=BB2_400 Depth=4
	v_mov_b32_e32 v12, v147
	s_and_saveexec_b32 s24, s11
	s_cbranch_execz .LBB2_441
; %bb.438:                              ;   in Loop: Header=BB2_400 Depth=4
	v_mov_b32_e32 v12, v145
	s_or_b32 s16, s14, s15
	s_delay_alu instid0(SALU_CYCLE_1)
	s_and_saveexec_b32 s37, s16
; %bb.439:                              ;   in Loop: Header=BB2_400 Depth=4
	v_lshrrev_b32_e32 v12, 16, v13
	v_cmp_lt_u16_e64 vcc_lo, 0x7c00, v146
	s_delay_alu instid0(VALU_DEP_2) | instskip(NEXT) | instid1(VALU_DEP_1)
	v_cmp_gt_f16_e64 s16, v13, v12
	v_cndmask_b32_e64 v12, v12, v13, s16
	s_delay_alu instid0(VALU_DEP_3)
	s_and_b32 s16, s14, vcc_lo
	s_delay_alu instid0(VALU_DEP_1) | instid1(SALU_CYCLE_1)
	v_cndmask_b32_e64 v12, v12, 0x7fff, s16
; %bb.440:                              ;   in Loop: Header=BB2_400 Depth=4
	s_or_b32 exec_lo, exec_lo, s37
.LBB2_441:                              ;   in Loop: Header=BB2_400 Depth=4
	s_delay_alu instid0(SALU_CYCLE_1)
	s_or_b32 exec_lo, exec_lo, s24
	s_mov_b32 s16, 0
.LBB2_442:                              ;   in Loop: Header=BB2_400 Depth=4
	s_delay_alu instid0(SALU_CYCLE_1)
	s_and_not1_b32 vcc_lo, exec_lo, s16
	s_cbranch_vccnz .LBB2_448
; %bb.443:                              ;   in Loop: Header=BB2_400 Depth=4
	s_and_saveexec_b32 s16, s11
	s_cbranch_execz .LBB2_447
; %bb.444:                              ;   in Loop: Header=BB2_400 Depth=4
	s_or_b32 s15, s14, s15
	s_delay_alu instid0(SALU_CYCLE_1)
	s_and_saveexec_b32 s11, s15
; %bb.445:                              ;   in Loop: Header=BB2_400 Depth=4
	v_lshrrev_b32_e32 v12, 16, v13
	v_cmp_lt_u16_e64 vcc_lo, 0x7c00, v146
	s_delay_alu instid0(VALU_DEP_2) | instskip(NEXT) | instid1(VALU_DEP_2)
	v_cmp_gt_f16_e64 s15, v13, v12
	s_and_b32 s14, s14, vcc_lo
	s_delay_alu instid0(VALU_DEP_1) | instskip(NEXT) | instid1(VALU_DEP_1)
	v_cndmask_b32_e64 v12, v13, v12, s15
	v_cndmask_b32_e64 v145, v12, 0x7fff, s14
; %bb.446:                              ;   in Loop: Header=BB2_400 Depth=4
	s_or_b32 exec_lo, exec_lo, s11
	s_delay_alu instid0(VALU_DEP_1)
	v_mov_b32_e32 v147, v145
.LBB2_447:                              ;   in Loop: Header=BB2_400 Depth=4
	s_or_b32 exec_lo, exec_lo, s16
	s_delay_alu instid0(VALU_DEP_1)
	v_mov_b32_e32 v12, v147
.LBB2_448:                              ;   in Loop: Header=BB2_400 Depth=4
	v_and_b32_e32 v13, 0x7fff, v14
	v_and_b32_e32 v145, 0x7fff, v10
	v_perm_b32 v146, v10, v14, 0x5040100
	s_mov_b32 s16, -1
	s_and_b32 vcc_lo, exec_lo, s36
	v_cmp_lt_u16_e64 s14, 0x7c00, v13
	v_cmp_gt_u16_e64 s15, 0x7c01, v145
                                        ; implicit-def: $vgpr13
	s_delay_alu instid0(VALU_DEP_1) | instskip(NEXT) | instid1(SALU_CYCLE_1)
	s_and_b32 s11, s14, s15
	s_xor_b32 s11, s11, -1
	s_cbranch_vccz .LBB2_454
; %bb.449:                              ;   in Loop: Header=BB2_400 Depth=4
	v_mov_b32_e32 v13, v10
	s_and_saveexec_b32 s24, s11
	s_cbranch_execz .LBB2_453
; %bb.450:                              ;   in Loop: Header=BB2_400 Depth=4
	v_mov_b32_e32 v13, v14
	s_or_b32 s16, s14, s15
	s_delay_alu instid0(SALU_CYCLE_1)
	s_and_saveexec_b32 s37, s16
; %bb.451:                              ;   in Loop: Header=BB2_400 Depth=4
	v_lshrrev_b32_e32 v13, 16, v146
	v_cmp_lt_u16_e64 vcc_lo, 0x7c00, v145
	s_delay_alu instid0(VALU_DEP_2) | instskip(NEXT) | instid1(VALU_DEP_1)
	v_cmp_gt_f16_e64 s16, v146, v13
	v_cndmask_b32_e64 v13, v13, v146, s16
	s_delay_alu instid0(VALU_DEP_3)
	s_and_b32 s16, s14, vcc_lo
	s_delay_alu instid0(VALU_DEP_1) | instid1(SALU_CYCLE_1)
	v_cndmask_b32_e64 v13, v13, 0x7fff, s16
; %bb.452:                              ;   in Loop: Header=BB2_400 Depth=4
	s_or_b32 exec_lo, exec_lo, s37
.LBB2_453:                              ;   in Loop: Header=BB2_400 Depth=4
	s_delay_alu instid0(SALU_CYCLE_1)
	s_or_b32 exec_lo, exec_lo, s24
	s_mov_b32 s16, 0
.LBB2_454:                              ;   in Loop: Header=BB2_400 Depth=4
	s_delay_alu instid0(SALU_CYCLE_1)
	s_and_not1_b32 vcc_lo, exec_lo, s16
	s_cbranch_vccnz .LBB2_460
; %bb.455:                              ;   in Loop: Header=BB2_400 Depth=4
	v_mov_b32_e32 v13, v10
	s_and_saveexec_b32 s16, s11
	s_cbranch_execz .LBB2_459
; %bb.456:                              ;   in Loop: Header=BB2_400 Depth=4
	v_mov_b32_e32 v13, v14
	s_or_b32 s15, s14, s15
	s_delay_alu instid0(SALU_CYCLE_1)
	s_and_saveexec_b32 s11, s15
; %bb.457:                              ;   in Loop: Header=BB2_400 Depth=4
	v_lshrrev_b32_e32 v13, 16, v146
	v_cmp_lt_u16_e64 vcc_lo, 0x7c00, v145
	s_delay_alu instid0(VALU_DEP_2) | instskip(NEXT) | instid1(VALU_DEP_2)
	v_cmp_gt_f16_e64 s15, v146, v13
	s_and_b32 s14, s14, vcc_lo
	s_delay_alu instid0(VALU_DEP_1) | instskip(NEXT) | instid1(VALU_DEP_1)
	v_cndmask_b32_e64 v13, v146, v13, s15
	v_cndmask_b32_e64 v13, v13, 0x7fff, s14
; %bb.458:                              ;   in Loop: Header=BB2_400 Depth=4
	s_or_b32 exec_lo, exec_lo, s11
.LBB2_459:                              ;   in Loop: Header=BB2_400 Depth=4
	s_delay_alu instid0(SALU_CYCLE_1)
	s_or_b32 exec_lo, exec_lo, s16
.LBB2_460:                              ;   in Loop: Header=BB2_400 Depth=4
	v_mov_b32_e32 v148, v14
	v_lshrrev_b32_e32 v147, 16, v10
	s_mov_b32 s16, -1
	s_and_b32 vcc_lo, exec_lo, s36
	s_delay_alu instid0(VALU_DEP_2) | instskip(NEXT) | instid1(VALU_DEP_2)
	v_lshrrev_b32_e32 v145, 16, v148
	v_and_b32_e32 v146, 0x7fff, v147
	v_perm_b32 v10, v10, v148, 0x7060302
	s_delay_alu instid0(VALU_DEP_3) | instskip(NEXT) | instid1(VALU_DEP_3)
	v_and_b32_e32 v14, 0x7fff, v145
	v_cmp_gt_u16_e64 s15, 0x7c01, v146
	s_delay_alu instid0(VALU_DEP_2) | instskip(NEXT) | instid1(VALU_DEP_1)
	v_cmp_lt_u16_e64 s14, 0x7c00, v14
                                        ; implicit-def: $vgpr14
	s_and_b32 s11, s14, s15
	s_delay_alu instid0(SALU_CYCLE_1)
	s_xor_b32 s11, s11, -1
	s_cbranch_vccz .LBB2_466
; %bb.461:                              ;   in Loop: Header=BB2_400 Depth=4
	v_mov_b32_e32 v14, v147
	s_and_saveexec_b32 s24, s11
	s_cbranch_execz .LBB2_465
; %bb.462:                              ;   in Loop: Header=BB2_400 Depth=4
	v_mov_b32_e32 v14, v145
	s_or_b32 s16, s14, s15
	s_delay_alu instid0(SALU_CYCLE_1)
	s_and_saveexec_b32 s37, s16
; %bb.463:                              ;   in Loop: Header=BB2_400 Depth=4
	v_lshrrev_b32_e32 v14, 16, v10
	v_cmp_lt_u16_e64 vcc_lo, 0x7c00, v146
	s_delay_alu instid0(VALU_DEP_2) | instskip(NEXT) | instid1(VALU_DEP_1)
	v_cmp_gt_f16_e64 s16, v10, v14
	v_cndmask_b32_e64 v14, v14, v10, s16
	s_delay_alu instid0(VALU_DEP_3)
	s_and_b32 s16, s14, vcc_lo
	s_delay_alu instid0(VALU_DEP_1) | instid1(SALU_CYCLE_1)
	v_cndmask_b32_e64 v14, v14, 0x7fff, s16
; %bb.464:                              ;   in Loop: Header=BB2_400 Depth=4
	s_or_b32 exec_lo, exec_lo, s37
.LBB2_465:                              ;   in Loop: Header=BB2_400 Depth=4
	s_delay_alu instid0(SALU_CYCLE_1)
	s_or_b32 exec_lo, exec_lo, s24
	s_mov_b32 s16, 0
.LBB2_466:                              ;   in Loop: Header=BB2_400 Depth=4
	s_delay_alu instid0(SALU_CYCLE_1)
	s_and_not1_b32 vcc_lo, exec_lo, s16
	s_cbranch_vccnz .LBB2_472
; %bb.467:                              ;   in Loop: Header=BB2_400 Depth=4
	s_and_saveexec_b32 s16, s11
	s_cbranch_execz .LBB2_471
; %bb.468:                              ;   in Loop: Header=BB2_400 Depth=4
	s_or_b32 s15, s14, s15
	s_delay_alu instid0(SALU_CYCLE_1)
	s_and_saveexec_b32 s11, s15
; %bb.469:                              ;   in Loop: Header=BB2_400 Depth=4
	v_lshrrev_b32_e32 v14, 16, v10
	v_cmp_lt_u16_e64 vcc_lo, 0x7c00, v146
	s_delay_alu instid0(VALU_DEP_2) | instskip(NEXT) | instid1(VALU_DEP_2)
	v_cmp_gt_f16_e64 s15, v10, v14
	s_and_b32 s14, s14, vcc_lo
	s_delay_alu instid0(VALU_DEP_1) | instskip(NEXT) | instid1(VALU_DEP_1)
	v_cndmask_b32_e64 v10, v10, v14, s15
	v_cndmask_b32_e64 v145, v10, 0x7fff, s14
; %bb.470:                              ;   in Loop: Header=BB2_400 Depth=4
	s_or_b32 exec_lo, exec_lo, s11
	s_delay_alu instid0(VALU_DEP_1)
	v_mov_b32_e32 v147, v145
.LBB2_471:                              ;   in Loop: Header=BB2_400 Depth=4
	s_or_b32 exec_lo, exec_lo, s16
	s_delay_alu instid0(VALU_DEP_1)
	v_mov_b32_e32 v14, v147
.LBB2_472:                              ;   in Loop: Header=BB2_400 Depth=4
	v_and_b32_e32 v10, 0x7fff, v15
	v_and_b32_e32 v145, 0x7fff, v11
	v_perm_b32 v146, v11, v15, 0x5040100
	s_mov_b32 s16, -1
	s_and_b32 vcc_lo, exec_lo, s36
	v_cmp_lt_u16_e64 s14, 0x7c00, v10
	v_cmp_gt_u16_e64 s15, 0x7c01, v145
                                        ; implicit-def: $vgpr10
	s_delay_alu instid0(VALU_DEP_1) | instskip(NEXT) | instid1(SALU_CYCLE_1)
	s_and_b32 s11, s14, s15
	s_xor_b32 s11, s11, -1
	s_cbranch_vccz .LBB2_478
; %bb.473:                              ;   in Loop: Header=BB2_400 Depth=4
	v_mov_b32_e32 v10, v11
	s_and_saveexec_b32 s24, s11
	s_cbranch_execz .LBB2_477
; %bb.474:                              ;   in Loop: Header=BB2_400 Depth=4
	v_mov_b32_e32 v10, v15
	s_or_b32 s16, s14, s15
	s_delay_alu instid0(SALU_CYCLE_1)
	s_and_saveexec_b32 s37, s16
; %bb.475:                              ;   in Loop: Header=BB2_400 Depth=4
	v_lshrrev_b32_e32 v10, 16, v146
	v_cmp_lt_u16_e64 vcc_lo, 0x7c00, v145
	s_delay_alu instid0(VALU_DEP_2) | instskip(NEXT) | instid1(VALU_DEP_1)
	v_cmp_gt_f16_e64 s16, v146, v10
	v_cndmask_b32_e64 v10, v10, v146, s16
	s_delay_alu instid0(VALU_DEP_3)
	s_and_b32 s16, s14, vcc_lo
	s_delay_alu instid0(VALU_DEP_1) | instid1(SALU_CYCLE_1)
	v_cndmask_b32_e64 v10, v10, 0x7fff, s16
; %bb.476:                              ;   in Loop: Header=BB2_400 Depth=4
	s_or_b32 exec_lo, exec_lo, s37
.LBB2_477:                              ;   in Loop: Header=BB2_400 Depth=4
	s_delay_alu instid0(SALU_CYCLE_1)
	s_or_b32 exec_lo, exec_lo, s24
	s_mov_b32 s16, 0
.LBB2_478:                              ;   in Loop: Header=BB2_400 Depth=4
	s_delay_alu instid0(SALU_CYCLE_1)
	s_and_not1_b32 vcc_lo, exec_lo, s16
	s_cbranch_vccnz .LBB2_484
; %bb.479:                              ;   in Loop: Header=BB2_400 Depth=4
	v_mov_b32_e32 v10, v11
	s_and_saveexec_b32 s16, s11
	s_cbranch_execz .LBB2_483
; %bb.480:                              ;   in Loop: Header=BB2_400 Depth=4
	v_mov_b32_e32 v10, v15
	s_or_b32 s15, s14, s15
	s_delay_alu instid0(SALU_CYCLE_1)
	s_and_saveexec_b32 s11, s15
; %bb.481:                              ;   in Loop: Header=BB2_400 Depth=4
	v_lshrrev_b32_e32 v10, 16, v146
	v_cmp_lt_u16_e64 vcc_lo, 0x7c00, v145
	s_delay_alu instid0(VALU_DEP_2) | instskip(NEXT) | instid1(VALU_DEP_2)
	v_cmp_gt_f16_e64 s15, v146, v10
	s_and_b32 s14, s14, vcc_lo
	s_delay_alu instid0(VALU_DEP_1) | instskip(NEXT) | instid1(VALU_DEP_1)
	v_cndmask_b32_e64 v10, v146, v10, s15
	v_cndmask_b32_e64 v10, v10, 0x7fff, s14
; %bb.482:                              ;   in Loop: Header=BB2_400 Depth=4
	s_or_b32 exec_lo, exec_lo, s11
.LBB2_483:                              ;   in Loop: Header=BB2_400 Depth=4
	s_delay_alu instid0(SALU_CYCLE_1)
	s_or_b32 exec_lo, exec_lo, s16
.LBB2_484:                              ;   in Loop: Header=BB2_400 Depth=4
	v_lshrrev_b32_e32 v145, 16, v15
	v_lshrrev_b32_e32 v147, 16, v11
	v_perm_b32 v11, v11, v15, 0x7060302
	s_mov_b32 s16, -1
	s_and_b32 vcc_lo, exec_lo, s36
	v_and_b32_e32 v148, 0x7fff, v145
	v_and_b32_e32 v146, 0x7fff, v147
                                        ; implicit-def: $vgpr15
	s_delay_alu instid0(VALU_DEP_2) | instskip(NEXT) | instid1(VALU_DEP_2)
	v_cmp_lt_u16_e64 s14, 0x7c00, v148
	v_cmp_gt_u16_e64 s15, 0x7c01, v146
	s_delay_alu instid0(VALU_DEP_1) | instskip(NEXT) | instid1(SALU_CYCLE_1)
	s_and_b32 s11, s14, s15
	s_xor_b32 s11, s11, -1
	s_cbranch_vccz .LBB2_490
; %bb.485:                              ;   in Loop: Header=BB2_400 Depth=4
	v_mov_b32_e32 v15, v147
	s_and_saveexec_b32 s24, s11
	s_cbranch_execz .LBB2_489
; %bb.486:                              ;   in Loop: Header=BB2_400 Depth=4
	v_mov_b32_e32 v15, v145
	s_or_b32 s16, s14, s15
	s_delay_alu instid0(SALU_CYCLE_1)
	s_and_saveexec_b32 s37, s16
; %bb.487:                              ;   in Loop: Header=BB2_400 Depth=4
	v_lshrrev_b32_e32 v15, 16, v11
	v_cmp_lt_u16_e64 vcc_lo, 0x7c00, v146
	s_delay_alu instid0(VALU_DEP_2) | instskip(NEXT) | instid1(VALU_DEP_1)
	v_cmp_gt_f16_e64 s16, v11, v15
	v_cndmask_b32_e64 v15, v15, v11, s16
	s_delay_alu instid0(VALU_DEP_3)
	s_and_b32 s16, s14, vcc_lo
	s_delay_alu instid0(VALU_DEP_1) | instid1(SALU_CYCLE_1)
	v_cndmask_b32_e64 v15, v15, 0x7fff, s16
; %bb.488:                              ;   in Loop: Header=BB2_400 Depth=4
	s_or_b32 exec_lo, exec_lo, s37
.LBB2_489:                              ;   in Loop: Header=BB2_400 Depth=4
	s_delay_alu instid0(SALU_CYCLE_1)
	s_or_b32 exec_lo, exec_lo, s24
	s_mov_b32 s16, 0
.LBB2_490:                              ;   in Loop: Header=BB2_400 Depth=4
	s_delay_alu instid0(SALU_CYCLE_1)
	s_and_not1_b32 vcc_lo, exec_lo, s16
	s_cbranch_vccnz .LBB2_399
; %bb.491:                              ;   in Loop: Header=BB2_400 Depth=4
	s_and_saveexec_b32 s16, s11
	s_cbranch_execz .LBB2_398
; %bb.492:                              ;   in Loop: Header=BB2_400 Depth=4
	s_or_b32 s15, s14, s15
	s_delay_alu instid0(SALU_CYCLE_1)
	s_and_saveexec_b32 s11, s15
	s_cbranch_execz .LBB2_397
; %bb.493:                              ;   in Loop: Header=BB2_400 Depth=4
	v_lshrrev_b32_e32 v15, 16, v11
	v_cmp_lt_u16_e64 vcc_lo, 0x7c00, v146
	s_delay_alu instid0(VALU_DEP_2) | instskip(NEXT) | instid1(VALU_DEP_2)
	v_cmp_gt_f16_e64 s15, v11, v15
	s_and_b32 s14, s14, vcc_lo
	s_delay_alu instid0(VALU_DEP_1) | instskip(NEXT) | instid1(VALU_DEP_1)
	v_cndmask_b32_e64 v11, v11, v15, s15
	v_cndmask_b32_e64 v145, v11, 0x7fff, s14
	s_branch .LBB2_397
.LBB2_494:                              ;   in Loop: Header=BB2_310 Depth=3
	s_or_b32 exec_lo, exec_lo, s35
.LBB2_495:                              ;   in Loop: Header=BB2_310 Depth=3
	s_delay_alu instid0(SALU_CYCLE_1) | instskip(SKIP_3) | instid1(VALU_DEP_1)
	s_or_b32 exec_lo, exec_lo, s34
	v_dual_mov_b32 v14, 0 :: v_dual_and_b32 v9, 14, v2
	s_mov_b32 s11, 0
	s_mov_b32 s34, exec_lo
                                        ; implicit-def: $vgpr2
                                        ; implicit-def: $vgpr15
                                        ; implicit-def: $vgpr8
	v_cndmask_b32_e64 v85, v134, v9, s13
	s_delay_alu instid0(VALU_DEP_1)
	v_cmpx_ne_u32_e32 0, v85
	s_cbranch_execz .LBB2_600
; %bb.496:                              ;   in Loop: Header=BB2_310 Depth=3
	v_cmp_lt_i32_e32 vcc_lo, 0, v135
	v_ashrrev_i32_e32 v10, 31, v85
	v_sub_nc_u32_e32 v9, v134, v9
	s_mov_b32 s35, exec_lo
	v_cndmask_b32_e32 v2, 0, v99, vcc_lo
	s_delay_alu instid0(VALU_DEP_3) | instskip(NEXT) | instid1(VALU_DEP_3)
	v_lshrrev_b32_e32 v10, 23, v10
	v_cndmask_b32_e64 v9, 0, v9, s13
	s_delay_alu instid0(VALU_DEP_3) | instskip(NEXT) | instid1(VALU_DEP_3)
	v_sub_nc_u32_e32 v2, v2, v135
	v_add_nc_u32_e32 v10, v85, v10
	s_delay_alu instid0(VALU_DEP_3) | instskip(NEXT) | instid1(VALU_DEP_3)
	v_add_nc_u32_e32 v67, v9, v67
	v_lshl_add_u32 v2, v2, 5, v98
	s_delay_alu instid0(VALU_DEP_3) | instskip(SKIP_1) | instid1(VALU_DEP_3)
	v_and_b32_e32 v135, 0xfffffe00, v10
	v_ashrrev_i32_e32 v10, 9, v10
	v_ashrrev_i32_e32 v8, 31, v2
	s_delay_alu instid0(VALU_DEP_3) | instskip(NEXT) | instid1(VALU_DEP_2)
	v_sub_nc_u32_e32 v134, v85, v135
	v_lshrrev_b32_e32 v8, 27, v8
	s_delay_alu instid0(VALU_DEP_2) | instskip(NEXT) | instid1(VALU_DEP_2)
	v_cmp_lt_i32_e64 s13, 15, v134
	v_add_nc_u32_e32 v8, v2, v8
	s_delay_alu instid0(VALU_DEP_2) | instskip(NEXT) | instid1(VALU_DEP_2)
	v_add_co_ci_u32_e64 v10, vcc_lo, 0, v10, s13
	v_and_b32_e32 v11, 0xffffffe0, v8
	s_delay_alu instid0(VALU_DEP_1) | instskip(SKIP_1) | instid1(VALU_DEP_2)
	v_sub_nc_u32_e32 v144, v2, v11
	v_ashrrev_i32_e32 v11, 5, v8
	v_lshlrev_b32_e32 v2, 4, v144
	s_delay_alu instid0(VALU_DEP_2) | instskip(NEXT) | instid1(VALU_DEP_2)
	v_sub_nc_u32_e32 v145, v10, v11
	v_lshl_add_u32 v8, v11, 9, v2
	s_delay_alu instid0(VALU_DEP_1) | instskip(NEXT) | instid1(VALU_DEP_1)
	v_sub_nc_u32_e32 v2, v85, v8
	v_cmpx_lt_i32_e32 15, v2
	s_cbranch_execz .LBB2_597
; %bb.497:                              ;   in Loop: Header=BB2_310 Depth=3
	s_cbranch_execnz .LBB2_2530
; %bb.498:                              ;   in Loop: Header=BB2_310 Depth=3
	ds_load_b128 v[9:12], v0
	ds_load_b64 v[13:14], v0
	v_add_nc_u32_e32 v8, v8, v67
	s_bitcmp1_b32 s31, 0
	s_mov_b32 s36, 0
	s_cselect_b32 s37, -1, 0
	s_delay_alu instid0(VALU_DEP_1) | instskip(SKIP_2) | instid1(VALU_DEP_2)
	v_ashrrev_i32_e32 v15, 31, v8
	s_waitcnt lgkmcnt(1)
	v_add_co_u32 v70, vcc_lo, v9, v8
	v_add_co_ci_u32_e32 v71, vcc_lo, v10, v15, vcc_lo
	v_add_co_u32 v80, vcc_lo, v11, v8
	v_add_co_ci_u32_e32 v81, vcc_lo, v12, v15, vcc_lo
	s_waitcnt lgkmcnt(0)
	v_add_co_u32 v82, vcc_lo, v13, v8
	v_add_co_ci_u32_e32 v83, vcc_lo, v14, v15, vcc_lo
	s_branch .LBB2_502
.LBB2_499:                              ;   in Loop: Header=BB2_502 Depth=4
	s_or_b32 exec_lo, exec_lo, s11
	s_delay_alu instid0(VALU_DEP_1)
	v_mov_b32_e32 v149, v147
.LBB2_500:                              ;   in Loop: Header=BB2_502 Depth=4
	s_or_b32 exec_lo, exec_lo, s16
	s_delay_alu instid0(VALU_DEP_1)
	v_mov_b32_e32 v15, v149
.LBB2_501:                              ;   in Loop: Header=BB2_502 Depth=4
	v_lshlrev_b32_e32 v8, 16, v8
	v_and_b32_e32 v11, 0xffff, v146
	v_lshlrev_b32_e32 v14, 16, v14
	v_and_b32_e32 v13, 0xffff, v13
	;; [unrolled: 2-line block ×3, first 2 shown]
	v_or_b32_e32 v8, v8, v11
	v_lshlrev_b32_e32 v11, 16, v15
	v_and_b32_e32 v10, 0xffff, v10
	v_or_b32_e32 v13, v14, v13
	v_add_co_u32 v70, vcc_lo, v70, v114
	v_or3_b32 v9, v12, v9, 0
	v_or3_b32 v8, 0, 0, v8
	v_or3_b32 v11, v11, v10, 0
	v_or3_b32 v10, 0, 0, v13
	v_sub_nc_u32_e32 v2, v2, v100
	v_add_co_ci_u32_e32 v71, vcc_lo, v71, v115, vcc_lo
	v_add_co_u32 v80, vcc_lo, v80, v114
	v_add_co_ci_u32_e32 v81, vcc_lo, v81, v115, vcc_lo
	global_store_b128 v[82:83], v[8:11], off glc slc dlc
	v_cmp_gt_i32_e32 vcc_lo, 16, v2
	v_add_co_u32 v82, s14, v82, v114
	s_delay_alu instid0(VALU_DEP_1) | instskip(SKIP_2) | instid1(SALU_CYCLE_1)
	v_add_co_ci_u32_e64 v83, s14, v83, v115, s14
	v_sub_nc_u32_e32 v145, v145, v99
	s_or_b32 s36, vcc_lo, s36
	s_and_not1_b32 exec_lo, exec_lo, s36
	s_cbranch_execz .LBB2_596
.LBB2_502:                              ;   Parent Loop BB2_51 Depth=1
                                        ;     Parent Loop BB2_308 Depth=2
                                        ;       Parent Loop BB2_310 Depth=3
                                        ; =>      This Inner Loop Header: Depth=4
	global_load_b128 v[12:15], v[70:71], off slc dlc
	global_load_b128 v[8:11], v[80:81], off slc dlc
	s_mov_b32 s16, -1
	s_and_b32 vcc_lo, exec_lo, s37
	s_waitcnt vmcnt(1)
	v_and_b32_e32 v146, 0x7fff, v12
	s_waitcnt vmcnt(0)
	v_and_b32_e32 v147, 0x7fff, v8
	v_perm_b32 v148, v8, v12, 0x5040100
	s_delay_alu instid0(VALU_DEP_3) | instskip(NEXT) | instid1(VALU_DEP_3)
	v_cmp_lt_u16_e64 s14, 0x7c00, v146
	v_cmp_gt_u16_e64 s15, 0x7c01, v147
                                        ; implicit-def: $vgpr146
	s_delay_alu instid0(VALU_DEP_1) | instskip(NEXT) | instid1(SALU_CYCLE_1)
	s_and_b32 s11, s14, s15
	s_xor_b32 s11, s11, -1
	s_cbranch_vccz .LBB2_508
; %bb.503:                              ;   in Loop: Header=BB2_502 Depth=4
	v_mov_b32_e32 v146, v8
	s_and_saveexec_b32 s24, s11
	s_cbranch_execz .LBB2_507
; %bb.504:                              ;   in Loop: Header=BB2_502 Depth=4
	v_mov_b32_e32 v146, v12
	s_or_b32 s16, s14, s15
	s_delay_alu instid0(SALU_CYCLE_1)
	s_and_saveexec_b32 s38, s16
; %bb.505:                              ;   in Loop: Header=BB2_502 Depth=4
	v_lshrrev_b32_e32 v146, 16, v148
	v_cmp_lt_u16_e64 vcc_lo, 0x7c00, v147
	s_delay_alu instid0(VALU_DEP_2) | instskip(NEXT) | instid1(VALU_DEP_1)
	v_cmp_gt_f16_e64 s16, v148, v146
	v_cndmask_b32_e64 v146, v146, v148, s16
	s_delay_alu instid0(VALU_DEP_3)
	s_and_b32 s16, s14, vcc_lo
	s_delay_alu instid0(VALU_DEP_1) | instid1(SALU_CYCLE_1)
	v_cndmask_b32_e64 v146, v146, 0x7fff, s16
; %bb.506:                              ;   in Loop: Header=BB2_502 Depth=4
	s_or_b32 exec_lo, exec_lo, s38
.LBB2_507:                              ;   in Loop: Header=BB2_502 Depth=4
	s_delay_alu instid0(SALU_CYCLE_1)
	s_or_b32 exec_lo, exec_lo, s24
	s_mov_b32 s16, 0
.LBB2_508:                              ;   in Loop: Header=BB2_502 Depth=4
	s_delay_alu instid0(SALU_CYCLE_1)
	s_and_not1_b32 vcc_lo, exec_lo, s16
	s_cbranch_vccnz .LBB2_514
; %bb.509:                              ;   in Loop: Header=BB2_502 Depth=4
	v_mov_b32_e32 v146, v8
	s_and_saveexec_b32 s16, s11
	s_cbranch_execz .LBB2_513
; %bb.510:                              ;   in Loop: Header=BB2_502 Depth=4
	v_mov_b32_e32 v146, v12
	s_or_b32 s15, s14, s15
	s_delay_alu instid0(SALU_CYCLE_1)
	s_and_saveexec_b32 s11, s15
; %bb.511:                              ;   in Loop: Header=BB2_502 Depth=4
	v_lshrrev_b32_e32 v146, 16, v148
	v_cmp_lt_u16_e64 vcc_lo, 0x7c00, v147
	s_delay_alu instid0(VALU_DEP_2) | instskip(NEXT) | instid1(VALU_DEP_2)
	v_cmp_gt_f16_e64 s15, v148, v146
	s_and_b32 s14, s14, vcc_lo
	s_delay_alu instid0(VALU_DEP_1) | instskip(NEXT) | instid1(VALU_DEP_1)
	v_cndmask_b32_e64 v146, v148, v146, s15
	v_cndmask_b32_e64 v146, v146, 0x7fff, s14
; %bb.512:                              ;   in Loop: Header=BB2_502 Depth=4
	s_or_b32 exec_lo, exec_lo, s11
.LBB2_513:                              ;   in Loop: Header=BB2_502 Depth=4
	s_delay_alu instid0(SALU_CYCLE_1)
	s_or_b32 exec_lo, exec_lo, s16
.LBB2_514:                              ;   in Loop: Header=BB2_502 Depth=4
	v_mov_b32_e32 v150, v12
	v_mov_b32_e32 v12, v13
	;; [unrolled: 1-line block ×3, first 2 shown]
	s_mov_b32 s16, -1
	s_and_b32 vcc_lo, exec_lo, s37
	v_lshrrev_b32_e32 v147, 16, v150
	s_delay_alu instid0(VALU_DEP_1) | instskip(NEXT) | instid1(VALU_DEP_1)
	v_dual_mov_b32 v151, v8 :: v_dual_and_b32 v8, 0x7fff, v147
	v_lshrrev_b32_e32 v149, 16, v151
	v_perm_b32 v9, v151, v150, 0x7060302
	s_delay_alu instid0(VALU_DEP_3) | instskip(NEXT) | instid1(VALU_DEP_3)
	v_cmp_lt_u16_e64 s14, 0x7c00, v8
	v_and_b32_e32 v148, 0x7fff, v149
                                        ; implicit-def: $vgpr8
	s_delay_alu instid0(VALU_DEP_1) | instskip(NEXT) | instid1(VALU_DEP_1)
	v_cmp_gt_u16_e64 s15, 0x7c01, v148
	s_and_b32 s11, s14, s15
	s_delay_alu instid0(SALU_CYCLE_1)
	s_xor_b32 s11, s11, -1
	s_cbranch_vccz .LBB2_520
; %bb.515:                              ;   in Loop: Header=BB2_502 Depth=4
	v_mov_b32_e32 v8, v149
	s_and_saveexec_b32 s24, s11
	s_cbranch_execz .LBB2_519
; %bb.516:                              ;   in Loop: Header=BB2_502 Depth=4
	v_mov_b32_e32 v8, v147
	s_or_b32 s16, s14, s15
	s_delay_alu instid0(SALU_CYCLE_1)
	s_and_saveexec_b32 s38, s16
; %bb.517:                              ;   in Loop: Header=BB2_502 Depth=4
	v_lshrrev_b32_e32 v8, 16, v9
	v_cmp_lt_u16_e64 vcc_lo, 0x7c00, v148
	s_delay_alu instid0(VALU_DEP_2) | instskip(NEXT) | instid1(VALU_DEP_1)
	v_cmp_gt_f16_e64 s16, v9, v8
	v_cndmask_b32_e64 v8, v8, v9, s16
	s_delay_alu instid0(VALU_DEP_3)
	s_and_b32 s16, s14, vcc_lo
	s_delay_alu instid0(VALU_DEP_1) | instid1(SALU_CYCLE_1)
	v_cndmask_b32_e64 v8, v8, 0x7fff, s16
; %bb.518:                              ;   in Loop: Header=BB2_502 Depth=4
	s_or_b32 exec_lo, exec_lo, s38
.LBB2_519:                              ;   in Loop: Header=BB2_502 Depth=4
	s_delay_alu instid0(SALU_CYCLE_1)
	s_or_b32 exec_lo, exec_lo, s24
	s_mov_b32 s16, 0
.LBB2_520:                              ;   in Loop: Header=BB2_502 Depth=4
	s_delay_alu instid0(SALU_CYCLE_1)
	s_and_not1_b32 vcc_lo, exec_lo, s16
	s_cbranch_vccnz .LBB2_526
; %bb.521:                              ;   in Loop: Header=BB2_502 Depth=4
	s_and_saveexec_b32 s16, s11
	s_cbranch_execz .LBB2_525
; %bb.522:                              ;   in Loop: Header=BB2_502 Depth=4
	s_or_b32 s15, s14, s15
	s_delay_alu instid0(SALU_CYCLE_1)
	s_and_saveexec_b32 s11, s15
; %bb.523:                              ;   in Loop: Header=BB2_502 Depth=4
	v_lshrrev_b32_e32 v8, 16, v9
	v_cmp_lt_u16_e64 vcc_lo, 0x7c00, v148
	s_delay_alu instid0(VALU_DEP_2) | instskip(NEXT) | instid1(VALU_DEP_2)
	v_cmp_gt_f16_e64 s15, v9, v8
	s_and_b32 s14, s14, vcc_lo
	s_delay_alu instid0(VALU_DEP_1) | instskip(NEXT) | instid1(VALU_DEP_1)
	v_cndmask_b32_e64 v8, v9, v8, s15
	v_cndmask_b32_e64 v147, v8, 0x7fff, s14
; %bb.524:                              ;   in Loop: Header=BB2_502 Depth=4
	s_or_b32 exec_lo, exec_lo, s11
	s_delay_alu instid0(VALU_DEP_1)
	v_mov_b32_e32 v149, v147
.LBB2_525:                              ;   in Loop: Header=BB2_502 Depth=4
	s_or_b32 exec_lo, exec_lo, s16
	s_delay_alu instid0(VALU_DEP_1)
	v_mov_b32_e32 v8, v149
.LBB2_526:                              ;   in Loop: Header=BB2_502 Depth=4
	v_and_b32_e32 v9, 0x7fff, v12
	v_and_b32_e32 v147, 0x7fff, v13
	v_perm_b32 v148, v13, v12, 0x5040100
	s_mov_b32 s16, -1
	s_and_b32 vcc_lo, exec_lo, s37
	v_cmp_lt_u16_e64 s14, 0x7c00, v9
	v_cmp_gt_u16_e64 s15, 0x7c01, v147
                                        ; implicit-def: $vgpr9
	s_delay_alu instid0(VALU_DEP_1) | instskip(NEXT) | instid1(SALU_CYCLE_1)
	s_and_b32 s11, s14, s15
	s_xor_b32 s11, s11, -1
	s_cbranch_vccz .LBB2_532
; %bb.527:                              ;   in Loop: Header=BB2_502 Depth=4
	v_mov_b32_e32 v9, v13
	s_and_saveexec_b32 s24, s11
	s_cbranch_execz .LBB2_531
; %bb.528:                              ;   in Loop: Header=BB2_502 Depth=4
	v_mov_b32_e32 v9, v12
	s_or_b32 s16, s14, s15
	s_delay_alu instid0(SALU_CYCLE_1)
	s_and_saveexec_b32 s38, s16
; %bb.529:                              ;   in Loop: Header=BB2_502 Depth=4
	v_lshrrev_b32_e32 v9, 16, v148
	v_cmp_lt_u16_e64 vcc_lo, 0x7c00, v147
	s_delay_alu instid0(VALU_DEP_2) | instskip(NEXT) | instid1(VALU_DEP_1)
	v_cmp_gt_f16_e64 s16, v148, v9
	v_cndmask_b32_e64 v9, v9, v148, s16
	s_delay_alu instid0(VALU_DEP_3)
	s_and_b32 s16, s14, vcc_lo
	s_delay_alu instid0(VALU_DEP_1) | instid1(SALU_CYCLE_1)
	v_cndmask_b32_e64 v9, v9, 0x7fff, s16
; %bb.530:                              ;   in Loop: Header=BB2_502 Depth=4
	s_or_b32 exec_lo, exec_lo, s38
.LBB2_531:                              ;   in Loop: Header=BB2_502 Depth=4
	s_delay_alu instid0(SALU_CYCLE_1)
	s_or_b32 exec_lo, exec_lo, s24
	s_mov_b32 s16, 0
.LBB2_532:                              ;   in Loop: Header=BB2_502 Depth=4
	s_delay_alu instid0(SALU_CYCLE_1)
	s_and_not1_b32 vcc_lo, exec_lo, s16
	s_cbranch_vccnz .LBB2_538
; %bb.533:                              ;   in Loop: Header=BB2_502 Depth=4
	v_mov_b32_e32 v9, v13
	s_and_saveexec_b32 s16, s11
	s_cbranch_execz .LBB2_537
; %bb.534:                              ;   in Loop: Header=BB2_502 Depth=4
	v_mov_b32_e32 v9, v12
	s_or_b32 s15, s14, s15
	s_delay_alu instid0(SALU_CYCLE_1)
	s_and_saveexec_b32 s11, s15
; %bb.535:                              ;   in Loop: Header=BB2_502 Depth=4
	v_lshrrev_b32_e32 v9, 16, v148
	v_cmp_lt_u16_e64 vcc_lo, 0x7c00, v147
	s_delay_alu instid0(VALU_DEP_2) | instskip(NEXT) | instid1(VALU_DEP_2)
	v_cmp_gt_f16_e64 s15, v148, v9
	s_and_b32 s14, s14, vcc_lo
	s_delay_alu instid0(VALU_DEP_1) | instskip(NEXT) | instid1(VALU_DEP_1)
	v_cndmask_b32_e64 v9, v148, v9, s15
	v_cndmask_b32_e64 v9, v9, 0x7fff, s14
; %bb.536:                              ;   in Loop: Header=BB2_502 Depth=4
	s_or_b32 exec_lo, exec_lo, s11
.LBB2_537:                              ;   in Loop: Header=BB2_502 Depth=4
	s_delay_alu instid0(SALU_CYCLE_1)
	s_or_b32 exec_lo, exec_lo, s16
.LBB2_538:                              ;   in Loop: Header=BB2_502 Depth=4
	v_lshrrev_b32_e32 v147, 16, v12
	v_lshrrev_b32_e32 v149, 16, v13
	v_perm_b32 v13, v13, v12, 0x7060302
	s_mov_b32 s16, -1
	s_and_b32 vcc_lo, exec_lo, s37
	v_and_b32_e32 v150, 0x7fff, v147
	v_and_b32_e32 v148, 0x7fff, v149
                                        ; implicit-def: $vgpr12
	s_delay_alu instid0(VALU_DEP_2) | instskip(NEXT) | instid1(VALU_DEP_2)
	v_cmp_lt_u16_e64 s14, 0x7c00, v150
	v_cmp_gt_u16_e64 s15, 0x7c01, v148
	s_delay_alu instid0(VALU_DEP_1) | instskip(NEXT) | instid1(SALU_CYCLE_1)
	s_and_b32 s11, s14, s15
	s_xor_b32 s11, s11, -1
	s_cbranch_vccz .LBB2_544
; %bb.539:                              ;   in Loop: Header=BB2_502 Depth=4
	v_mov_b32_e32 v12, v149
	s_and_saveexec_b32 s24, s11
	s_cbranch_execz .LBB2_543
; %bb.540:                              ;   in Loop: Header=BB2_502 Depth=4
	v_mov_b32_e32 v12, v147
	s_or_b32 s16, s14, s15
	s_delay_alu instid0(SALU_CYCLE_1)
	s_and_saveexec_b32 s38, s16
; %bb.541:                              ;   in Loop: Header=BB2_502 Depth=4
	v_lshrrev_b32_e32 v12, 16, v13
	v_cmp_lt_u16_e64 vcc_lo, 0x7c00, v148
	s_delay_alu instid0(VALU_DEP_2) | instskip(NEXT) | instid1(VALU_DEP_1)
	v_cmp_gt_f16_e64 s16, v13, v12
	v_cndmask_b32_e64 v12, v12, v13, s16
	s_delay_alu instid0(VALU_DEP_3)
	s_and_b32 s16, s14, vcc_lo
	s_delay_alu instid0(VALU_DEP_1) | instid1(SALU_CYCLE_1)
	v_cndmask_b32_e64 v12, v12, 0x7fff, s16
; %bb.542:                              ;   in Loop: Header=BB2_502 Depth=4
	s_or_b32 exec_lo, exec_lo, s38
.LBB2_543:                              ;   in Loop: Header=BB2_502 Depth=4
	s_delay_alu instid0(SALU_CYCLE_1)
	s_or_b32 exec_lo, exec_lo, s24
	s_mov_b32 s16, 0
.LBB2_544:                              ;   in Loop: Header=BB2_502 Depth=4
	s_delay_alu instid0(SALU_CYCLE_1)
	s_and_not1_b32 vcc_lo, exec_lo, s16
	s_cbranch_vccnz .LBB2_550
; %bb.545:                              ;   in Loop: Header=BB2_502 Depth=4
	s_and_saveexec_b32 s16, s11
	s_cbranch_execz .LBB2_549
; %bb.546:                              ;   in Loop: Header=BB2_502 Depth=4
	s_or_b32 s15, s14, s15
	s_delay_alu instid0(SALU_CYCLE_1)
	s_and_saveexec_b32 s11, s15
; %bb.547:                              ;   in Loop: Header=BB2_502 Depth=4
	v_lshrrev_b32_e32 v12, 16, v13
	v_cmp_lt_u16_e64 vcc_lo, 0x7c00, v148
	s_delay_alu instid0(VALU_DEP_2) | instskip(NEXT) | instid1(VALU_DEP_2)
	v_cmp_gt_f16_e64 s15, v13, v12
	s_and_b32 s14, s14, vcc_lo
	s_delay_alu instid0(VALU_DEP_1) | instskip(NEXT) | instid1(VALU_DEP_1)
	v_cndmask_b32_e64 v12, v13, v12, s15
	v_cndmask_b32_e64 v147, v12, 0x7fff, s14
; %bb.548:                              ;   in Loop: Header=BB2_502 Depth=4
	s_or_b32 exec_lo, exec_lo, s11
	s_delay_alu instid0(VALU_DEP_1)
	v_mov_b32_e32 v149, v147
.LBB2_549:                              ;   in Loop: Header=BB2_502 Depth=4
	s_or_b32 exec_lo, exec_lo, s16
	s_delay_alu instid0(VALU_DEP_1)
	v_mov_b32_e32 v12, v149
.LBB2_550:                              ;   in Loop: Header=BB2_502 Depth=4
	v_and_b32_e32 v13, 0x7fff, v14
	v_and_b32_e32 v147, 0x7fff, v10
	v_perm_b32 v148, v10, v14, 0x5040100
	s_mov_b32 s16, -1
	s_and_b32 vcc_lo, exec_lo, s37
	v_cmp_lt_u16_e64 s14, 0x7c00, v13
	v_cmp_gt_u16_e64 s15, 0x7c01, v147
                                        ; implicit-def: $vgpr13
	s_delay_alu instid0(VALU_DEP_1) | instskip(NEXT) | instid1(SALU_CYCLE_1)
	s_and_b32 s11, s14, s15
	s_xor_b32 s11, s11, -1
	s_cbranch_vccz .LBB2_556
; %bb.551:                              ;   in Loop: Header=BB2_502 Depth=4
	v_mov_b32_e32 v13, v10
	s_and_saveexec_b32 s24, s11
	s_cbranch_execz .LBB2_555
; %bb.552:                              ;   in Loop: Header=BB2_502 Depth=4
	v_mov_b32_e32 v13, v14
	s_or_b32 s16, s14, s15
	s_delay_alu instid0(SALU_CYCLE_1)
	s_and_saveexec_b32 s38, s16
; %bb.553:                              ;   in Loop: Header=BB2_502 Depth=4
	v_lshrrev_b32_e32 v13, 16, v148
	v_cmp_lt_u16_e64 vcc_lo, 0x7c00, v147
	s_delay_alu instid0(VALU_DEP_2) | instskip(NEXT) | instid1(VALU_DEP_1)
	v_cmp_gt_f16_e64 s16, v148, v13
	v_cndmask_b32_e64 v13, v13, v148, s16
	s_delay_alu instid0(VALU_DEP_3)
	s_and_b32 s16, s14, vcc_lo
	s_delay_alu instid0(VALU_DEP_1) | instid1(SALU_CYCLE_1)
	v_cndmask_b32_e64 v13, v13, 0x7fff, s16
; %bb.554:                              ;   in Loop: Header=BB2_502 Depth=4
	s_or_b32 exec_lo, exec_lo, s38
.LBB2_555:                              ;   in Loop: Header=BB2_502 Depth=4
	s_delay_alu instid0(SALU_CYCLE_1)
	s_or_b32 exec_lo, exec_lo, s24
	s_mov_b32 s16, 0
.LBB2_556:                              ;   in Loop: Header=BB2_502 Depth=4
	s_delay_alu instid0(SALU_CYCLE_1)
	s_and_not1_b32 vcc_lo, exec_lo, s16
	s_cbranch_vccnz .LBB2_562
; %bb.557:                              ;   in Loop: Header=BB2_502 Depth=4
	v_mov_b32_e32 v13, v10
	s_and_saveexec_b32 s16, s11
	s_cbranch_execz .LBB2_561
; %bb.558:                              ;   in Loop: Header=BB2_502 Depth=4
	v_mov_b32_e32 v13, v14
	s_or_b32 s15, s14, s15
	s_delay_alu instid0(SALU_CYCLE_1)
	s_and_saveexec_b32 s11, s15
; %bb.559:                              ;   in Loop: Header=BB2_502 Depth=4
	v_lshrrev_b32_e32 v13, 16, v148
	v_cmp_lt_u16_e64 vcc_lo, 0x7c00, v147
	s_delay_alu instid0(VALU_DEP_2) | instskip(NEXT) | instid1(VALU_DEP_2)
	v_cmp_gt_f16_e64 s15, v148, v13
	s_and_b32 s14, s14, vcc_lo
	s_delay_alu instid0(VALU_DEP_1) | instskip(NEXT) | instid1(VALU_DEP_1)
	v_cndmask_b32_e64 v13, v148, v13, s15
	v_cndmask_b32_e64 v13, v13, 0x7fff, s14
; %bb.560:                              ;   in Loop: Header=BB2_502 Depth=4
	s_or_b32 exec_lo, exec_lo, s11
.LBB2_561:                              ;   in Loop: Header=BB2_502 Depth=4
	s_delay_alu instid0(SALU_CYCLE_1)
	s_or_b32 exec_lo, exec_lo, s16
.LBB2_562:                              ;   in Loop: Header=BB2_502 Depth=4
	v_mov_b32_e32 v150, v14
	v_lshrrev_b32_e32 v149, 16, v10
	s_mov_b32 s16, -1
	s_and_b32 vcc_lo, exec_lo, s37
	s_delay_alu instid0(VALU_DEP_2) | instskip(NEXT) | instid1(VALU_DEP_2)
	v_lshrrev_b32_e32 v147, 16, v150
	v_and_b32_e32 v148, 0x7fff, v149
	v_perm_b32 v10, v10, v150, 0x7060302
	s_delay_alu instid0(VALU_DEP_3) | instskip(NEXT) | instid1(VALU_DEP_3)
	v_and_b32_e32 v14, 0x7fff, v147
	v_cmp_gt_u16_e64 s15, 0x7c01, v148
	s_delay_alu instid0(VALU_DEP_2) | instskip(NEXT) | instid1(VALU_DEP_1)
	v_cmp_lt_u16_e64 s14, 0x7c00, v14
                                        ; implicit-def: $vgpr14
	s_and_b32 s11, s14, s15
	s_delay_alu instid0(SALU_CYCLE_1)
	s_xor_b32 s11, s11, -1
	s_cbranch_vccz .LBB2_568
; %bb.563:                              ;   in Loop: Header=BB2_502 Depth=4
	v_mov_b32_e32 v14, v149
	s_and_saveexec_b32 s24, s11
	s_cbranch_execz .LBB2_567
; %bb.564:                              ;   in Loop: Header=BB2_502 Depth=4
	v_mov_b32_e32 v14, v147
	s_or_b32 s16, s14, s15
	s_delay_alu instid0(SALU_CYCLE_1)
	s_and_saveexec_b32 s38, s16
; %bb.565:                              ;   in Loop: Header=BB2_502 Depth=4
	v_lshrrev_b32_e32 v14, 16, v10
	v_cmp_lt_u16_e64 vcc_lo, 0x7c00, v148
	s_delay_alu instid0(VALU_DEP_2) | instskip(NEXT) | instid1(VALU_DEP_1)
	v_cmp_gt_f16_e64 s16, v10, v14
	v_cndmask_b32_e64 v14, v14, v10, s16
	s_delay_alu instid0(VALU_DEP_3)
	s_and_b32 s16, s14, vcc_lo
	s_delay_alu instid0(VALU_DEP_1) | instid1(SALU_CYCLE_1)
	v_cndmask_b32_e64 v14, v14, 0x7fff, s16
; %bb.566:                              ;   in Loop: Header=BB2_502 Depth=4
	s_or_b32 exec_lo, exec_lo, s38
.LBB2_567:                              ;   in Loop: Header=BB2_502 Depth=4
	s_delay_alu instid0(SALU_CYCLE_1)
	s_or_b32 exec_lo, exec_lo, s24
	s_mov_b32 s16, 0
.LBB2_568:                              ;   in Loop: Header=BB2_502 Depth=4
	s_delay_alu instid0(SALU_CYCLE_1)
	s_and_not1_b32 vcc_lo, exec_lo, s16
	s_cbranch_vccnz .LBB2_574
; %bb.569:                              ;   in Loop: Header=BB2_502 Depth=4
	s_and_saveexec_b32 s16, s11
	s_cbranch_execz .LBB2_573
; %bb.570:                              ;   in Loop: Header=BB2_502 Depth=4
	s_or_b32 s15, s14, s15
	s_delay_alu instid0(SALU_CYCLE_1)
	s_and_saveexec_b32 s11, s15
; %bb.571:                              ;   in Loop: Header=BB2_502 Depth=4
	v_lshrrev_b32_e32 v14, 16, v10
	v_cmp_lt_u16_e64 vcc_lo, 0x7c00, v148
	s_delay_alu instid0(VALU_DEP_2) | instskip(NEXT) | instid1(VALU_DEP_2)
	v_cmp_gt_f16_e64 s15, v10, v14
	s_and_b32 s14, s14, vcc_lo
	s_delay_alu instid0(VALU_DEP_1) | instskip(NEXT) | instid1(VALU_DEP_1)
	v_cndmask_b32_e64 v10, v10, v14, s15
	v_cndmask_b32_e64 v147, v10, 0x7fff, s14
; %bb.572:                              ;   in Loop: Header=BB2_502 Depth=4
	s_or_b32 exec_lo, exec_lo, s11
	s_delay_alu instid0(VALU_DEP_1)
	v_mov_b32_e32 v149, v147
.LBB2_573:                              ;   in Loop: Header=BB2_502 Depth=4
	s_or_b32 exec_lo, exec_lo, s16
	s_delay_alu instid0(VALU_DEP_1)
	v_mov_b32_e32 v14, v149
.LBB2_574:                              ;   in Loop: Header=BB2_502 Depth=4
	v_and_b32_e32 v10, 0x7fff, v15
	v_and_b32_e32 v147, 0x7fff, v11
	v_perm_b32 v148, v11, v15, 0x5040100
	s_mov_b32 s16, -1
	s_and_b32 vcc_lo, exec_lo, s37
	v_cmp_lt_u16_e64 s14, 0x7c00, v10
	v_cmp_gt_u16_e64 s15, 0x7c01, v147
                                        ; implicit-def: $vgpr10
	s_delay_alu instid0(VALU_DEP_1) | instskip(NEXT) | instid1(SALU_CYCLE_1)
	s_and_b32 s11, s14, s15
	s_xor_b32 s11, s11, -1
	s_cbranch_vccz .LBB2_580
; %bb.575:                              ;   in Loop: Header=BB2_502 Depth=4
	v_mov_b32_e32 v10, v11
	s_and_saveexec_b32 s24, s11
	s_cbranch_execz .LBB2_579
; %bb.576:                              ;   in Loop: Header=BB2_502 Depth=4
	v_mov_b32_e32 v10, v15
	s_or_b32 s16, s14, s15
	s_delay_alu instid0(SALU_CYCLE_1)
	s_and_saveexec_b32 s38, s16
; %bb.577:                              ;   in Loop: Header=BB2_502 Depth=4
	v_lshrrev_b32_e32 v10, 16, v148
	v_cmp_lt_u16_e64 vcc_lo, 0x7c00, v147
	s_delay_alu instid0(VALU_DEP_2) | instskip(NEXT) | instid1(VALU_DEP_1)
	v_cmp_gt_f16_e64 s16, v148, v10
	v_cndmask_b32_e64 v10, v10, v148, s16
	s_delay_alu instid0(VALU_DEP_3)
	s_and_b32 s16, s14, vcc_lo
	s_delay_alu instid0(VALU_DEP_1) | instid1(SALU_CYCLE_1)
	v_cndmask_b32_e64 v10, v10, 0x7fff, s16
; %bb.578:                              ;   in Loop: Header=BB2_502 Depth=4
	s_or_b32 exec_lo, exec_lo, s38
.LBB2_579:                              ;   in Loop: Header=BB2_502 Depth=4
	s_delay_alu instid0(SALU_CYCLE_1)
	s_or_b32 exec_lo, exec_lo, s24
	s_mov_b32 s16, 0
.LBB2_580:                              ;   in Loop: Header=BB2_502 Depth=4
	s_delay_alu instid0(SALU_CYCLE_1)
	s_and_not1_b32 vcc_lo, exec_lo, s16
	s_cbranch_vccnz .LBB2_586
; %bb.581:                              ;   in Loop: Header=BB2_502 Depth=4
	v_mov_b32_e32 v10, v11
	s_and_saveexec_b32 s16, s11
	s_cbranch_execz .LBB2_585
; %bb.582:                              ;   in Loop: Header=BB2_502 Depth=4
	v_mov_b32_e32 v10, v15
	s_or_b32 s15, s14, s15
	s_delay_alu instid0(SALU_CYCLE_1)
	s_and_saveexec_b32 s11, s15
; %bb.583:                              ;   in Loop: Header=BB2_502 Depth=4
	v_lshrrev_b32_e32 v10, 16, v148
	v_cmp_lt_u16_e64 vcc_lo, 0x7c00, v147
	s_delay_alu instid0(VALU_DEP_2) | instskip(NEXT) | instid1(VALU_DEP_2)
	v_cmp_gt_f16_e64 s15, v148, v10
	s_and_b32 s14, s14, vcc_lo
	s_delay_alu instid0(VALU_DEP_1) | instskip(NEXT) | instid1(VALU_DEP_1)
	v_cndmask_b32_e64 v10, v148, v10, s15
	v_cndmask_b32_e64 v10, v10, 0x7fff, s14
; %bb.584:                              ;   in Loop: Header=BB2_502 Depth=4
	s_or_b32 exec_lo, exec_lo, s11
.LBB2_585:                              ;   in Loop: Header=BB2_502 Depth=4
	s_delay_alu instid0(SALU_CYCLE_1)
	s_or_b32 exec_lo, exec_lo, s16
.LBB2_586:                              ;   in Loop: Header=BB2_502 Depth=4
	v_lshrrev_b32_e32 v147, 16, v15
	v_lshrrev_b32_e32 v149, 16, v11
	v_perm_b32 v11, v11, v15, 0x7060302
	s_mov_b32 s16, -1
	s_and_b32 vcc_lo, exec_lo, s37
	v_and_b32_e32 v150, 0x7fff, v147
	v_and_b32_e32 v148, 0x7fff, v149
                                        ; implicit-def: $vgpr15
	s_delay_alu instid0(VALU_DEP_2) | instskip(NEXT) | instid1(VALU_DEP_2)
	v_cmp_lt_u16_e64 s14, 0x7c00, v150
	v_cmp_gt_u16_e64 s15, 0x7c01, v148
	s_delay_alu instid0(VALU_DEP_1) | instskip(NEXT) | instid1(SALU_CYCLE_1)
	s_and_b32 s11, s14, s15
	s_xor_b32 s11, s11, -1
	s_cbranch_vccz .LBB2_592
; %bb.587:                              ;   in Loop: Header=BB2_502 Depth=4
	v_mov_b32_e32 v15, v149
	s_and_saveexec_b32 s24, s11
	s_cbranch_execz .LBB2_591
; %bb.588:                              ;   in Loop: Header=BB2_502 Depth=4
	v_mov_b32_e32 v15, v147
	s_or_b32 s16, s14, s15
	s_delay_alu instid0(SALU_CYCLE_1)
	s_and_saveexec_b32 s38, s16
; %bb.589:                              ;   in Loop: Header=BB2_502 Depth=4
	v_lshrrev_b32_e32 v15, 16, v11
	v_cmp_lt_u16_e64 vcc_lo, 0x7c00, v148
	s_delay_alu instid0(VALU_DEP_2) | instskip(NEXT) | instid1(VALU_DEP_1)
	v_cmp_gt_f16_e64 s16, v11, v15
	v_cndmask_b32_e64 v15, v15, v11, s16
	s_delay_alu instid0(VALU_DEP_3)
	s_and_b32 s16, s14, vcc_lo
	s_delay_alu instid0(VALU_DEP_1) | instid1(SALU_CYCLE_1)
	v_cndmask_b32_e64 v15, v15, 0x7fff, s16
; %bb.590:                              ;   in Loop: Header=BB2_502 Depth=4
	s_or_b32 exec_lo, exec_lo, s38
.LBB2_591:                              ;   in Loop: Header=BB2_502 Depth=4
	s_delay_alu instid0(SALU_CYCLE_1)
	s_or_b32 exec_lo, exec_lo, s24
	s_mov_b32 s16, 0
.LBB2_592:                              ;   in Loop: Header=BB2_502 Depth=4
	s_delay_alu instid0(SALU_CYCLE_1)
	s_and_not1_b32 vcc_lo, exec_lo, s16
	s_cbranch_vccnz .LBB2_501
; %bb.593:                              ;   in Loop: Header=BB2_502 Depth=4
	s_and_saveexec_b32 s16, s11
	s_cbranch_execz .LBB2_500
; %bb.594:                              ;   in Loop: Header=BB2_502 Depth=4
	s_or_b32 s15, s14, s15
	s_delay_alu instid0(SALU_CYCLE_1)
	s_and_saveexec_b32 s11, s15
	s_cbranch_execz .LBB2_499
; %bb.595:                              ;   in Loop: Header=BB2_502 Depth=4
	v_lshrrev_b32_e32 v15, 16, v11
	v_cmp_lt_u16_e64 vcc_lo, 0x7c00, v148
	s_delay_alu instid0(VALU_DEP_2) | instskip(NEXT) | instid1(VALU_DEP_2)
	v_cmp_gt_f16_e64 s15, v11, v15
	s_and_b32 s14, s14, vcc_lo
	s_delay_alu instid0(VALU_DEP_1) | instskip(NEXT) | instid1(VALU_DEP_1)
	v_cndmask_b32_e64 v11, v11, v15, s15
	v_cndmask_b32_e64 v147, v11, 0x7fff, s14
	s_branch .LBB2_499
.LBB2_596:                              ;   in Loop: Header=BB2_310 Depth=3
	s_or_b32 exec_lo, exec_lo, s36
.LBB2_597:                              ;   in Loop: Header=BB2_310 Depth=3
	s_delay_alu instid0(SALU_CYCLE_1) | instskip(SKIP_3) | instid1(VALU_DEP_1)
	s_or_b32 exec_lo, exec_lo, s35
	v_dual_mov_b32 v14, 0 :: v_dual_and_b32 v9, 14, v85
	s_mov_b32 s11, 0
	s_mov_b32 s14, exec_lo
                                        ; implicit-def: $vgpr15
                                        ; implicit-def: $vgpr8
	v_cndmask_b32_e64 v2, v134, v9, s13
	s_delay_alu instid0(VALU_DEP_1)
	v_cmpx_ne_u32_e32 0, v2
	s_cbranch_execz .LBB2_599
; %bb.598:                              ;   in Loop: Header=BB2_310 Depth=3
	v_cmp_lt_i32_e32 vcc_lo, 0, v145
	v_sub_nc_u32_e32 v9, v134, v9
	s_mov_b32 s11, exec_lo
	v_cndmask_b32_e32 v8, 0, v99, vcc_lo
	s_delay_alu instid0(VALU_DEP_2) | instskip(NEXT) | instid1(VALU_DEP_2)
	v_cndmask_b32_e64 v9, 0, v9, s13
	v_sub_nc_u32_e32 v8, v8, v145
	s_delay_alu instid0(VALU_DEP_2) | instskip(NEXT) | instid1(VALU_DEP_2)
	v_add3_u32 v14, v135, v67, v9
	v_lshl_add_u32 v15, v8, 5, v144
	s_delay_alu instid0(VALU_DEP_1) | instskip(NEXT) | instid1(VALU_DEP_1)
	v_ashrrev_i32_e32 v8, 31, v15
	v_lshrrev_b32_e32 v8, 27, v8
	s_delay_alu instid0(VALU_DEP_1) | instskip(NEXT) | instid1(VALU_DEP_1)
	v_add_nc_u32_e32 v8, v15, v8
	v_ashrrev_i32_e32 v8, 5, v8
.LBB2_599:                              ;   in Loop: Header=BB2_310 Depth=3
	s_or_b32 exec_lo, exec_lo, s14
	s_delay_alu instid0(SALU_CYCLE_1)
	s_and_b32 s11, s11, exec_lo
.LBB2_600:                              ;   in Loop: Header=BB2_310 Depth=3
	s_or_b32 exec_lo, exec_lo, s34
.LBB2_601:                              ;   in Loop: Header=BB2_310 Depth=3
	s_and_saveexec_b32 s16, s11
	s_cbranch_execz .LBB2_673
; %bb.602:                              ;   in Loop: Header=BB2_310 Depth=3
	v_ashrrev_i32_e32 v9, 31, v2
	s_mov_b32 s34, exec_lo
	s_delay_alu instid0(VALU_DEP_1) | instskip(NEXT) | instid1(VALU_DEP_1)
	v_lshrrev_b32_e32 v9, 24, v9
	v_add_nc_u32_e32 v9, v2, v9
	s_delay_alu instid0(VALU_DEP_1) | instskip(NEXT) | instid1(VALU_DEP_1)
	v_ashrrev_i32_e32 v70, 8, v9
	v_sub_nc_u32_e32 v67, v70, v8
	s_delay_alu instid0(VALU_DEP_1)
	v_cmpx_lt_i32_e32 0, v67
	s_cbranch_execz .LBB2_655
; %bb.603:                              ;   in Loop: Header=BB2_310 Depth=3
	s_cbranch_execnz .LBB2_2466
; %bb.604:                              ;   in Loop: Header=BB2_310 Depth=3
	v_ashrrev_i32_e32 v9, 31, v15
	v_lshlrev_b32_e32 v8, 8, v8
	s_bitcmp1_b32 s31, 0
	s_mov_b32 s35, 0
	s_cselect_b32 s36, -1, 0
	v_lshrrev_b32_e32 v9, 27, v9
	ds_load_b64 v[80:81], v0
	v_add_nc_u32_e32 v9, v15, v9
	s_delay_alu instid0(VALU_DEP_1) | instskip(SKIP_2) | instid1(VALU_DEP_1)
	v_and_b32_e32 v13, 0x7fffffe0, v9
	ds_load_b128 v[9:12], v0
	v_sub_nc_u32_e32 v13, v15, v13
	v_lshlrev_b32_e32 v13, 1, v13
	s_delay_alu instid0(VALU_DEP_1) | instskip(NEXT) | instid1(VALU_DEP_1)
	v_add3_u32 v13, v13, v14, v8
	v_ashrrev_i32_e32 v71, 31, v13
	s_waitcnt lgkmcnt(0)
	v_add_co_u32 v8, vcc_lo, v9, v13
	s_delay_alu instid0(VALU_DEP_2)
	v_add_co_ci_u32_e32 v9, vcc_lo, v10, v71, vcc_lo
	v_add_co_u32 v10, vcc_lo, v11, v13
	v_add_co_ci_u32_e32 v11, vcc_lo, v12, v71, vcc_lo
	v_add_co_u32 v12, vcc_lo, v80, v13
	v_add_co_ci_u32_e32 v13, vcc_lo, v81, v71, vcc_lo
	s_branch .LBB2_608
.LBB2_605:                              ;   in Loop: Header=BB2_608 Depth=4
	s_or_b32 exec_lo, exec_lo, s11
	s_delay_alu instid0(VALU_DEP_1)
	v_mov_b32_e32 v80, v71
.LBB2_606:                              ;   in Loop: Header=BB2_608 Depth=4
	s_or_b32 exec_lo, exec_lo, s15
	s_delay_alu instid0(VALU_DEP_1)
	v_mov_b32_e32 v83, v80
.LBB2_607:                              ;   in Loop: Header=BB2_608 Depth=4
	v_add_co_u32 v8, vcc_lo, v8, v117
	v_sub_nc_u32_e32 v67, v67, v99
	v_add_co_ci_u32_e32 v9, vcc_lo, v9, v118, vcc_lo
	v_add_co_u32 v10, vcc_lo, v10, v117
	v_add_co_ci_u32_e32 v11, vcc_lo, v11, v118, vcc_lo
	s_clause 0x3
	flat_store_b16 v[12:13], v81 glc slc dlc
	flat_store_b16 v[12:13], v85 offset:64 glc slc dlc
	flat_store_b16 v[12:13], v134 offset:128 glc slc dlc
	flat_store_b16 v[12:13], v83 offset:192 glc slc dlc
	v_cmp_gt_i32_e32 vcc_lo, 1, v67
	v_add_co_u32 v12, s13, v12, v117
	s_delay_alu instid0(VALU_DEP_1) | instskip(SKIP_1) | instid1(SALU_CYCLE_1)
	v_add_co_ci_u32_e64 v13, s13, v13, v118, s13
	s_or_b32 s35, vcc_lo, s35
	s_and_not1_b32 exec_lo, exec_lo, s35
	s_cbranch_execz .LBB2_654
.LBB2_608:                              ;   Parent Loop BB2_51 Depth=1
                                        ;     Parent Loop BB2_308 Depth=2
                                        ;       Parent Loop BB2_310 Depth=3
                                        ; =>      This Inner Loop Header: Depth=4
	flat_load_u16 v85, v[8:9] slc dlc
	flat_load_u16 v144, v[10:11] slc dlc
	s_clause 0x2
	flat_load_u16 v134, v[8:9] offset:64 slc dlc
	flat_load_u16 v82, v[8:9] offset:128 slc dlc
	;; [unrolled: 1-line block ×3, first 2 shown]
	s_clause 0x2
	flat_load_u16 v135, v[10:11] offset:64 slc dlc
	flat_load_u16 v83, v[10:11] offset:128 slc dlc
	flat_load_u16 v80, v[10:11] offset:192 slc dlc
	s_mov_b32 s15, -1
	s_and_b32 vcc_lo, exec_lo, s36
	s_waitcnt vmcnt(7) lgkmcnt(7)
	v_and_b32_e32 v81, 0x7fff, v85
	s_waitcnt vmcnt(6) lgkmcnt(6)
	v_and_b32_e32 v145, 0x7fff, v144
	s_delay_alu instid0(VALU_DEP_2) | instskip(NEXT) | instid1(VALU_DEP_2)
	v_cmp_lt_u16_e64 s13, 0x7c00, v81
	v_cmp_gt_u16_e64 s14, 0x7c01, v145
                                        ; implicit-def: $vgpr81
	s_delay_alu instid0(VALU_DEP_1) | instskip(NEXT) | instid1(SALU_CYCLE_1)
	s_and_b32 s11, s13, s14
	s_xor_b32 s11, s11, -1
	s_cbranch_vccz .LBB2_614
; %bb.609:                              ;   in Loop: Header=BB2_608 Depth=4
	v_mov_b32_e32 v81, v144
	s_and_saveexec_b32 s24, s11
	s_cbranch_execz .LBB2_613
; %bb.610:                              ;   in Loop: Header=BB2_608 Depth=4
	v_mov_b32_e32 v81, v85
	s_or_b32 s15, s13, s14
	s_delay_alu instid0(SALU_CYCLE_1)
	s_and_saveexec_b32 s37, s15
; %bb.611:                              ;   in Loop: Header=BB2_608 Depth=4
	v_cmp_gt_f16_e64 s15, v85, v144
	v_cmp_lt_u16_e64 vcc_lo, 0x7c00, v145
	s_delay_alu instid0(VALU_DEP_2) | instskip(NEXT) | instid1(VALU_DEP_2)
	v_cndmask_b32_e64 v81, v144, v85, s15
	s_and_b32 s15, s13, vcc_lo
	s_delay_alu instid0(VALU_DEP_1) | instid1(SALU_CYCLE_1)
	v_cndmask_b32_e64 v81, v81, 0x7fff, s15
; %bb.612:                              ;   in Loop: Header=BB2_608 Depth=4
	s_or_b32 exec_lo, exec_lo, s37
.LBB2_613:                              ;   in Loop: Header=BB2_608 Depth=4
	s_delay_alu instid0(SALU_CYCLE_1)
	s_or_b32 exec_lo, exec_lo, s24
	s_mov_b32 s15, 0
.LBB2_614:                              ;   in Loop: Header=BB2_608 Depth=4
	s_delay_alu instid0(SALU_CYCLE_1)
	s_and_not1_b32 vcc_lo, exec_lo, s15
	s_cbranch_vccnz .LBB2_620
; %bb.615:                              ;   in Loop: Header=BB2_608 Depth=4
	s_and_saveexec_b32 s15, s11
	s_cbranch_execz .LBB2_619
; %bb.616:                              ;   in Loop: Header=BB2_608 Depth=4
	s_or_b32 s14, s13, s14
	s_delay_alu instid0(SALU_CYCLE_1)
	s_and_saveexec_b32 s11, s14
; %bb.617:                              ;   in Loop: Header=BB2_608 Depth=4
	v_cmp_gt_f16_e64 s14, v85, v144
	v_cmp_lt_u16_e64 vcc_lo, 0x7c00, v145
	s_delay_alu instid0(VALU_DEP_2) | instskip(NEXT) | instid1(VALU_DEP_2)
	v_cndmask_b32_e64 v81, v85, v144, s14
	s_and_b32 s13, s13, vcc_lo
	s_delay_alu instid0(VALU_DEP_1) | instid1(SALU_CYCLE_1)
	v_cndmask_b32_e64 v85, v81, 0x7fff, s13
; %bb.618:                              ;   in Loop: Header=BB2_608 Depth=4
	s_or_b32 exec_lo, exec_lo, s11
	s_delay_alu instid0(VALU_DEP_1)
	v_mov_b32_e32 v144, v85
.LBB2_619:                              ;   in Loop: Header=BB2_608 Depth=4
	s_or_b32 exec_lo, exec_lo, s15
	s_delay_alu instid0(VALU_DEP_1)
	v_mov_b32_e32 v81, v144
.LBB2_620:                              ;   in Loop: Header=BB2_608 Depth=4
	s_waitcnt vmcnt(5) lgkmcnt(5)
	v_and_b32_e32 v85, 0x7fff, v134
	s_waitcnt vmcnt(2) lgkmcnt(2)
	v_and_b32_e32 v144, 0x7fff, v135
	s_mov_b32 s15, -1
	s_and_not1_b32 vcc_lo, exec_lo, s36
	v_cmp_lt_u16_e64 s13, 0x7c00, v85
	s_delay_alu instid0(VALU_DEP_2) | instskip(NEXT) | instid1(VALU_DEP_1)
	v_cmp_gt_u16_e64 s14, 0x7c01, v144
                                        ; implicit-def: $vgpr85
	s_and_b32 s11, s13, s14
	s_delay_alu instid0(SALU_CYCLE_1)
	s_xor_b32 s11, s11, -1
	s_cbranch_vccnz .LBB2_626
; %bb.621:                              ;   in Loop: Header=BB2_608 Depth=4
	v_mov_b32_e32 v85, v135
	s_and_saveexec_b32 s24, s11
	s_cbranch_execz .LBB2_625
; %bb.622:                              ;   in Loop: Header=BB2_608 Depth=4
	v_mov_b32_e32 v85, v134
	s_or_b32 s15, s13, s14
	s_delay_alu instid0(SALU_CYCLE_1)
	s_and_saveexec_b32 s37, s15
; %bb.623:                              ;   in Loop: Header=BB2_608 Depth=4
	v_cmp_gt_f16_e64 s15, v134, v135
	v_cmp_lt_u16_e64 vcc_lo, 0x7c00, v144
	s_delay_alu instid0(VALU_DEP_2) | instskip(NEXT) | instid1(VALU_DEP_2)
	v_cndmask_b32_e64 v85, v135, v134, s15
	s_and_b32 s15, s13, vcc_lo
	s_delay_alu instid0(VALU_DEP_1) | instid1(SALU_CYCLE_1)
	v_cndmask_b32_e64 v85, v85, 0x7fff, s15
; %bb.624:                              ;   in Loop: Header=BB2_608 Depth=4
	s_or_b32 exec_lo, exec_lo, s37
.LBB2_625:                              ;   in Loop: Header=BB2_608 Depth=4
	s_delay_alu instid0(SALU_CYCLE_1)
	s_or_b32 exec_lo, exec_lo, s24
	s_mov_b32 s15, 0
.LBB2_626:                              ;   in Loop: Header=BB2_608 Depth=4
	s_delay_alu instid0(SALU_CYCLE_1)
	s_and_not1_b32 vcc_lo, exec_lo, s15
	s_cbranch_vccnz .LBB2_632
; %bb.627:                              ;   in Loop: Header=BB2_608 Depth=4
	s_and_saveexec_b32 s15, s11
	s_cbranch_execz .LBB2_631
; %bb.628:                              ;   in Loop: Header=BB2_608 Depth=4
	s_or_b32 s14, s13, s14
	s_delay_alu instid0(SALU_CYCLE_1)
	s_and_saveexec_b32 s11, s14
; %bb.629:                              ;   in Loop: Header=BB2_608 Depth=4
	v_cmp_gt_f16_e64 s14, v134, v135
	v_cmp_lt_u16_e64 vcc_lo, 0x7c00, v144
	s_delay_alu instid0(VALU_DEP_2) | instskip(NEXT) | instid1(VALU_DEP_2)
	v_cndmask_b32_e64 v85, v134, v135, s14
	s_and_b32 s13, s13, vcc_lo
	s_delay_alu instid0(VALU_DEP_1) | instid1(SALU_CYCLE_1)
	v_cndmask_b32_e64 v134, v85, 0x7fff, s13
; %bb.630:                              ;   in Loop: Header=BB2_608 Depth=4
	s_or_b32 exec_lo, exec_lo, s11
	s_delay_alu instid0(VALU_DEP_1)
	v_mov_b32_e32 v135, v134
.LBB2_631:                              ;   in Loop: Header=BB2_608 Depth=4
	s_or_b32 exec_lo, exec_lo, s15
	s_delay_alu instid0(VALU_DEP_1)
	v_mov_b32_e32 v85, v135
.LBB2_632:                              ;   in Loop: Header=BB2_608 Depth=4
	v_and_b32_e32 v134, 0x7fff, v82
	s_waitcnt vmcnt(1) lgkmcnt(1)
	v_and_b32_e32 v135, 0x7fff, v83
	s_mov_b32 s15, -1
	s_and_not1_b32 vcc_lo, exec_lo, s36
	v_cmp_lt_u16_e64 s13, 0x7c00, v134
	s_delay_alu instid0(VALU_DEP_2) | instskip(NEXT) | instid1(VALU_DEP_1)
	v_cmp_gt_u16_e64 s14, 0x7c01, v135
                                        ; implicit-def: $vgpr134
	s_and_b32 s11, s13, s14
	s_delay_alu instid0(SALU_CYCLE_1)
	s_xor_b32 s11, s11, -1
	s_cbranch_vccnz .LBB2_638
; %bb.633:                              ;   in Loop: Header=BB2_608 Depth=4
	v_mov_b32_e32 v134, v83
	s_and_saveexec_b32 s24, s11
	s_cbranch_execz .LBB2_637
; %bb.634:                              ;   in Loop: Header=BB2_608 Depth=4
	v_mov_b32_e32 v134, v82
	s_or_b32 s15, s13, s14
	s_delay_alu instid0(SALU_CYCLE_1)
	s_and_saveexec_b32 s37, s15
; %bb.635:                              ;   in Loop: Header=BB2_608 Depth=4
	v_cmp_gt_f16_e64 s15, v82, v83
	v_cmp_lt_u16_e64 vcc_lo, 0x7c00, v135
	s_delay_alu instid0(VALU_DEP_2) | instskip(NEXT) | instid1(VALU_DEP_2)
	v_cndmask_b32_e64 v134, v83, v82, s15
	s_and_b32 s15, s13, vcc_lo
	s_delay_alu instid0(VALU_DEP_1) | instid1(SALU_CYCLE_1)
	v_cndmask_b32_e64 v134, v134, 0x7fff, s15
; %bb.636:                              ;   in Loop: Header=BB2_608 Depth=4
	s_or_b32 exec_lo, exec_lo, s37
.LBB2_637:                              ;   in Loop: Header=BB2_608 Depth=4
	s_delay_alu instid0(SALU_CYCLE_1)
	s_or_b32 exec_lo, exec_lo, s24
	s_mov_b32 s15, 0
.LBB2_638:                              ;   in Loop: Header=BB2_608 Depth=4
	s_delay_alu instid0(SALU_CYCLE_1)
	s_and_not1_b32 vcc_lo, exec_lo, s15
	s_cbranch_vccnz .LBB2_644
; %bb.639:                              ;   in Loop: Header=BB2_608 Depth=4
	s_and_saveexec_b32 s15, s11
	s_cbranch_execz .LBB2_643
; %bb.640:                              ;   in Loop: Header=BB2_608 Depth=4
	s_or_b32 s14, s13, s14
	s_delay_alu instid0(SALU_CYCLE_1)
	s_and_saveexec_b32 s11, s14
; %bb.641:                              ;   in Loop: Header=BB2_608 Depth=4
	v_cmp_gt_f16_e64 s14, v82, v83
	v_cmp_lt_u16_e64 vcc_lo, 0x7c00, v135
	s_delay_alu instid0(VALU_DEP_2) | instskip(NEXT) | instid1(VALU_DEP_2)
	v_cndmask_b32_e64 v82, v82, v83, s14
	s_and_b32 s13, s13, vcc_lo
	s_delay_alu instid0(VALU_DEP_1) | instid1(SALU_CYCLE_1)
	v_cndmask_b32_e64 v82, v82, 0x7fff, s13
; %bb.642:                              ;   in Loop: Header=BB2_608 Depth=4
	s_or_b32 exec_lo, exec_lo, s11
	s_delay_alu instid0(VALU_DEP_1)
	v_mov_b32_e32 v83, v82
.LBB2_643:                              ;   in Loop: Header=BB2_608 Depth=4
	s_or_b32 exec_lo, exec_lo, s15
	s_delay_alu instid0(VALU_DEP_1)
	v_mov_b32_e32 v134, v83
.LBB2_644:                              ;   in Loop: Header=BB2_608 Depth=4
	v_and_b32_e32 v83, 0x7fff, v71
	s_waitcnt vmcnt(0) lgkmcnt(0)
	v_and_b32_e32 v82, 0x7fff, v80
	s_mov_b32 s15, -1
	s_and_not1_b32 vcc_lo, exec_lo, s36
	v_cmp_lt_u16_e64 s13, 0x7c00, v83
	s_delay_alu instid0(VALU_DEP_2) | instskip(NEXT) | instid1(VALU_DEP_1)
	v_cmp_gt_u16_e64 s14, 0x7c01, v82
                                        ; implicit-def: $vgpr83
	s_and_b32 s11, s13, s14
	s_delay_alu instid0(SALU_CYCLE_1)
	s_xor_b32 s11, s11, -1
	s_cbranch_vccnz .LBB2_650
; %bb.645:                              ;   in Loop: Header=BB2_608 Depth=4
	v_mov_b32_e32 v83, v80
	s_and_saveexec_b32 s24, s11
	s_cbranch_execz .LBB2_649
; %bb.646:                              ;   in Loop: Header=BB2_608 Depth=4
	v_mov_b32_e32 v83, v71
	s_or_b32 s15, s13, s14
	s_delay_alu instid0(SALU_CYCLE_1)
	s_and_saveexec_b32 s37, s15
; %bb.647:                              ;   in Loop: Header=BB2_608 Depth=4
	v_cmp_gt_f16_e64 s15, v71, v80
	v_cmp_lt_u16_e32 vcc_lo, 0x7c00, v82
	s_delay_alu instid0(VALU_DEP_2)
	v_cndmask_b32_e64 v83, v80, v71, s15
	s_and_b32 s15, s13, vcc_lo
	s_delay_alu instid0(VALU_DEP_1) | instid1(SALU_CYCLE_1)
	v_cndmask_b32_e64 v83, v83, 0x7fff, s15
; %bb.648:                              ;   in Loop: Header=BB2_608 Depth=4
	s_or_b32 exec_lo, exec_lo, s37
.LBB2_649:                              ;   in Loop: Header=BB2_608 Depth=4
	s_delay_alu instid0(SALU_CYCLE_1)
	s_or_b32 exec_lo, exec_lo, s24
	s_mov_b32 s15, 0
.LBB2_650:                              ;   in Loop: Header=BB2_608 Depth=4
	s_delay_alu instid0(SALU_CYCLE_1)
	s_and_not1_b32 vcc_lo, exec_lo, s15
	s_cbranch_vccnz .LBB2_607
; %bb.651:                              ;   in Loop: Header=BB2_608 Depth=4
	s_and_saveexec_b32 s15, s11
	s_cbranch_execz .LBB2_606
; %bb.652:                              ;   in Loop: Header=BB2_608 Depth=4
	s_or_b32 s14, s13, s14
	s_delay_alu instid0(SALU_CYCLE_1)
	s_and_saveexec_b32 s11, s14
	s_cbranch_execz .LBB2_605
; %bb.653:                              ;   in Loop: Header=BB2_608 Depth=4
	v_cmp_gt_f16_e64 s14, v71, v80
	v_cmp_lt_u16_e32 vcc_lo, 0x7c00, v82
	s_delay_alu instid0(VALU_DEP_2)
	v_cndmask_b32_e64 v71, v71, v80, s14
	s_and_b32 s13, s13, vcc_lo
	s_delay_alu instid0(VALU_DEP_1) | instid1(SALU_CYCLE_1)
	v_cndmask_b32_e64 v71, v71, 0x7fff, s13
	s_branch .LBB2_605
.LBB2_654:                              ;   in Loop: Header=BB2_310 Depth=3
	s_or_b32 exec_lo, exec_lo, s35
.LBB2_655:                              ;   in Loop: Header=BB2_310 Depth=3
	s_delay_alu instid0(SALU_CYCLE_1) | instskip(SKIP_2) | instid1(VALU_DEP_1)
	s_or_b32 exec_lo, exec_lo, s34
	v_lshlrev_b32_e32 v8, 8, v70
	s_mov_b32 s34, exec_lo
	v_cmpx_ne_u32_e64 v2, v8
	s_cbranch_execz .LBB2_672
; %bb.656:                              ;   in Loop: Header=BB2_310 Depth=3
	v_ashrrev_i32_e32 v9, 31, v15
	v_lshlrev_b32_e32 v10, 5, v67
	s_delay_alu instid0(VALU_DEP_2) | instskip(NEXT) | instid1(VALU_DEP_1)
	v_lshrrev_b32_e32 v9, 27, v9
	v_add_nc_u32_e32 v9, v15, v9
	s_delay_alu instid0(VALU_DEP_1) | instskip(NEXT) | instid1(VALU_DEP_1)
	v_and_b32_e32 v9, 0xffffffe0, v9
	v_sub_nc_u32_e32 v9, v15, v9
	s_delay_alu instid0(VALU_DEP_1) | instskip(NEXT) | instid1(VALU_DEP_1)
	v_sub_nc_u32_e32 v9, v9, v10
	v_ashrrev_i32_e32 v10, 31, v9
	s_delay_alu instid0(VALU_DEP_1) | instskip(NEXT) | instid1(VALU_DEP_1)
	v_lshrrev_b32_e32 v10, 27, v10
	v_add_nc_u32_e32 v10, v9, v10
	s_delay_alu instid0(VALU_DEP_1) | instskip(SKIP_1) | instid1(VALU_DEP_2)
	v_and_b32_e32 v11, 0x7fffffe0, v10
	v_lshlrev_b32_e32 v10, 1, v10
	v_sub_nc_u32_e32 v9, v9, v11
	s_delay_alu instid0(VALU_DEP_2) | instskip(NEXT) | instid1(VALU_DEP_2)
	v_and_b32_e32 v10, 0xffffffc0, v10
	v_lshlrev_b32_e32 v9, 1, v9
	s_delay_alu instid0(VALU_DEP_1) | instskip(NEXT) | instid1(VALU_DEP_1)
	v_add3_u32 v8, v10, v9, v8
	v_sub_nc_u32_e32 v2, v2, v8
	s_delay_alu instid0(VALU_DEP_1)
	v_cmp_lt_i32_e32 vcc_lo, 1, v2
	s_and_b32 exec_lo, exec_lo, vcc_lo
	s_cbranch_execz .LBB2_672
; %bb.657:                              ;   in Loop: Header=BB2_310 Depth=3
	s_cbranch_execnz .LBB2_2520
; %bb.658:                              ;   in Loop: Header=BB2_310 Depth=3
	ds_load_b128 v[9:12], v0
	ds_load_b64 v[70:71], v0
	v_add_nc_u32_e32 v13, v8, v14
	s_bitcmp1_b32 s31, 0
	s_mov_b32 s11, 0
	s_cselect_b32 s24, -1, 0
	s_delay_alu instid0(VALU_DEP_1) | instskip(SKIP_2) | instid1(VALU_DEP_2)
	v_ashrrev_i32_e32 v14, 31, v13
	s_waitcnt lgkmcnt(1)
	v_add_co_u32 v8, vcc_lo, v9, v13
	v_add_co_ci_u32_e32 v9, vcc_lo, v10, v14, vcc_lo
	v_add_co_u32 v10, vcc_lo, v11, v13
	v_add_co_ci_u32_e32 v11, vcc_lo, v12, v14, vcc_lo
	s_waitcnt lgkmcnt(0)
	v_add_co_u32 v12, vcc_lo, v70, v13
	v_add_co_ci_u32_e32 v13, vcc_lo, v71, v14, vcc_lo
	s_branch .LBB2_662
.LBB2_659:                              ;   in Loop: Header=BB2_662 Depth=4
	s_or_b32 exec_lo, exec_lo, s31
	s_delay_alu instid0(VALU_DEP_1)
	v_mov_b32_e32 v15, v14
.LBB2_660:                              ;   in Loop: Header=BB2_662 Depth=4
	s_or_b32 exec_lo, exec_lo, s15
	s_delay_alu instid0(VALU_DEP_1)
	v_mov_b32_e32 v70, v15
.LBB2_661:                              ;   in Loop: Header=BB2_662 Depth=4
	v_add_co_u32 v8, vcc_lo, v8, v128
	v_sub_nc_u32_e32 v2, v2, v113
	v_add_co_ci_u32_e32 v9, vcc_lo, v9, v129, vcc_lo
	v_add_co_u32 v10, vcc_lo, v10, v128
	v_add_co_ci_u32_e32 v11, vcc_lo, v11, v129, vcc_lo
	flat_store_b16 v[12:13], v70 glc slc dlc
	v_cmp_gt_i32_e32 vcc_lo, 2, v2
	v_add_co_u32 v12, s13, v12, v128
	s_delay_alu instid0(VALU_DEP_1) | instskip(SKIP_1) | instid1(SALU_CYCLE_1)
	v_add_co_ci_u32_e64 v13, s13, v13, v129, s13
	s_or_b32 s11, vcc_lo, s11
	s_and_not1_b32 exec_lo, exec_lo, s11
	s_cbranch_execz .LBB2_672
.LBB2_662:                              ;   Parent Loop BB2_51 Depth=1
                                        ;     Parent Loop BB2_308 Depth=2
                                        ;       Parent Loop BB2_310 Depth=3
                                        ; =>      This Inner Loop Header: Depth=4
	flat_load_u16 v14, v[8:9] slc dlc
	flat_load_u16 v15, v[10:11] slc dlc
	s_mov_b32 s15, -1
	s_and_b32 vcc_lo, exec_lo, s24
	s_waitcnt vmcnt(1) lgkmcnt(1)
	v_and_b32_e32 v70, 0x7fff, v14
	s_waitcnt vmcnt(0) lgkmcnt(0)
	v_and_b32_e32 v67, 0x7fff, v15
	s_delay_alu instid0(VALU_DEP_2) | instskip(NEXT) | instid1(VALU_DEP_2)
	v_cmp_lt_u16_e64 s13, 0x7c00, v70
	v_cmp_gt_u16_e64 s14, 0x7c01, v67
                                        ; implicit-def: $vgpr70
	s_delay_alu instid0(VALU_DEP_1) | instskip(NEXT) | instid1(SALU_CYCLE_1)
	s_and_b32 s31, s13, s14
	s_xor_b32 s31, s31, -1
	s_cbranch_vccz .LBB2_668
; %bb.663:                              ;   in Loop: Header=BB2_662 Depth=4
	v_mov_b32_e32 v70, v15
	s_and_saveexec_b32 s35, s31
	s_cbranch_execz .LBB2_667
; %bb.664:                              ;   in Loop: Header=BB2_662 Depth=4
	v_mov_b32_e32 v70, v14
	s_or_b32 s15, s13, s14
	s_delay_alu instid0(SALU_CYCLE_1)
	s_and_saveexec_b32 s36, s15
; %bb.665:                              ;   in Loop: Header=BB2_662 Depth=4
	v_cmp_gt_f16_e64 s15, v14, v15
	v_cmp_lt_u16_e32 vcc_lo, 0x7c00, v67
	s_delay_alu instid0(VALU_DEP_2)
	v_cndmask_b32_e64 v70, v15, v14, s15
	s_and_b32 s15, s13, vcc_lo
	s_delay_alu instid0(VALU_DEP_1) | instid1(SALU_CYCLE_1)
	v_cndmask_b32_e64 v70, v70, 0x7fff, s15
; %bb.666:                              ;   in Loop: Header=BB2_662 Depth=4
	s_or_b32 exec_lo, exec_lo, s36
.LBB2_667:                              ;   in Loop: Header=BB2_662 Depth=4
	s_delay_alu instid0(SALU_CYCLE_1)
	s_or_b32 exec_lo, exec_lo, s35
	s_mov_b32 s15, 0
.LBB2_668:                              ;   in Loop: Header=BB2_662 Depth=4
	s_delay_alu instid0(SALU_CYCLE_1)
	s_and_not1_b32 vcc_lo, exec_lo, s15
	s_cbranch_vccnz .LBB2_661
; %bb.669:                              ;   in Loop: Header=BB2_662 Depth=4
	s_and_saveexec_b32 s15, s31
	s_cbranch_execz .LBB2_660
; %bb.670:                              ;   in Loop: Header=BB2_662 Depth=4
	s_or_b32 s14, s13, s14
	s_delay_alu instid0(SALU_CYCLE_1)
	s_and_saveexec_b32 s31, s14
	s_cbranch_execz .LBB2_659
; %bb.671:                              ;   in Loop: Header=BB2_662 Depth=4
	v_cmp_gt_f16_e64 s14, v14, v15
	v_cmp_lt_u16_e32 vcc_lo, 0x7c00, v67
	s_delay_alu instid0(VALU_DEP_2)
	v_cndmask_b32_e64 v14, v14, v15, s14
	s_and_b32 s13, s13, vcc_lo
	s_delay_alu instid0(VALU_DEP_1) | instid1(SALU_CYCLE_1)
	v_cndmask_b32_e64 v14, v14, 0x7fff, s13
	s_branch .LBB2_659
.LBB2_672:                              ;   in Loop: Header=BB2_310 Depth=3
	s_or_b32 exec_lo, exec_lo, s34
.LBB2_673:                              ;   in Loop: Header=BB2_310 Depth=3
	s_delay_alu instid0(SALU_CYCLE_1)
	s_or_b32 exec_lo, exec_lo, s16
.LBB2_674:                              ;   in Loop: Header=BB2_310 Depth=3
	s_and_saveexec_b32 s13, s3
	s_cbranch_execz .LBB2_696
; %bb.675:                              ;   in Loop: Header=BB2_310 Depth=3
	s_and_saveexec_b32 s11, s4
	s_delay_alu instid0(SALU_CYCLE_1)
	s_xor_b32 s11, exec_lo, s11
	s_cbranch_execz .LBB2_693
; %bb.676:                              ;   in Loop: Header=BB2_310 Depth=3
	s_and_saveexec_b32 s14, s1
	s_cbranch_execz .LBB2_692
; %bb.677:                              ;   in Loop: Header=BB2_310 Depth=3
	s_mov_b32 s16, exec_lo
	s_mov_b32 s15, exec_lo
	v_mbcnt_lo_u32_b32 v2, s16, 0
	s_waitcnt lgkmcnt(0)
	s_waitcnt_vscnt null, 0x0
	buffer_gl1_inv
	buffer_gl0_inv
	v_cmpx_eq_u32_e32 0, v2
	s_cbranch_execz .LBB2_679
; %bb.678:                              ;   in Loop: Header=BB2_310 Depth=3
	s_bcnt1_i32_b32 s16, s16
	s_delay_alu instid0(SALU_CYCLE_1)
	v_mov_b32_e32 v2, s16
	ds_add_u64 v0, v[2:3]
	s_cbranch_execnz .LBB2_2482
.LBB2_679:                              ;   in Loop: Header=BB2_310 Depth=3
	s_or_b32 exec_lo, exec_lo, s15
	s_cbranch_execnz .LBB2_2452
; %bb.680:                              ;   in Loop: Header=BB2_310 Depth=3
	ds_load_b64 v[8:9], v0
	v_add_co_u32 v32, vcc_lo, v32, v99
	v_add_co_ci_u32_e32 v33, vcc_lo, 0, v33, vcc_lo
	s_mov_b32 s15, exec_lo
	s_waitcnt lgkmcnt(0)
	s_delay_alu instid0(VALU_DEP_1)
	v_cmpx_lt_u64_e64 v[8:9], v[32:33]
	s_cbranch_execz .LBB2_691
; %bb.681:                              ;   in Loop: Header=BB2_310 Depth=3
	s_mov_b32 s16, 0
	s_mov_b32 s34, 0
                                        ; implicit-def: $sgpr24
                                        ; implicit-def: $sgpr31
	s_branch .LBB2_683
.LBB2_682:                              ;   in Loop: Header=BB2_683 Depth=4
	s_or_b32 exec_lo, exec_lo, s36
	s_delay_alu instid0(SALU_CYCLE_1) | instskip(NEXT) | instid1(SALU_CYCLE_1)
	s_and_b32 vcc_lo, exec_lo, vcc_lo
	s_or_b32 s16, vcc_lo, s16
	s_and_not1_b32 s24, s24, exec_lo
	s_and_b32 vcc_lo, s31, exec_lo
	s_delay_alu instid0(SALU_CYCLE_1)
	s_or_b32 s24, s24, vcc_lo
	s_and_not1_b32 exec_lo, exec_lo, s16
	s_cbranch_execz .LBB2_689
.LBB2_683:                              ;   Parent Loop BB2_51 Depth=1
                                        ;     Parent Loop BB2_308 Depth=2
                                        ;       Parent Loop BB2_310 Depth=3
                                        ; =>      This Inner Loop Header: Depth=4
	s_add_i32 s34, s34, 1
                                        ; implicit-def: $sgpr36
	s_delay_alu instid0(SALU_CYCLE_1) | instskip(SKIP_1) | instid1(SALU_CYCLE_1)
	s_cmpk_lg_i32 s34, 0x2710
	s_cselect_b32 s35, -1, 0
	s_and_b32 vcc_lo, exec_lo, s35
	s_cbranch_vccz .LBB2_687
.LBB2_684:                              ;   in Loop: Header=BB2_683 Depth=4
	s_and_not1_b32 s31, s31, exec_lo
	s_and_b32 s36, s36, exec_lo
	s_mov_b32 vcc_lo, -1
	s_or_b32 s31, s31, s36
	s_and_saveexec_b32 s36, s35
	s_cbranch_execz .LBB2_682
; %bb.685:                              ;   in Loop: Header=BB2_683 Depth=4
	s_sleep 1
	s_cbranch_execnz .LBB2_2534
; %bb.686:                              ;   in Loop: Header=BB2_683 Depth=4
	ds_load_b64 v[8:9], v0
	s_and_not1_b32 s31, s31, exec_lo
	s_waitcnt lgkmcnt(0)
	v_cmp_ge_u64_e32 vcc_lo, v[8:9], v[32:33]
	s_or_not1_b32 vcc_lo, vcc_lo, exec_lo
	s_branch .LBB2_682
.LBB2_687:                              ;   in Loop: Header=BB2_683 Depth=4
	s_cbranch_execnz .LBB2_2550
; %bb.688:                              ;   in Loop: Header=BB2_683 Depth=4
	ds_load_b64 v[8:9], v0
	s_and_not1_b32 s35, s35, exec_lo
	s_mov_b32 s34, 0
	s_mov_b32 s36, -1
	s_waitcnt lgkmcnt(0)
	flat_load_b32 v2, v[8:9] glc
	s_waitcnt vmcnt(0) lgkmcnt(0)
	buffer_gl1_inv
	buffer_gl0_inv
	v_cmp_eq_u32_e32 vcc_lo, 0, v2
	s_and_b32 vcc_lo, vcc_lo, exec_lo
	s_delay_alu instid0(SALU_CYCLE_1)
	s_or_b32 s35, s35, vcc_lo
	s_branch .LBB2_684
.LBB2_689:                              ;   in Loop: Header=BB2_310 Depth=3
	s_or_b32 exec_lo, exec_lo, s16
	s_and_saveexec_b32 s16, s24
	s_delay_alu instid0(SALU_CYCLE_1)
	s_xor_b32 s16, exec_lo, s16
	s_cbranch_execz .LBB2_691
; %bb.690:                              ;   in Loop: Header=BB2_310 Depth=3
	ds_store_b32 v0, v133
	s_cbranch_execnz .LBB2_2670
.LBB2_691:                              ;   in Loop: Header=BB2_310 Depth=3
	s_or_b32 exec_lo, exec_lo, s15
	;;#ASMSTART
	s_wakeup
	;;#ASMEND
.LBB2_692:                              ;   in Loop: Header=BB2_310 Depth=3
	s_or_b32 exec_lo, exec_lo, s14
.LBB2_693:                              ;   in Loop: Header=BB2_310 Depth=3
	s_and_not1_saveexec_b32 s11, s11
	s_cbranch_execz .LBB2_695
; %bb.694:                              ;   in Loop: Header=BB2_310 Depth=3
	s_waitcnt lgkmcnt(0)
	s_waitcnt_vscnt null, 0x0
	buffer_gl1_inv
	buffer_gl0_inv
	s_barrier
.LBB2_695:                              ;   in Loop: Header=BB2_310 Depth=3
	s_or_b32 exec_lo, exec_lo, s11
.LBB2_696:                              ;   in Loop: Header=BB2_310 Depth=3
	s_delay_alu instid0(SALU_CYCLE_1) | instskip(SKIP_1) | instid1(SALU_CYCLE_1)
	s_or_b32 exec_lo, exec_lo, s13
                                        ; implicit-def: $vgpr2
	s_and_saveexec_b32 s11, s7
	s_xor_b32 s11, exec_lo, s11
	s_cbranch_execz .LBB2_700
; %bb.697:                              ;   in Loop: Header=BB2_310 Depth=3
	v_and_b32_e32 v2, 16, v30
	v_cmp_lt_i32_e32 vcc_lo, 0, v65
	s_delay_alu instid0(VALU_DEP_2) | instskip(SKIP_1) | instid1(VALU_DEP_2)
	v_cmp_ne_u32_e64 s13, 0, v2
	v_and_b32_e32 v2, 16, v30
	s_and_b32 s14, s13, vcc_lo
	s_delay_alu instid0(SALU_CYCLE_1)
	s_and_saveexec_b32 s13, s14
	s_cbranch_execz .LBB2_699
; %bb.698:                              ;   in Loop: Header=BB2_310 Depth=3
	v_mov_b32_e32 v2, 1
	s_waitcnt lgkmcnt(0)
	s_waitcnt_vscnt null, 0x0
	buffer_gl1_inv
	buffer_gl0_inv
.LBB2_699:                              ;   in Loop: Header=BB2_310 Depth=3
	s_or_b32 exec_lo, exec_lo, s13
.LBB2_700:                              ;   in Loop: Header=BB2_310 Depth=3
	s_and_not1_saveexec_b32 s13, s11
	s_cbranch_execz .LBB2_722
; %bb.701:                              ;   in Loop: Header=BB2_310 Depth=3
	s_and_saveexec_b32 s11, s4
	s_delay_alu instid0(SALU_CYCLE_1)
	s_xor_b32 s11, exec_lo, s11
	s_cbranch_execz .LBB2_719
; %bb.702:                              ;   in Loop: Header=BB2_310 Depth=3
	s_and_saveexec_b32 s14, s1
	s_cbranch_execz .LBB2_718
; %bb.703:                              ;   in Loop: Header=BB2_310 Depth=3
	s_mov_b32 s16, exec_lo
	s_mov_b32 s15, exec_lo
	v_mbcnt_lo_u32_b32 v2, s16, 0
	;;#ASMSTART
	s_waitcnt lgkmcnt(0) vmcnt(0)
	;;#ASMEND
	s_delay_alu instid0(VALU_DEP_1)
	v_cmpx_eq_u32_e32 0, v2
	s_cbranch_execz .LBB2_705
; %bb.704:                              ;   in Loop: Header=BB2_310 Depth=3
	s_bcnt1_i32_b32 s16, s16
	s_delay_alu instid0(SALU_CYCLE_1)
	v_mov_b32_e32 v2, s16
	ds_add_u64 v0, v[2:3]
	s_cbranch_execnz .LBB2_2494
.LBB2_705:                              ;   in Loop: Header=BB2_310 Depth=3
	s_or_b32 exec_lo, exec_lo, s15
	s_cbranch_execnz .LBB2_2462
; %bb.706:                              ;   in Loop: Header=BB2_310 Depth=3
	ds_load_b64 v[8:9], v0
	v_add_co_u32 v32, vcc_lo, v32, v99
	v_add_co_ci_u32_e32 v33, vcc_lo, 0, v33, vcc_lo
	s_mov_b32 s15, exec_lo
	s_waitcnt lgkmcnt(0)
	s_delay_alu instid0(VALU_DEP_1)
	v_cmpx_lt_u64_e64 v[8:9], v[32:33]
	s_cbranch_execz .LBB2_717
; %bb.707:                              ;   in Loop: Header=BB2_310 Depth=3
	s_mov_b32 s16, 0
	s_mov_b32 s34, 0
                                        ; implicit-def: $sgpr24
                                        ; implicit-def: $sgpr31
	s_branch .LBB2_709
.LBB2_708:                              ;   in Loop: Header=BB2_709 Depth=4
	s_or_b32 exec_lo, exec_lo, s36
	s_delay_alu instid0(SALU_CYCLE_1) | instskip(NEXT) | instid1(SALU_CYCLE_1)
	s_and_b32 vcc_lo, exec_lo, vcc_lo
	s_or_b32 s16, vcc_lo, s16
	s_and_not1_b32 s24, s24, exec_lo
	s_and_b32 vcc_lo, s31, exec_lo
	s_delay_alu instid0(SALU_CYCLE_1)
	s_or_b32 s24, s24, vcc_lo
	s_and_not1_b32 exec_lo, exec_lo, s16
	s_cbranch_execz .LBB2_715
.LBB2_709:                              ;   Parent Loop BB2_51 Depth=1
                                        ;     Parent Loop BB2_308 Depth=2
                                        ;       Parent Loop BB2_310 Depth=3
                                        ; =>      This Inner Loop Header: Depth=4
	s_add_i32 s34, s34, 1
                                        ; implicit-def: $sgpr36
	s_delay_alu instid0(SALU_CYCLE_1) | instskip(SKIP_1) | instid1(SALU_CYCLE_1)
	s_cmpk_lg_i32 s34, 0x2710
	s_cselect_b32 s35, -1, 0
	s_and_b32 vcc_lo, exec_lo, s35
	s_cbranch_vccz .LBB2_713
.LBB2_710:                              ;   in Loop: Header=BB2_709 Depth=4
	s_and_not1_b32 s31, s31, exec_lo
	s_and_b32 s36, s36, exec_lo
	s_mov_b32 vcc_lo, -1
	s_or_b32 s31, s31, s36
	s_and_saveexec_b32 s36, s35
	s_cbranch_execz .LBB2_708
; %bb.711:                              ;   in Loop: Header=BB2_709 Depth=4
	s_sleep 1
	s_cbranch_execnz .LBB2_2542
; %bb.712:                              ;   in Loop: Header=BB2_709 Depth=4
	ds_load_b64 v[8:9], v0
	s_and_not1_b32 s31, s31, exec_lo
	s_waitcnt lgkmcnt(0)
	v_cmp_ge_u64_e32 vcc_lo, v[8:9], v[32:33]
	s_or_not1_b32 vcc_lo, vcc_lo, exec_lo
	s_branch .LBB2_708
.LBB2_713:                              ;   in Loop: Header=BB2_709 Depth=4
	s_cbranch_execnz .LBB2_2564
; %bb.714:                              ;   in Loop: Header=BB2_709 Depth=4
	ds_load_b64 v[8:9], v0
	s_and_not1_b32 s35, s35, exec_lo
	s_mov_b32 s34, 0
	s_mov_b32 s36, -1
	s_waitcnt lgkmcnt(0)
	s_waitcnt_vscnt null, 0x0
	flat_load_b32 v2, v[8:9] glc
	s_waitcnt vmcnt(0) lgkmcnt(0)
	buffer_gl1_inv
	buffer_gl0_inv
	v_cmp_eq_u32_e32 vcc_lo, 0, v2
	s_and_b32 vcc_lo, vcc_lo, exec_lo
	s_delay_alu instid0(SALU_CYCLE_1)
	s_or_b32 s35, s35, vcc_lo
	s_branch .LBB2_710
.LBB2_715:                              ;   in Loop: Header=BB2_310 Depth=3
	s_or_b32 exec_lo, exec_lo, s16
	s_and_saveexec_b32 s16, s24
	s_delay_alu instid0(SALU_CYCLE_1)
	s_xor_b32 s16, exec_lo, s16
	s_cbranch_execz .LBB2_717
; %bb.716:                              ;   in Loop: Header=BB2_310 Depth=3
	ds_store_b32 v0, v133
	s_cbranch_execnz .LBB2_2678
.LBB2_717:                              ;   in Loop: Header=BB2_310 Depth=3
	s_or_b32 exec_lo, exec_lo, s15
	;;#ASMSTART
	s_wakeup
	;;#ASMEND
.LBB2_718:                              ;   in Loop: Header=BB2_310 Depth=3
	s_or_b32 exec_lo, exec_lo, s14
.LBB2_719:                              ;   in Loop: Header=BB2_310 Depth=3
	s_and_not1_saveexec_b32 s11, s11
	s_cbranch_execz .LBB2_721
; %bb.720:                              ;   in Loop: Header=BB2_310 Depth=3
	;;#ASMSTART
	s_waitcnt lgkmcnt(0) vmcnt(0)
	;;#ASMEND
	s_waitcnt lgkmcnt(0)
	s_waitcnt_vscnt null, 0x0
	s_barrier
.LBB2_721:                              ;   in Loop: Header=BB2_310 Depth=3
	s_or_b32 exec_lo, exec_lo, s11
	v_and_b32_e32 v2, 16, v30
.LBB2_722:                              ;   in Loop: Header=BB2_310 Depth=3
	s_or_b32 exec_lo, exec_lo, s13
	s_delay_alu instid0(VALU_DEP_1) | instskip(SKIP_1) | instid1(SALU_CYCLE_1)
	v_cmp_ne_u32_e32 vcc_lo, 0, v2
	s_xor_b32 s11, s10, -1
	s_and_b32 s13, vcc_lo, s11
	s_delay_alu instid0(SALU_CYCLE_1)
	s_and_saveexec_b32 s11, s13
	s_cbranch_execz .LBB2_724
; %bb.723:                              ;   in Loop: Header=BB2_310 Depth=3
	s_waitcnt lgkmcnt(0)
	s_waitcnt_vscnt null, 0x0
	flat_store_b32 v[28:29], v133
.LBB2_724:                              ;   in Loop: Header=BB2_310 Depth=3
	s_or_b32 exec_lo, exec_lo, s11
	v_and_b32_e32 v2, 48, v30
	s_mov_b32 s11, exec_lo
	s_delay_alu instid0(VALU_DEP_1)
	v_cmpx_ne_u32_e32 0, v2
	s_cbranch_execz .LBB2_726
; %bb.725:                              ;   in Loop: Header=BB2_310 Depth=3
	v_add_co_u32 v24, vcc_lo, v24, 2
	v_add_co_ci_u32_e32 v25, vcc_lo, 0, v25, vcc_lo
	s_waitcnt lgkmcnt(0)
	s_waitcnt_vscnt null, 0x0
	flat_store_b64 v[22:23], v[24:25]
.LBB2_726:                              ;   in Loop: Header=BB2_310 Depth=3
	s_or_b32 exec_lo, exec_lo, s11
	v_add_nc_u32_e32 v66, v64, v66
	v_readlane_b32 s11, v42, 11
	v_readlane_b32 s13, v42, 10
	;; [unrolled: 1-line block ×4, first 2 shown]
	v_cmp_ge_i32_e32 vcc_lo, v66, v84
	s_xor_b32 s11, s11, -1
	v_readlane_b32 s16, v42, 9
	v_readlane_b32 s35, v42, 8
	s_mov_b32 s15, 0
	s_or_b32 s11, s11, vcc_lo
	s_mov_b32 s24, 2
	s_and_b32 s14, exec_lo, s11
	v_readlane_b32 s11, v42, 12
	s_or_b32 s13, s14, s13
	v_readlane_b32 s14, v42, 5
	s_delay_alu instid0(VALU_DEP_2)
	v_mov_b32_e32 v2, s11
	s_mov_b32 s11, s6
	s_and_not1_b32 exec_lo, exec_lo, s13
	s_cbranch_execnz .LBB2_310
; %bb.727:                              ;   in Loop: Header=BB2_308 Depth=2
	s_or_b32 exec_lo, exec_lo, s13
.LBB2_728:                              ;   in Loop: Header=BB2_308 Depth=2
	s_delay_alu instid0(SALU_CYCLE_1) | instskip(NEXT) | instid1(SALU_CYCLE_1)
	s_or_b32 exec_lo, exec_lo, s30
	s_mov_b32 s15, exec_lo
	v_cmpx_gt_i32_e32 2, v2
	s_cbranch_execz .LBB2_814
; %bb.729:                              ;   in Loop: Header=BB2_308 Depth=2
	v_cmp_eq_u32_e64 s13, 0, v2
	s_mov_b32 s30, 0
.LBB2_730:                              ;   Parent Loop BB2_51 Depth=1
                                        ;     Parent Loop BB2_308 Depth=2
                                        ; =>    This Loop Header: Depth=3
                                        ;         Child Loop BB2_736 Depth 4
                                        ;         Child Loop BB2_768 Depth 4
	;; [unrolled: 1-line block ×3, first 2 shown]
	v_and_b32_e32 v2, 12, v30
	s_mov_b32 s36, -1
	s_mov_b32 s6, exec_lo
	s_delay_alu instid0(VALU_DEP_1)
	v_cmpx_ne_u32_e32 0, v2
	s_cbranch_execz .LBB2_744
; %bb.731:                              ;   in Loop: Header=BB2_730 Depth=3
	v_and_b32_e32 v2, 8, v30
	s_mov_b32 s24, s29
	s_delay_alu instid0(VALU_DEP_1) | instskip(SKIP_3) | instid1(VALU_DEP_1)
	v_add_co_u32 v10, vcc_lo, v34, v2
	v_add_co_ci_u32_e32 v11, vcc_lo, 0, v35, vcc_lo
	v_add_co_u32 v8, vcc_lo, v24, 2
	v_add_co_ci_u32_e32 v9, vcc_lo, 0, v25, vcc_lo
	v_cmp_lt_u64_e32 vcc_lo, v[10:11], v[8:9]
	v_mov_b32_e32 v10, 1
	s_and_saveexec_b32 s29, vcc_lo
	s_cbranch_execz .LBB2_743
; %bb.732:                              ;   in Loop: Header=BB2_730 Depth=3
	v_mov_b32_e32 v10, 0
	s_mov_b32 s36, 0
                                        ; implicit-def: $sgpr37
	s_branch .LBB2_736
.LBB2_733:                              ;   in Loop: Header=BB2_736 Depth=4
	s_or_b32 exec_lo, exec_lo, s41
	v_mov_b32_e32 v11, 0
	s_or_not1_b32 s40, s40, exec_lo
.LBB2_734:                              ;   in Loop: Header=BB2_736 Depth=4
	s_or_b32 exec_lo, exec_lo, s39
	s_delay_alu instid0(VALU_DEP_1) | instskip(SKIP_2) | instid1(SALU_CYCLE_1)
	v_mov_b32_e32 v10, v11
	s_and_not1_b32 vcc_lo, s37, exec_lo
	s_and_b32 s37, s40, exec_lo
	s_or_b32 s37, vcc_lo, s37
.LBB2_735:                              ;   in Loop: Header=BB2_736 Depth=4
	s_or_b32 exec_lo, exec_lo, s38
	s_waitcnt vmcnt(0) lgkmcnt(0)
	v_add_co_u32 v11, vcc_lo, v34, v2
	v_add_co_ci_u32_e32 v12, vcc_lo, 0, v35, vcc_lo
	s_xor_b32 s38, s37, -1
	s_delay_alu instid0(VALU_DEP_1) | instskip(SKIP_1) | instid1(SALU_CYCLE_1)
	v_cmp_ge_u64_e32 vcc_lo, v[11:12], v[8:9]
	s_or_b32 vcc_lo, s38, vcc_lo
	s_and_b32 vcc_lo, exec_lo, vcc_lo
	s_delay_alu instid0(SALU_CYCLE_1) | instskip(NEXT) | instid1(SALU_CYCLE_1)
	s_or_b32 s36, vcc_lo, s36
	s_and_not1_b32 exec_lo, exec_lo, s36
	s_cbranch_execz .LBB2_742
.LBB2_736:                              ;   Parent Loop BB2_51 Depth=1
                                        ;     Parent Loop BB2_308 Depth=2
                                        ;       Parent Loop BB2_730 Depth=3
                                        ; =>      This Inner Loop Header: Depth=4
	s_sleep 1
	flat_load_b64 v[34:35], v[22:23] glc
	v_and_b32_e32 v11, 64, v30
	s_and_not1_b32 s37, s37, exec_lo
	s_mov_b32 s38, exec_lo
	s_delay_alu instid0(VALU_DEP_1)
	v_cmpx_eq_u32_e32 0, v11
	s_cbranch_execz .LBB2_735
; %bb.737:                              ;   in Loop: Header=BB2_736 Depth=4
	v_add_nc_u32_e32 v11, 1, v10
	s_mov_b32 s40, -1
	s_mov_b32 s39, exec_lo
	v_cmpx_lt_i32_e32 0x270e, v10
	s_cbranch_execz .LBB2_734
; %bb.738:                              ;   in Loop: Header=BB2_736 Depth=4
	s_cbranch_execnz .LBB2_2268
; %bb.739:                              ;   in Loop: Header=BB2_736 Depth=4
	ds_load_b64 v[10:11], v0
	s_mov_b32 s41, exec_lo
	s_waitcnt vmcnt(0) lgkmcnt(0)
	s_waitcnt_vscnt null, 0x0
	flat_load_b32 v10, v[10:11] glc
	s_waitcnt vmcnt(0) lgkmcnt(0)
	buffer_gl1_inv
	buffer_gl0_inv
	v_cmpx_ne_u32_e32 0, v10
	s_cbranch_execz .LBB2_733
; %bb.740:                              ;   in Loop: Header=BB2_736 Depth=4
	ds_store_b32 v0, v10
	s_cbranch_execnz .LBB2_2316
; %bb.741:                              ;   in Loop: Header=BB2_736 Depth=4
	v_or_b32_e32 v30, 64, v30
	s_xor_b32 s40, exec_lo, -1
	s_branch .LBB2_733
.LBB2_742:                              ;   in Loop: Header=BB2_730 Depth=3
	s_or_b32 exec_lo, exec_lo, s36
	v_and_b32_e32 v10, 12, v30
.LBB2_743:                              ;   in Loop: Header=BB2_730 Depth=3
	s_or_b32 exec_lo, exec_lo, s29
	s_delay_alu instid0(VALU_DEP_1)
	v_cmp_eq_u32_e32 vcc_lo, 0, v10
	s_mov_b32 s29, s24
	;;#ASMSTART
	s_wakeup
	;;#ASMEND
	s_or_not1_b32 s36, vcc_lo, exec_lo
.LBB2_744:                              ;   in Loop: Header=BB2_730 Depth=3
	s_or_b32 exec_lo, exec_lo, s6
	v_sub_nc_u32_e32 v2, v84, v66
	s_xor_b32 s6, s13, -1
	s_delay_alu instid0(SALU_CYCLE_1) | instskip(NEXT) | instid1(SALU_CYCLE_1)
	s_and_b32 s6, exec_lo, s6
	s_or_b32 s30, s6, s30
	s_delay_alu instid0(VALU_DEP_1) | instskip(SKIP_1) | instid1(SALU_CYCLE_1)
	v_min_i32_e32 v64, v64, v2
	s_xor_b32 s6, s36, -1
	s_and_saveexec_b32 s24, s6
	s_cbranch_execz .LBB2_759
; %bb.745:                              ;   in Loop: Header=BB2_730 Depth=3
	v_and_b32_e32 v2, 0x108, v30
	s_mov_b32 s6, s3
	s_mov_b32 s3, s29
	s_mov_b32 s13, exec_lo
	s_delay_alu instid0(VALU_DEP_1)
	v_cmpx_ne_u32_e32 0x108, v2
	s_xor_b32 s13, exec_lo, s13
                                        ; implicit-def: $vgpr8_vgpr9
; %bb.746:                              ;   in Loop: Header=BB2_730 Depth=3
	v_and_b32_e32 v8, 7, v24
; %bb.747:                              ;   in Loop: Header=BB2_730 Depth=3
	s_and_not1_saveexec_b32 s13, s13
	s_cbranch_execz .LBB2_749
; %bb.748:                              ;   in Loop: Header=BB2_730 Depth=3
	v_and_b32_e32 v8, 7, v24
	v_ashrrev_i32_e32 v65, 31, v64
	s_delay_alu instid0(VALU_DEP_2) | instskip(NEXT) | instid1(VALU_DEP_2)
	v_mad_u64_u32 v[9:10], null, v8, 24, v[6:7]
	v_lshlrev_b64 v[11:12], 1, v[64:65]
	flat_store_b64 v[9:10], v[11:12] offset:8
.LBB2_749:                              ;   in Loop: Header=BB2_730 Depth=3
	s_or_b32 exec_lo, exec_lo, s13
	v_and_b32_e32 v2, 0x100, v30
	s_mov_b32 s13, -1
	s_mov_b32 s29, exec_lo
                                        ; implicit-def: $vgpr9_vgpr10
	s_delay_alu instid0(VALU_DEP_1)
	v_cmpx_ne_u32_e32 0, v2
	s_cbranch_execnz .LBB2_752
; %bb.750:                              ;   in Loop: Header=BB2_730 Depth=3
	s_or_b32 exec_lo, exec_lo, s29
	s_and_saveexec_b32 s29, s13
	s_cbranch_execnz .LBB2_755
.LBB2_751:                              ;   in Loop: Header=BB2_730 Depth=3
	s_or_b32 exec_lo, exec_lo, s29
	s_cbranch_execnz .LBB2_2260
	s_branch .LBB2_756
.LBB2_752:                              ;   in Loop: Header=BB2_730 Depth=3
	v_mad_u64_u32 v[11:12], null, v8, 24, v[6:7]
	s_mov_b32 s36, exec_lo
	s_delay_alu instid0(VALU_DEP_1) | instskip(NEXT) | instid1(VALU_DEP_1)
	v_mov_b32_e32 v2, v12
	v_mad_u64_u32 v[9:10], null, v3, 24, v[2:3]
	s_delay_alu instid0(VALU_DEP_1)
	v_mov_b32_e32 v12, v9
                                        ; implicit-def: $vgpr9_vgpr10
	flat_load_b32 v2, v[11:12]
	s_waitcnt vmcnt(0) lgkmcnt(0)
	v_cmp_ne_u32_e32 vcc_lo, 1, v2
	v_cmpx_eq_u32_e32 1, v2
	s_cbranch_execz .LBB2_754
; %bb.753:                              ;   in Loop: Header=BB2_730 Depth=3
	flat_load_b32 v9, v[11:12] offset:4 glc
	s_waitcnt vmcnt(0) lgkmcnt(0)
	v_ashrrev_i32_e32 v10, 31, v9
	s_delay_alu instid0(VALU_DEP_1)
	v_lshrrev_b64 v[9:10], 1, v[9:10]
.LBB2_754:                              ;   in Loop: Header=BB2_730 Depth=3
	s_or_b32 exec_lo, exec_lo, s36
	s_delay_alu instid0(SALU_CYCLE_1)
	s_or_not1_b32 s13, vcc_lo, exec_lo
	s_or_b32 exec_lo, exec_lo, s29
	s_and_saveexec_b32 s29, s13
	s_cbranch_execz .LBB2_751
.LBB2_755:                              ;   in Loop: Header=BB2_730 Depth=3
	v_mul_lo_u32 v2, v3, v87
	v_mul_lo_u32 v11, v8, v96
	v_mad_u64_u32 v[9:10], null, v8, v87, 0
	s_delay_alu instid0(VALU_DEP_1)
	v_add3_u32 v10, v10, v11, v2
	s_or_b32 exec_lo, exec_lo, s29
	s_cbranch_execnz .LBB2_2260
.LBB2_756:                              ;   in Loop: Header=BB2_730 Depth=3
	s_delay_alu instid0(VALU_DEP_1) | instskip(SKIP_2) | instid1(VALU_DEP_2)
	v_lshlrev_b64 v[8:9], 1, v[9:10]
	v_and_b32_e32 v2, 0x2000, v30
	s_mov_b32 s13, exec_lo
	v_add_co_u32 v8, vcc_lo, v26, v8
	s_delay_alu instid0(VALU_DEP_3)
	v_add_co_ci_u32_e32 v9, vcc_lo, v27, v9, vcc_lo
	ds_store_b64 v0, v[8:9]
	v_cmpx_ne_u32_e32 0, v2
	s_cbranch_execz .LBB2_758
; %bb.757:                              ;   in Loop: Header=BB2_730 Depth=3
	ds_load_b64 v[8:9], v0 offset:584
	s_waitcnt lgkmcnt(0)
	v_add_co_u32 v8, vcc_lo, v8, 1
	v_add_co_ci_u32_e32 v9, vcc_lo, 0, v9, vcc_lo
	ds_store_b64 v0, v[8:9] offset:584
.LBB2_758:                              ;   in Loop: Header=BB2_730 Depth=3
	s_or_b32 exec_lo, exec_lo, s13
	v_add_co_u32 v24, vcc_lo, v24, 2
	v_add_co_ci_u32_e32 v25, vcc_lo, 0, v25, vcc_lo
	s_mov_b32 s29, s3
	s_mov_b32 s3, s6
.LBB2_759:                              ;   in Loop: Header=BB2_730 Depth=3
	s_or_b32 exec_lo, exec_lo, s24
	s_mov_b32 s6, s29
	s_mov_b32 s36, s3
	s_and_saveexec_b32 s13, s3
	s_cbranch_execz .LBB2_781
; %bb.760:                              ;   in Loop: Header=BB2_730 Depth=3
	s_and_saveexec_b32 s3, s4
	s_delay_alu instid0(SALU_CYCLE_1)
	s_xor_b32 s3, exec_lo, s3
	s_cbranch_execz .LBB2_778
; %bb.761:                              ;   in Loop: Header=BB2_730 Depth=3
	s_and_saveexec_b32 s24, s1
	s_cbranch_execz .LBB2_777
; %bb.762:                              ;   in Loop: Header=BB2_730 Depth=3
	s_mov_b32 s37, exec_lo
	s_mov_b32 s29, exec_lo
	v_mbcnt_lo_u32_b32 v2, s37, 0
	s_waitcnt lgkmcnt(0)
	s_waitcnt_vscnt null, 0x0
	buffer_gl1_inv
	buffer_gl0_inv
	v_cmpx_eq_u32_e32 0, v2
	s_cbranch_execz .LBB2_764
; %bb.763:                              ;   in Loop: Header=BB2_730 Depth=3
	s_bcnt1_i32_b32 vcc_lo, s37
	s_delay_alu instid0(SALU_CYCLE_1)
	v_mov_b32_e32 v2, vcc_lo
	ds_add_u64 v0, v[2:3]
	s_cbranch_execnz .LBB2_2372
.LBB2_764:                              ;   in Loop: Header=BB2_730 Depth=3
	s_or_b32 exec_lo, exec_lo, s29
	s_cbranch_execnz .LBB2_2338
; %bb.765:                              ;   in Loop: Header=BB2_730 Depth=3
	ds_load_b64 v[8:9], v0
	v_add_co_u32 v32, vcc_lo, v32, v99
	v_add_co_ci_u32_e32 v33, vcc_lo, 0, v33, vcc_lo
	s_mov_b32 s29, exec_lo
	s_waitcnt lgkmcnt(0)
	s_delay_alu instid0(VALU_DEP_1)
	v_cmpx_lt_u64_e64 v[8:9], v[32:33]
	s_cbranch_execz .LBB2_776
; %bb.766:                              ;   in Loop: Header=BB2_730 Depth=3
	s_mov_b32 s37, 0
	s_mov_b32 s40, 0
                                        ; implicit-def: $sgpr38
                                        ; implicit-def: $sgpr39
	s_branch .LBB2_768
.LBB2_767:                              ;   in Loop: Header=BB2_768 Depth=4
	s_or_b32 exec_lo, exec_lo, s42
	s_delay_alu instid0(SALU_CYCLE_1) | instskip(NEXT) | instid1(SALU_CYCLE_1)
	s_and_b32 vcc_lo, exec_lo, vcc_lo
	s_or_b32 s37, vcc_lo, s37
	s_and_not1_b32 vcc_lo, s38, exec_lo
	s_and_b32 s38, s39, exec_lo
	s_delay_alu instid0(SALU_CYCLE_1)
	s_or_b32 s38, vcc_lo, s38
	s_and_not1_b32 exec_lo, exec_lo, s37
	s_cbranch_execz .LBB2_774
.LBB2_768:                              ;   Parent Loop BB2_51 Depth=1
                                        ;     Parent Loop BB2_308 Depth=2
                                        ;       Parent Loop BB2_730 Depth=3
                                        ; =>      This Inner Loop Header: Depth=4
	s_add_i32 s40, s40, 1
                                        ; implicit-def: $sgpr42
	s_delay_alu instid0(SALU_CYCLE_1) | instskip(SKIP_1) | instid1(SALU_CYCLE_1)
	s_cmpk_lg_i32 s40, 0x2710
	s_cselect_b32 s41, -1, 0
	s_and_b32 vcc_lo, exec_lo, s41
	s_cbranch_vccz .LBB2_772
.LBB2_769:                              ;   in Loop: Header=BB2_768 Depth=4
	s_and_not1_b32 s39, s39, exec_lo
	s_and_b32 s42, s42, exec_lo
	s_mov_b32 vcc_lo, -1
	s_or_b32 s39, s39, s42
	s_and_saveexec_b32 s42, s41
	s_cbranch_execz .LBB2_767
; %bb.770:                              ;   in Loop: Header=BB2_768 Depth=4
	s_sleep 1
	s_cbranch_execnz .LBB2_2420
; %bb.771:                              ;   in Loop: Header=BB2_768 Depth=4
	ds_load_b64 v[8:9], v0
	s_and_not1_b32 s39, s39, exec_lo
	s_waitcnt lgkmcnt(0)
	v_cmp_ge_u64_e32 vcc_lo, v[8:9], v[32:33]
	s_or_not1_b32 vcc_lo, vcc_lo, exec_lo
	s_branch .LBB2_767
.LBB2_772:                              ;   in Loop: Header=BB2_768 Depth=4
	s_cbranch_execnz .LBB2_2428
; %bb.773:                              ;   in Loop: Header=BB2_768 Depth=4
	ds_load_b64 v[8:9], v0
	s_and_not1_b32 s41, s41, exec_lo
	s_mov_b32 s40, 0
	s_mov_b32 s42, -1
	s_waitcnt lgkmcnt(0)
	flat_load_b32 v2, v[8:9] glc
	s_waitcnt vmcnt(0) lgkmcnt(0)
	buffer_gl1_inv
	buffer_gl0_inv
	v_cmp_eq_u32_e32 vcc_lo, 0, v2
	s_and_b32 vcc_lo, vcc_lo, exec_lo
	s_delay_alu instid0(SALU_CYCLE_1)
	s_or_b32 s41, s41, vcc_lo
	s_branch .LBB2_769
.LBB2_774:                              ;   in Loop: Header=BB2_730 Depth=3
	s_or_b32 exec_lo, exec_lo, s37
	s_and_saveexec_b32 vcc_lo, s38
	s_delay_alu instid0(SALU_CYCLE_1)
	s_xor_b32 vcc_lo, exec_lo, vcc_lo
	s_cbranch_execz .LBB2_776
; %bb.775:                              ;   in Loop: Header=BB2_730 Depth=3
	ds_store_b32 v0, v133
	s_cbranch_execnz .LBB2_2630
.LBB2_776:                              ;   in Loop: Header=BB2_730 Depth=3
	s_or_b32 exec_lo, exec_lo, s29
	;;#ASMSTART
	s_wakeup
	;;#ASMEND
.LBB2_777:                              ;   in Loop: Header=BB2_730 Depth=3
	s_or_b32 exec_lo, exec_lo, s24
.LBB2_778:                              ;   in Loop: Header=BB2_730 Depth=3
	s_and_not1_saveexec_b32 s3, s3
	s_cbranch_execz .LBB2_780
; %bb.779:                              ;   in Loop: Header=BB2_730 Depth=3
	s_waitcnt lgkmcnt(0)
	s_waitcnt_vscnt null, 0x0
	buffer_gl1_inv
	buffer_gl0_inv
	s_barrier
.LBB2_780:                              ;   in Loop: Header=BB2_730 Depth=3
	s_or_b32 exec_lo, exec_lo, s3
.LBB2_781:                              ;   in Loop: Header=BB2_730 Depth=3
	s_delay_alu instid0(SALU_CYCLE_1) | instskip(NEXT) | instid1(SALU_CYCLE_1)
	s_or_b32 exec_lo, exec_lo, s13
                                        ; implicit-def: $vgpr2
	s_mov_b32 s13, exec_lo
	v_readlane_b32 s3, v42, 1
	s_delay_alu instid0(VALU_DEP_1) | instskip(NEXT) | instid1(SALU_CYCLE_1)
	s_and_b32 s3, s13, s3
	s_xor_b32 s13, s3, s13
	s_mov_b32 exec_lo, s3
	s_cbranch_execz .LBB2_803
; %bb.782:                              ;   in Loop: Header=BB2_730 Depth=3
	s_and_saveexec_b32 s3, s4
	s_delay_alu instid0(SALU_CYCLE_1)
	s_xor_b32 s3, exec_lo, s3
	s_cbranch_execz .LBB2_800
; %bb.783:                              ;   in Loop: Header=BB2_730 Depth=3
	s_and_saveexec_b32 s24, s1
	s_cbranch_execz .LBB2_799
; %bb.784:                              ;   in Loop: Header=BB2_730 Depth=3
	s_mov_b32 s37, exec_lo
	s_mov_b32 s29, exec_lo
	v_mbcnt_lo_u32_b32 v2, s37, 0
	;;#ASMSTART
	s_waitcnt lgkmcnt(0) vmcnt(0)
	;;#ASMEND
	s_delay_alu instid0(VALU_DEP_1)
	v_cmpx_eq_u32_e32 0, v2
	s_cbranch_execz .LBB2_786
; %bb.785:                              ;   in Loop: Header=BB2_730 Depth=3
	s_bcnt1_i32_b32 vcc_lo, s37
	s_delay_alu instid0(SALU_CYCLE_1)
	v_mov_b32_e32 v2, vcc_lo
	ds_add_u64 v0, v[2:3]
	s_cbranch_execnz .LBB2_2382
.LBB2_786:                              ;   in Loop: Header=BB2_730 Depth=3
	s_or_b32 exec_lo, exec_lo, s29
	s_cbranch_execnz .LBB2_2348
; %bb.787:                              ;   in Loop: Header=BB2_730 Depth=3
	ds_load_b64 v[8:9], v0
	v_add_co_u32 v32, vcc_lo, v32, v99
	v_add_co_ci_u32_e32 v33, vcc_lo, 0, v33, vcc_lo
	s_mov_b32 s29, exec_lo
	s_waitcnt lgkmcnt(0)
	s_delay_alu instid0(VALU_DEP_1)
	v_cmpx_lt_u64_e64 v[8:9], v[32:33]
	s_cbranch_execz .LBB2_798
; %bb.788:                              ;   in Loop: Header=BB2_730 Depth=3
	s_mov_b32 s37, 0
	s_mov_b32 s40, 0
                                        ; implicit-def: $sgpr38
                                        ; implicit-def: $sgpr39
	s_branch .LBB2_790
.LBB2_789:                              ;   in Loop: Header=BB2_790 Depth=4
	s_or_b32 exec_lo, exec_lo, s42
	s_delay_alu instid0(SALU_CYCLE_1) | instskip(NEXT) | instid1(SALU_CYCLE_1)
	s_and_b32 vcc_lo, exec_lo, vcc_lo
	s_or_b32 s37, vcc_lo, s37
	s_and_not1_b32 vcc_lo, s38, exec_lo
	s_and_b32 s38, s39, exec_lo
	s_delay_alu instid0(SALU_CYCLE_1)
	s_or_b32 s38, vcc_lo, s38
	s_and_not1_b32 exec_lo, exec_lo, s37
	s_cbranch_execz .LBB2_796
.LBB2_790:                              ;   Parent Loop BB2_51 Depth=1
                                        ;     Parent Loop BB2_308 Depth=2
                                        ;       Parent Loop BB2_730 Depth=3
                                        ; =>      This Inner Loop Header: Depth=4
	s_add_i32 s40, s40, 1
                                        ; implicit-def: $sgpr42
	s_delay_alu instid0(SALU_CYCLE_1) | instskip(SKIP_1) | instid1(SALU_CYCLE_1)
	s_cmpk_lg_i32 s40, 0x2710
	s_cselect_b32 s41, -1, 0
	s_and_b32 vcc_lo, exec_lo, s41
	s_cbranch_vccz .LBB2_794
.LBB2_791:                              ;   in Loop: Header=BB2_790 Depth=4
	s_and_not1_b32 s39, s39, exec_lo
	s_and_b32 s42, s42, exec_lo
	s_mov_b32 vcc_lo, -1
	s_or_b32 s39, s39, s42
	s_and_saveexec_b32 s42, s41
	s_cbranch_execz .LBB2_789
; %bb.792:                              ;   in Loop: Header=BB2_790 Depth=4
	s_sleep 1
	s_cbranch_execnz .LBB2_2422
; %bb.793:                              ;   in Loop: Header=BB2_790 Depth=4
	ds_load_b64 v[8:9], v0
	s_and_not1_b32 s39, s39, exec_lo
	s_waitcnt lgkmcnt(0)
	v_cmp_ge_u64_e32 vcc_lo, v[8:9], v[32:33]
	s_or_not1_b32 vcc_lo, vcc_lo, exec_lo
	s_branch .LBB2_789
.LBB2_794:                              ;   in Loop: Header=BB2_790 Depth=4
	s_cbranch_execnz .LBB2_2438
; %bb.795:                              ;   in Loop: Header=BB2_790 Depth=4
	ds_load_b64 v[8:9], v0
	s_and_not1_b32 s41, s41, exec_lo
	s_mov_b32 s40, 0
	s_mov_b32 s42, -1
	s_waitcnt lgkmcnt(0)
	s_waitcnt_vscnt null, 0x0
	flat_load_b32 v2, v[8:9] glc
	s_waitcnt vmcnt(0) lgkmcnt(0)
	buffer_gl1_inv
	buffer_gl0_inv
	v_cmp_eq_u32_e32 vcc_lo, 0, v2
	s_and_b32 vcc_lo, vcc_lo, exec_lo
	s_delay_alu instid0(SALU_CYCLE_1)
	s_or_b32 s41, s41, vcc_lo
	s_branch .LBB2_791
.LBB2_796:                              ;   in Loop: Header=BB2_730 Depth=3
	s_or_b32 exec_lo, exec_lo, s37
	s_and_saveexec_b32 vcc_lo, s38
	s_delay_alu instid0(SALU_CYCLE_1)
	s_xor_b32 vcc_lo, exec_lo, vcc_lo
	s_cbranch_execz .LBB2_798
; %bb.797:                              ;   in Loop: Header=BB2_730 Depth=3
	ds_store_b32 v0, v133
	s_cbranch_execnz .LBB2_2634
.LBB2_798:                              ;   in Loop: Header=BB2_730 Depth=3
	s_or_b32 exec_lo, exec_lo, s29
	;;#ASMSTART
	s_wakeup
	;;#ASMEND
.LBB2_799:                              ;   in Loop: Header=BB2_730 Depth=3
	s_or_b32 exec_lo, exec_lo, s24
.LBB2_800:                              ;   in Loop: Header=BB2_730 Depth=3
	s_and_not1_saveexec_b32 s3, s3
	s_cbranch_execz .LBB2_802
; %bb.801:                              ;   in Loop: Header=BB2_730 Depth=3
	;;#ASMSTART
	s_waitcnt lgkmcnt(0) vmcnt(0)
	;;#ASMEND
	s_waitcnt lgkmcnt(0)
	s_waitcnt_vscnt null, 0x0
	s_barrier
.LBB2_802:                              ;   in Loop: Header=BB2_730 Depth=3
	s_or_b32 exec_lo, exec_lo, s3
	v_and_b32_e32 v2, 16, v30
.LBB2_803:                              ;   in Loop: Header=BB2_730 Depth=3
	s_and_not1_saveexec_b32 s3, s13
	s_cbranch_execz .LBB2_808
; %bb.804:                              ;   in Loop: Header=BB2_730 Depth=3
	s_cbranch_execnz .LBB2_2282
; %bb.805:                              ;   in Loop: Header=BB2_730 Depth=3
	ds_load_b32 v2, v0
	v_cmp_lt_i32_e32 vcc_lo, 0, v64
	s_waitcnt lgkmcnt(0)
	v_readfirstlane_b32 s13, v2
	v_and_b32_e32 v2, 16, v30
	s_delay_alu instid0(VALU_DEP_2) | instskip(NEXT) | instid1(VALU_DEP_1)
	s_cmp_eq_u32 s13, 0
	v_cmp_ne_u32_e64 s13, 0, v2
	s_cselect_b32 s24, -1, 0
	v_and_b32_e32 v2, 16, v30
	s_and_b32 s24, vcc_lo, s24
	s_delay_alu instid0(VALU_DEP_2) | instid1(SALU_CYCLE_1)
	s_and_b32 s24, s13, s24
	s_delay_alu instid0(SALU_CYCLE_1)
	s_and_saveexec_b32 s13, s24
	s_cbranch_execz .LBB2_807
; %bb.806:                              ;   in Loop: Header=BB2_730 Depth=3
	v_mov_b32_e32 v2, 1
	s_waitcnt_vscnt null, 0x0
	buffer_gl1_inv
	buffer_gl0_inv
.LBB2_807:                              ;   in Loop: Header=BB2_730 Depth=3
	s_or_b32 exec_lo, exec_lo, s13
.LBB2_808:                              ;   in Loop: Header=BB2_730 Depth=3
	s_delay_alu instid0(SALU_CYCLE_1) | instskip(NEXT) | instid1(VALU_DEP_1)
	s_or_b32 exec_lo, exec_lo, s3
	v_cmp_ne_u32_e32 vcc_lo, 0, v2
	s_xor_b32 s3, s10, -1
	s_delay_alu instid0(SALU_CYCLE_1) | instskip(NEXT) | instid1(SALU_CYCLE_1)
	s_and_b32 s13, vcc_lo, s3
	s_and_saveexec_b32 s3, s13
	s_cbranch_execz .LBB2_810
; %bb.809:                              ;   in Loop: Header=BB2_730 Depth=3
	s_waitcnt lgkmcnt(0)
	s_waitcnt_vscnt null, 0x0
	flat_store_b32 v[28:29], v133
.LBB2_810:                              ;   in Loop: Header=BB2_730 Depth=3
	s_or_b32 exec_lo, exec_lo, s3
	v_and_b32_e32 v2, 48, v30
	s_mov_b32 s3, exec_lo
	s_delay_alu instid0(VALU_DEP_1)
	v_cmpx_ne_u32_e32 0, v2
	s_cbranch_execz .LBB2_812
; %bb.811:                              ;   in Loop: Header=BB2_730 Depth=3
	v_add_co_u32 v24, vcc_lo, v24, 2
	v_add_co_ci_u32_e32 v25, vcc_lo, 0, v25, vcc_lo
	s_waitcnt lgkmcnt(0)
	s_waitcnt_vscnt null, 0x0
	flat_store_b64 v[22:23], v[24:25]
.LBB2_812:                              ;   in Loop: Header=BB2_730 Depth=3
	s_or_b32 exec_lo, exec_lo, s3
	v_add_nc_u32_e32 v66, v64, v66
	s_mov_b32 s13, 0
	s_mov_b32 s29, s6
	;; [unrolled: 1-line block ×3, first 2 shown]
	s_and_not1_b32 exec_lo, exec_lo, s30
	s_cbranch_execnz .LBB2_730
; %bb.813:                              ;   in Loop: Header=BB2_308 Depth=2
	s_or_b32 exec_lo, exec_lo, s30
.LBB2_814:                              ;   in Loop: Header=BB2_308 Depth=2
	s_delay_alu instid0(SALU_CYCLE_1) | instskip(SKIP_1) | instid1(SALU_CYCLE_1)
	s_or_b32 exec_lo, exec_lo, s15
	s_add_i32 s17, s17, 1
	s_cmp_eq_u32 s17, s19
	s_cbranch_scc0 .LBB2_308
.LBB2_815:                              ;   in Loop: Header=BB2_51 Depth=1
	v_mul_lo_u32 v2, v51, s19
	v_mul_lo_u32 v10, v50, s21
	v_mad_u64_u32 v[8:9], null, v50, s19, 0
	v_mov_b32_e32 v66, 0
	s_mov_b32 s30, 0
	s_delay_alu instid0(VALU_DEP_2) | instskip(NEXT) | instid1(VALU_DEP_3)
	v_add3_u32 v9, v9, v10, v2
	v_sub_co_u32 v10, vcc_lo, v52, v8
	s_delay_alu instid0(VALU_DEP_2) | instskip(NEXT) | instid1(VALU_DEP_1)
	v_sub_co_ci_u32_e32 v11, vcc_lo, v53, v9, vcc_lo
	v_cmp_lt_i64_e32 vcc_lo, v[50:51], v[10:11]
	v_cndmask_b32_e32 v10, v10, v50, vcc_lo
	s_delay_alu instid0(VALU_DEP_1) | instskip(SKIP_1) | instid1(VALU_DEP_2)
	v_max_i32_e32 v134, 0, v10
	v_cmp_lt_i32_e32 vcc_lo, 0, v10
	v_add_nc_u32_e32 v2, 31, v134
	s_and_b32 s6, s16, vcc_lo
	s_delay_alu instid0(VALU_DEP_1) | instskip(NEXT) | instid1(VALU_DEP_1)
	v_lshrrev_b32_e32 v2, 1, v2
	v_dual_mov_b32 v2, 0 :: v_dual_and_b32 v11, 0x3ffffff0, v2
	s_delay_alu instid0(VALU_DEP_1)
	v_max_i32_e32 v64, s28, v11
	s_and_saveexec_b32 s17, s6
	s_cbranch_execz .LBB2_1528
; %bb.816:                              ;   in Loop: Header=BB2_51 Depth=1
	v_add_co_u32 v8, vcc_lo, v8, v54
	v_add_co_ci_u32_e32 v9, vcc_lo, v9, v55, vcc_lo
	v_mov_b32_e32 v66, 0
	s_mov_b32 s37, 1
	s_mov_b32 s36, -1
	s_delay_alu instid0(VALU_DEP_2)
	v_lshlrev_b64 v[68:69], 1, v[8:9]
.LBB2_817:                              ;   Parent Loop BB2_51 Depth=1
                                        ; =>  This Loop Header: Depth=2
                                        ;       Child Loop BB2_826 Depth 3
                                        ;       Child Loop BB2_856 Depth 3
                                        ;       Child Loop BB2_879 Depth 3
                                        ;       Child Loop BB2_904 Depth 3
                                        ;         Child Loop BB2_1001 Depth 4
                                        ;       Child Loop BB2_1008 Depth 3
                                        ;         Child Loop BB2_1105 Depth 4
                                        ;       Child Loop BB2_1119 Depth 3
                                        ;       Child Loop BB2_1170 Depth 3
                                        ;         Child Loop BB2_1183 Depth 4
                                        ;       Child Loop BB2_1200 Depth 3
                                        ;       Child Loop BB2_1302 Depth 3
	;; [unrolled: 1-line block ×6, first 2 shown]
	s_and_saveexec_b32 s6, s0
	s_cbranch_execz .LBB2_820
; %bb.818:                              ;   in Loop: Header=BB2_817 Depth=2
	s_cbranch_execnz .LBB2_2250
; %bb.819:                              ;   in Loop: Header=BB2_817 Depth=2
	ds_load_2addr_b64 v[8:11], v0 offset1:1
	ds_load_b64 v[12:13], v0
	v_ashrrev_i32_e32 v67, 31, v66
	s_delay_alu instid0(VALU_DEP_1)
	v_lshlrev_b64 v[14:15], 1, v[66:67]
	s_waitcnt lgkmcnt(1)
	v_add_co_u32 v2, vcc_lo, v8, v68
	v_add_co_ci_u32_e32 v9, vcc_lo, v9, v69, vcc_lo
	v_add_co_u32 v10, vcc_lo, v10, v68
	v_add_co_ci_u32_e32 v11, vcc_lo, v11, v69, vcc_lo
	s_waitcnt lgkmcnt(0)
	v_add_co_u32 v65, vcc_lo, v12, v68
	v_add_co_ci_u32_e32 v67, vcc_lo, v13, v69, vcc_lo
	v_add_co_u32 v8, vcc_lo, v2, v14
	v_add_co_ci_u32_e32 v9, vcc_lo, v9, v15, vcc_lo
	s_delay_alu instid0(VALU_DEP_4) | instskip(NEXT) | instid1(VALU_DEP_4)
	v_add_co_u32 v2, vcc_lo, v65, v14
	v_add_co_ci_u32_e32 v65, vcc_lo, v67, v15, vcc_lo
	v_cmp_ne_u64_e32 vcc_lo, 0, v[12:13]
	v_add_co_u32 v10, s13, v10, v14
	s_delay_alu instid0(VALU_DEP_1) | instskip(NEXT) | instid1(VALU_DEP_4)
	v_add_co_ci_u32_e64 v11, s13, v11, v15, s13
	v_dual_cndmask_b32 v13, 0, v65 :: v_dual_cndmask_b32 v12, 0, v2
	ds_store_b64 v0, v[8:9]
	ds_store_b64 v0, v[10:11]
	;; [unrolled: 1-line block ×3, first 2 shown]
.LBB2_820:                              ;   in Loop: Header=BB2_817 Depth=2
	s_or_b32 exec_lo, exec_lo, s6
	v_and_b32_e32 v2, 12, v30
	s_mov_b32 s38, -1
	s_mov_b32 s6, exec_lo
	s_delay_alu instid0(VALU_DEP_1)
	v_cmpx_ne_u32_e32 0, v2
	s_cbranch_execz .LBB2_834
; %bb.821:                              ;   in Loop: Header=BB2_817 Depth=2
	v_and_b32_e32 v2, 8, v30
	s_mov_b32 s13, s29
	s_mov_b32 s15, s37
	;; [unrolled: 1-line block ×4, first 2 shown]
	v_add_co_u32 v10, vcc_lo, v34, v2
	v_add_co_ci_u32_e32 v11, vcc_lo, 0, v35, vcc_lo
	v_add_co_u32 v8, vcc_lo, v24, 2
	v_add_co_ci_u32_e32 v9, vcc_lo, 0, v25, vcc_lo
	s_delay_alu instid0(VALU_DEP_1)
	v_cmp_lt_u64_e32 vcc_lo, v[10:11], v[8:9]
	v_mov_b32_e32 v10, 1
	s_and_saveexec_b32 s30, vcc_lo
	s_cbranch_execz .LBB2_833
; %bb.822:                              ;   in Loop: Header=BB2_817 Depth=2
	v_mov_b32_e32 v10, 0
	s_mov_b32 s36, 0
                                        ; implicit-def: $sgpr37
	s_branch .LBB2_826
.LBB2_823:                              ;   in Loop: Header=BB2_826 Depth=3
	s_or_b32 exec_lo, exec_lo, s41
	v_mov_b32_e32 v11, 0
	s_or_not1_b32 s40, s40, exec_lo
.LBB2_824:                              ;   in Loop: Header=BB2_826 Depth=3
	s_or_b32 exec_lo, exec_lo, s39
	s_delay_alu instid0(VALU_DEP_1) | instskip(SKIP_2) | instid1(SALU_CYCLE_1)
	v_mov_b32_e32 v10, v11
	s_and_not1_b32 vcc_lo, s37, exec_lo
	s_and_b32 s37, s40, exec_lo
	s_or_b32 s37, vcc_lo, s37
.LBB2_825:                              ;   in Loop: Header=BB2_826 Depth=3
	s_or_b32 exec_lo, exec_lo, s38
	s_waitcnt vmcnt(0) lgkmcnt(0)
	v_add_co_u32 v11, vcc_lo, v34, v2
	v_add_co_ci_u32_e32 v12, vcc_lo, 0, v35, vcc_lo
	s_xor_b32 s38, s37, -1
	s_delay_alu instid0(VALU_DEP_1) | instskip(SKIP_1) | instid1(SALU_CYCLE_1)
	v_cmp_ge_u64_e32 vcc_lo, v[11:12], v[8:9]
	s_or_b32 vcc_lo, s38, vcc_lo
	s_and_b32 vcc_lo, exec_lo, vcc_lo
	s_delay_alu instid0(SALU_CYCLE_1) | instskip(NEXT) | instid1(SALU_CYCLE_1)
	s_or_b32 s36, vcc_lo, s36
	s_and_not1_b32 exec_lo, exec_lo, s36
	s_cbranch_execz .LBB2_832
.LBB2_826:                              ;   Parent Loop BB2_51 Depth=1
                                        ;     Parent Loop BB2_817 Depth=2
                                        ; =>    This Inner Loop Header: Depth=3
	s_sleep 1
	flat_load_b64 v[34:35], v[22:23] glc
	v_and_b32_e32 v11, 64, v30
	s_and_not1_b32 s37, s37, exec_lo
	s_mov_b32 s38, exec_lo
	s_delay_alu instid0(VALU_DEP_1)
	v_cmpx_eq_u32_e32 0, v11
	s_cbranch_execz .LBB2_825
; %bb.827:                              ;   in Loop: Header=BB2_826 Depth=3
	v_add_nc_u32_e32 v11, 1, v10
	s_mov_b32 s40, -1
	s_mov_b32 s39, exec_lo
	v_cmpx_lt_i32_e32 0x270e, v10
	s_cbranch_execz .LBB2_824
; %bb.828:                              ;   in Loop: Header=BB2_826 Depth=3
	s_cbranch_execnz .LBB2_2276
; %bb.829:                              ;   in Loop: Header=BB2_826 Depth=3
	ds_load_b64 v[10:11], v0
	s_mov_b32 s41, exec_lo
	s_waitcnt vmcnt(0) lgkmcnt(0)
	s_waitcnt_vscnt null, 0x0
	flat_load_b32 v10, v[10:11] glc
	s_waitcnt vmcnt(0) lgkmcnt(0)
	buffer_gl1_inv
	buffer_gl0_inv
	v_cmpx_ne_u32_e32 0, v10
	s_cbranch_execz .LBB2_823
; %bb.830:                              ;   in Loop: Header=BB2_826 Depth=3
	ds_store_b32 v0, v10
	s_cbranch_execnz .LBB2_2330
; %bb.831:                              ;   in Loop: Header=BB2_826 Depth=3
	v_or_b32_e32 v30, 64, v30
	s_xor_b32 s40, exec_lo, -1
	s_branch .LBB2_823
.LBB2_832:                              ;   in Loop: Header=BB2_817 Depth=2
	s_or_b32 exec_lo, exec_lo, s36
	v_and_b32_e32 v10, 12, v30
.LBB2_833:                              ;   in Loop: Header=BB2_817 Depth=2
	s_or_b32 exec_lo, exec_lo, s30
	s_delay_alu instid0(VALU_DEP_1)
	v_cmp_eq_u32_e32 vcc_lo, 0, v10
	s_mov_b32 s30, s29
	s_mov_b32 s36, s24
	;; [unrolled: 1-line block ×4, first 2 shown]
	s_or_not1_b32 s38, vcc_lo, exec_lo
	;;#ASMSTART
	s_wakeup
	;;#ASMEND
.LBB2_834:                              ;   in Loop: Header=BB2_817 Depth=2
	s_or_b32 exec_lo, exec_lo, s6
	v_sub_nc_u32_e32 v2, v134, v66
	s_xor_b32 s6, s38, -1
	s_delay_alu instid0(VALU_DEP_1)
	v_min_i32_e32 v64, v64, v2
	s_and_saveexec_b32 s15, s6
	s_cbranch_execz .LBB2_847
; %bb.835:                              ;   in Loop: Header=BB2_817 Depth=2
	v_and_b32_e32 v2, 0x108, v30
	s_mov_b32 s6, s3
	s_mov_b32 s24, s4
	s_mov_b32 s4, s2
	s_mov_b32 s2, s37
	v_cmp_ne_u32_e32 vcc_lo, 0x108, v2
	v_and_b32_e32 v2, 7, v24
	s_mov_b32 s3, s36
	s_and_saveexec_b32 s13, vcc_lo
	s_delay_alu instid0(SALU_CYCLE_1) | instskip(NEXT) | instid1(SALU_CYCLE_1)
	s_xor_b32 s13, exec_lo, s13
	s_and_not1_saveexec_b32 s13, s13
	s_cbranch_execz .LBB2_837
; %bb.836:                              ;   in Loop: Header=BB2_817 Depth=2
	v_ashrrev_i32_e32 v65, 31, v64
	v_mad_u64_u32 v[8:9], null, v2, 24, v[6:7]
	s_delay_alu instid0(VALU_DEP_2)
	v_lshlrev_b64 v[10:11], 1, v[64:65]
	flat_store_b64 v[8:9], v[10:11] offset:8
.LBB2_837:                              ;   in Loop: Header=BB2_817 Depth=2
	s_or_b32 exec_lo, exec_lo, s13
	v_and_b32_e32 v8, 0x100, v30
	s_mov_b32 s13, -1
	s_delay_alu instid0(VALU_DEP_1)
	v_cmp_ne_u32_e32 vcc_lo, 0, v8
                                        ; implicit-def: $vgpr8_vgpr9
	s_and_saveexec_b32 s36, vcc_lo
	s_cbranch_execnz .LBB2_840
; %bb.838:                              ;   in Loop: Header=BB2_817 Depth=2
	s_or_b32 exec_lo, exec_lo, s36
	s_and_saveexec_b32 vcc_lo, s13
	s_cbranch_execnz .LBB2_843
.LBB2_839:                              ;   in Loop: Header=BB2_817 Depth=2
	s_or_b32 exec_lo, exec_lo, vcc_lo
	s_cbranch_execnz .LBB2_2270
	s_branch .LBB2_844
.LBB2_840:                              ;   in Loop: Header=BB2_817 Depth=2
	v_mad_u64_u32 v[10:11], null, v2, 24, v[6:7]
	s_delay_alu instid0(VALU_DEP_1) | instskip(NEXT) | instid1(VALU_DEP_1)
	v_mov_b32_e32 v8, v11
	v_mad_u64_u32 v[11:12], null, v3, 24, v[8:9]
	flat_load_b32 v8, v[10:11]
	s_waitcnt vmcnt(0) lgkmcnt(0)
	v_cmp_ne_u32_e32 vcc_lo, 1, v8
	v_cmp_eq_u32_e64 s13, 1, v8
                                        ; implicit-def: $vgpr8_vgpr9
	s_delay_alu instid0(VALU_DEP_1)
	s_and_saveexec_b32 s37, s13
	s_cbranch_execz .LBB2_842
; %bb.841:                              ;   in Loop: Header=BB2_817 Depth=2
	flat_load_b32 v8, v[10:11] offset:4 glc
	s_waitcnt vmcnt(0) lgkmcnt(0)
	v_ashrrev_i32_e32 v9, 31, v8
	s_delay_alu instid0(VALU_DEP_1)
	v_lshrrev_b64 v[8:9], 1, v[8:9]
.LBB2_842:                              ;   in Loop: Header=BB2_817 Depth=2
	s_or_b32 exec_lo, exec_lo, s37
	s_delay_alu instid0(SALU_CYCLE_1)
	s_or_not1_b32 s13, vcc_lo, exec_lo
	s_or_b32 exec_lo, exec_lo, s36
	s_and_saveexec_b32 vcc_lo, s13
	s_cbranch_execz .LBB2_839
.LBB2_843:                              ;   in Loop: Header=BB2_817 Depth=2
	v_mul_lo_u32 v10, v3, v87
	v_mul_lo_u32 v11, v2, v96
	v_mad_u64_u32 v[8:9], null, v2, v87, 0
	s_delay_alu instid0(VALU_DEP_1)
	v_add3_u32 v9, v9, v11, v10
	s_or_b32 exec_lo, exec_lo, vcc_lo
	s_cbranch_execnz .LBB2_2270
.LBB2_844:                              ;   in Loop: Header=BB2_817 Depth=2
	s_delay_alu instid0(VALU_DEP_1) | instskip(SKIP_2) | instid1(VALU_DEP_2)
	v_lshlrev_b64 v[8:9], 1, v[8:9]
	v_and_b32_e32 v2, 0x2000, v30
	s_mov_b32 s13, exec_lo
	v_add_co_u32 v8, vcc_lo, v26, v8
	s_delay_alu instid0(VALU_DEP_3)
	v_add_co_ci_u32_e32 v9, vcc_lo, v27, v9, vcc_lo
	ds_store_b64 v0, v[8:9]
	v_cmpx_ne_u32_e32 0, v2
	s_cbranch_execz .LBB2_846
; %bb.845:                              ;   in Loop: Header=BB2_817 Depth=2
	ds_load_b64 v[8:9], v0 offset:584
	s_waitcnt lgkmcnt(0)
	v_add_co_u32 v8, vcc_lo, v8, 1
	v_add_co_ci_u32_e32 v9, vcc_lo, 0, v9, vcc_lo
	ds_store_b64 v0, v[8:9] offset:584
.LBB2_846:                              ;   in Loop: Header=BB2_817 Depth=2
	s_or_b32 exec_lo, exec_lo, s13
	v_add_co_u32 v24, vcc_lo, v24, 2
	v_add_co_ci_u32_e32 v25, vcc_lo, 0, v25, vcc_lo
	s_mov_b32 s36, s3
	s_mov_b32 s37, s2
	;; [unrolled: 1-line block ×5, first 2 shown]
.LBB2_847:                              ;   in Loop: Header=BB2_817 Depth=2
	v_writelane_b32 v42, s36, 2
	v_writelane_b32 v42, s37, 3
	;; [unrolled: 1-line block ×8, first 2 shown]
	s_or_b32 exec_lo, exec_lo, s15
	s_and_saveexec_b32 s13, s3
	s_mov_b32 s6, s11
	s_cbranch_execz .LBB2_869
; %bb.848:                              ;   in Loop: Header=BB2_817 Depth=2
	s_and_saveexec_b32 s11, s4
	s_delay_alu instid0(SALU_CYCLE_1)
	s_xor_b32 s11, exec_lo, s11
	s_cbranch_execz .LBB2_866
; %bb.849:                              ;   in Loop: Header=BB2_817 Depth=2
	s_and_saveexec_b32 s14, s1
	s_cbranch_execz .LBB2_865
; %bb.850:                              ;   in Loop: Header=BB2_817 Depth=2
	s_mov_b32 s16, exec_lo
	s_mov_b32 s15, exec_lo
	v_mbcnt_lo_u32_b32 v2, s16, 0
	s_waitcnt lgkmcnt(0)
	s_waitcnt_vscnt null, 0x0
	buffer_gl1_inv
	buffer_gl0_inv
	v_cmpx_eq_u32_e32 0, v2
	s_cbranch_execz .LBB2_852
; %bb.851:                              ;   in Loop: Header=BB2_817 Depth=2
	s_bcnt1_i32_b32 s16, s16
	s_delay_alu instid0(SALU_CYCLE_1)
	v_mov_b32_e32 v2, s16
	ds_add_u64 v0, v[2:3]
	s_cbranch_execnz .LBB2_2386
.LBB2_852:                              ;   in Loop: Header=BB2_817 Depth=2
	s_or_b32 exec_lo, exec_lo, s15
	s_cbranch_execnz .LBB2_2360
; %bb.853:                              ;   in Loop: Header=BB2_817 Depth=2
	ds_load_b64 v[8:9], v0
	v_add_co_u32 v32, vcc_lo, v32, v99
	v_add_co_ci_u32_e32 v33, vcc_lo, 0, v33, vcc_lo
	s_mov_b32 s15, exec_lo
	s_waitcnt lgkmcnt(0)
	s_delay_alu instid0(VALU_DEP_1)
	v_cmpx_lt_u64_e64 v[8:9], v[32:33]
	s_cbranch_execz .LBB2_864
; %bb.854:                              ;   in Loop: Header=BB2_817 Depth=2
	s_mov_b32 s16, 0
	s_mov_b32 s31, 0
                                        ; implicit-def: $sgpr24
                                        ; implicit-def: $sgpr30
	s_branch .LBB2_856
.LBB2_855:                              ;   in Loop: Header=BB2_856 Depth=3
	s_or_b32 exec_lo, exec_lo, s35
	s_delay_alu instid0(SALU_CYCLE_1) | instskip(NEXT) | instid1(SALU_CYCLE_1)
	s_and_b32 vcc_lo, exec_lo, vcc_lo
	s_or_b32 s16, vcc_lo, s16
	s_and_not1_b32 s24, s24, exec_lo
	s_and_b32 vcc_lo, s30, exec_lo
	s_delay_alu instid0(SALU_CYCLE_1)
	s_or_b32 s24, s24, vcc_lo
	s_and_not1_b32 exec_lo, exec_lo, s16
	s_cbranch_execz .LBB2_862
.LBB2_856:                              ;   Parent Loop BB2_51 Depth=1
                                        ;     Parent Loop BB2_817 Depth=2
                                        ; =>    This Inner Loop Header: Depth=3
	s_add_i32 s31, s31, 1
                                        ; implicit-def: $sgpr35
	s_delay_alu instid0(SALU_CYCLE_1) | instskip(SKIP_1) | instid1(SALU_CYCLE_1)
	s_cmpk_lg_i32 s31, 0x2710
	s_cselect_b32 s34, -1, 0
	s_and_b32 vcc_lo, exec_lo, s34
	s_cbranch_vccz .LBB2_860
.LBB2_857:                              ;   in Loop: Header=BB2_856 Depth=3
	s_and_not1_b32 s30, s30, exec_lo
	s_and_b32 s35, s35, exec_lo
	s_mov_b32 vcc_lo, -1
	s_or_b32 s30, s30, s35
	s_and_saveexec_b32 s35, s34
	s_cbranch_execz .LBB2_855
; %bb.858:                              ;   in Loop: Header=BB2_856 Depth=3
	s_sleep 1
	s_cbranch_execnz .LBB2_2430
; %bb.859:                              ;   in Loop: Header=BB2_856 Depth=3
	ds_load_b64 v[8:9], v0
	s_and_not1_b32 s30, s30, exec_lo
	s_waitcnt lgkmcnt(0)
	v_cmp_ge_u64_e32 vcc_lo, v[8:9], v[32:33]
	s_or_not1_b32 vcc_lo, vcc_lo, exec_lo
	s_branch .LBB2_855
.LBB2_860:                              ;   in Loop: Header=BB2_856 Depth=3
	s_cbranch_execnz .LBB2_2442
; %bb.861:                              ;   in Loop: Header=BB2_856 Depth=3
	ds_load_b64 v[8:9], v0
	s_and_not1_b32 s34, s34, exec_lo
	s_mov_b32 s31, 0
	s_mov_b32 s35, -1
	s_waitcnt lgkmcnt(0)
	flat_load_b32 v2, v[8:9] glc
	s_waitcnt vmcnt(0) lgkmcnt(0)
	buffer_gl1_inv
	buffer_gl0_inv
	v_cmp_eq_u32_e32 vcc_lo, 0, v2
	s_and_b32 vcc_lo, vcc_lo, exec_lo
	s_delay_alu instid0(SALU_CYCLE_1)
	s_or_b32 s34, s34, vcc_lo
	s_branch .LBB2_857
.LBB2_862:                              ;   in Loop: Header=BB2_817 Depth=2
	s_or_b32 exec_lo, exec_lo, s16
	s_and_saveexec_b32 s16, s24
	s_delay_alu instid0(SALU_CYCLE_1)
	s_xor_b32 s16, exec_lo, s16
	s_cbranch_execz .LBB2_864
; %bb.863:                              ;   in Loop: Header=BB2_817 Depth=2
	ds_store_b32 v0, v133
	s_cbranch_execnz .LBB2_2640
.LBB2_864:                              ;   in Loop: Header=BB2_817 Depth=2
	s_or_b32 exec_lo, exec_lo, s15
	;;#ASMSTART
	s_wakeup
	;;#ASMEND
.LBB2_865:                              ;   in Loop: Header=BB2_817 Depth=2
	s_or_b32 exec_lo, exec_lo, s14
.LBB2_866:                              ;   in Loop: Header=BB2_817 Depth=2
	s_and_not1_saveexec_b32 s11, s11
	s_cbranch_execz .LBB2_868
; %bb.867:                              ;   in Loop: Header=BB2_817 Depth=2
	s_waitcnt lgkmcnt(0)
	s_waitcnt_vscnt null, 0x0
	buffer_gl1_inv
	buffer_gl0_inv
	s_barrier
.LBB2_868:                              ;   in Loop: Header=BB2_817 Depth=2
	s_or_b32 exec_lo, exec_lo, s11
.LBB2_869:                              ;   in Loop: Header=BB2_817 Depth=2
	s_delay_alu instid0(SALU_CYCLE_1)
	s_or_b32 exec_lo, exec_lo, s13
	s_cbranch_execnz .LBB2_2256
; %bb.870:                              ;   in Loop: Header=BB2_817 Depth=2
	ds_load_b32 v8, v0
	v_and_b32_e32 v2, 0x4000, v30
	s_xor_b32 s11, s2, -1
	s_delay_alu instid0(VALU_DEP_1) | instskip(SKIP_1) | instid1(SALU_CYCLE_1)
	v_cmp_ne_u32_e32 vcc_lo, 0, v2
	s_and_b32 s11, s11, vcc_lo
	s_and_saveexec_b32 s13, s11
	s_cbranch_execz .LBB2_892
; %bb.871:                              ;   in Loop: Header=BB2_817 Depth=2
	s_and_saveexec_b32 s11, s4
	s_delay_alu instid0(SALU_CYCLE_1)
	s_xor_b32 s11, exec_lo, s11
	s_cbranch_execz .LBB2_889
; %bb.872:                              ;   in Loop: Header=BB2_817 Depth=2
	s_and_saveexec_b32 s14, s1
	s_cbranch_execz .LBB2_888
; %bb.873:                              ;   in Loop: Header=BB2_817 Depth=2
	s_mov_b32 s16, exec_lo
	s_mov_b32 s15, exec_lo
	v_mbcnt_lo_u32_b32 v2, s16, 0
	s_waitcnt lgkmcnt(0)
	s_waitcnt_vscnt null, 0x0
	buffer_gl1_inv
	buffer_gl0_inv
	v_cmpx_eq_u32_e32 0, v2
	s_cbranch_execz .LBB2_875
; %bb.874:                              ;   in Loop: Header=BB2_817 Depth=2
	s_bcnt1_i32_b32 s16, s16
	s_delay_alu instid0(SALU_CYCLE_1)
	v_mov_b32_e32 v2, s16
	ds_add_u64 v0, v[2:3]
	s_cbranch_execnz .LBB2_2424
.LBB2_875:                              ;   in Loop: Header=BB2_817 Depth=2
	s_or_b32 exec_lo, exec_lo, s15
	s_cbranch_execnz .LBB2_2396
; %bb.876:                              ;   in Loop: Header=BB2_817 Depth=2
	ds_load_b64 v[9:10], v0
	v_add_co_u32 v32, vcc_lo, v32, v99
	v_add_co_ci_u32_e32 v33, vcc_lo, 0, v33, vcc_lo
	s_mov_b32 s15, exec_lo
	s_waitcnt lgkmcnt(0)
	s_delay_alu instid0(VALU_DEP_1)
	v_cmpx_lt_u64_e64 v[9:10], v[32:33]
	s_cbranch_execz .LBB2_887
; %bb.877:                              ;   in Loop: Header=BB2_817 Depth=2
	s_mov_b32 s16, 0
	s_mov_b32 s31, 0
                                        ; implicit-def: $sgpr24
                                        ; implicit-def: $sgpr30
	s_branch .LBB2_879
.LBB2_878:                              ;   in Loop: Header=BB2_879 Depth=3
	s_or_b32 exec_lo, exec_lo, s35
	s_delay_alu instid0(SALU_CYCLE_1) | instskip(NEXT) | instid1(SALU_CYCLE_1)
	s_and_b32 vcc_lo, exec_lo, vcc_lo
	s_or_b32 s16, vcc_lo, s16
	s_and_not1_b32 s24, s24, exec_lo
	s_and_b32 vcc_lo, s30, exec_lo
	s_delay_alu instid0(SALU_CYCLE_1)
	s_or_b32 s24, s24, vcc_lo
	s_and_not1_b32 exec_lo, exec_lo, s16
	s_cbranch_execz .LBB2_885
.LBB2_879:                              ;   Parent Loop BB2_51 Depth=1
                                        ;     Parent Loop BB2_817 Depth=2
                                        ; =>    This Inner Loop Header: Depth=3
	s_add_i32 s31, s31, 1
                                        ; implicit-def: $sgpr35
	s_delay_alu instid0(SALU_CYCLE_1) | instskip(SKIP_1) | instid1(SALU_CYCLE_1)
	s_cmpk_lg_i32 s31, 0x2710
	s_cselect_b32 s34, -1, 0
	s_and_b32 vcc_lo, exec_lo, s34
	s_cbranch_vccz .LBB2_883
.LBB2_880:                              ;   in Loop: Header=BB2_879 Depth=3
	s_and_not1_b32 s30, s30, exec_lo
	s_and_b32 s35, s35, exec_lo
	s_mov_b32 vcc_lo, -1
	s_or_b32 s30, s30, s35
	s_and_saveexec_b32 s35, s34
	s_cbranch_execz .LBB2_878
; %bb.881:                              ;   in Loop: Header=BB2_879 Depth=3
	s_sleep 1
	s_cbranch_execnz .LBB2_2484
; %bb.882:                              ;   in Loop: Header=BB2_879 Depth=3
	ds_load_b64 v[9:10], v0
	s_and_not1_b32 s30, s30, exec_lo
	s_waitcnt lgkmcnt(0)
	v_cmp_ge_u64_e32 vcc_lo, v[9:10], v[32:33]
	s_or_not1_b32 vcc_lo, vcc_lo, exec_lo
	s_branch .LBB2_878
.LBB2_883:                              ;   in Loop: Header=BB2_879 Depth=3
	s_cbranch_execnz .LBB2_2498
; %bb.884:                              ;   in Loop: Header=BB2_879 Depth=3
	ds_load_b64 v[9:10], v0
	s_and_not1_b32 s34, s34, exec_lo
	s_mov_b32 s31, 0
	s_mov_b32 s35, -1
	s_waitcnt lgkmcnt(0)
	flat_load_b32 v2, v[9:10] glc
	s_waitcnt vmcnt(0) lgkmcnt(0)
	buffer_gl1_inv
	buffer_gl0_inv
	v_cmp_eq_u32_e32 vcc_lo, 0, v2
	s_and_b32 vcc_lo, vcc_lo, exec_lo
	s_delay_alu instid0(SALU_CYCLE_1)
	s_or_b32 s34, s34, vcc_lo
	s_branch .LBB2_880
.LBB2_885:                              ;   in Loop: Header=BB2_817 Depth=2
	s_or_b32 exec_lo, exec_lo, s16
	s_and_saveexec_b32 s16, s24
	s_delay_alu instid0(SALU_CYCLE_1)
	s_xor_b32 s16, exec_lo, s16
	s_cbranch_execz .LBB2_887
; %bb.886:                              ;   in Loop: Header=BB2_817 Depth=2
	ds_store_b32 v0, v133
	s_cbranch_execnz .LBB2_2664
.LBB2_887:                              ;   in Loop: Header=BB2_817 Depth=2
	s_or_b32 exec_lo, exec_lo, s15
	;;#ASMSTART
	s_wakeup
	;;#ASMEND
.LBB2_888:                              ;   in Loop: Header=BB2_817 Depth=2
	s_or_b32 exec_lo, exec_lo, s14
.LBB2_889:                              ;   in Loop: Header=BB2_817 Depth=2
	s_and_not1_saveexec_b32 s11, s11
	s_cbranch_execz .LBB2_891
; %bb.890:                              ;   in Loop: Header=BB2_817 Depth=2
	s_waitcnt lgkmcnt(0)
	s_waitcnt_vscnt null, 0x0
	buffer_gl1_inv
	buffer_gl0_inv
	s_barrier
.LBB2_891:                              ;   in Loop: Header=BB2_817 Depth=2
	s_or_b32 exec_lo, exec_lo, s11
.LBB2_892:                              ;   in Loop: Header=BB2_817 Depth=2
	s_delay_alu instid0(SALU_CYCLE_1)
	s_or_b32 exec_lo, exec_lo, s13
	s_cbranch_execnz .LBB2_2290
; %bb.893:                              ;   in Loop: Header=BB2_817 Depth=2
	ds_load_b64 v[9:10], v0
	v_mov_b32_e32 v65, 0
	s_waitcnt lgkmcnt(0)
	v_cmp_eq_u64_e32 vcc_lo, 0, v[9:10]
	s_or_b32 s11, vcc_lo, vcc_lo
	s_delay_alu instid0(SALU_CYCLE_1)
	s_and_b32 vcc_lo, exec_lo, s11
	s_cbranch_vccnz .LBB2_1474
; %bb.894:                              ;   in Loop: Header=BB2_817 Depth=2
	v_cmp_eq_u32_e32 vcc_lo, 0, v8
	s_cbranch_execnz .LBB2_2352
; %bb.895:                              ;   in Loop: Header=BB2_817 Depth=2
	ds_load_b64 v[8:9], v0
	v_cndmask_b32_e32 v65, 0, v64, vcc_lo
	s_mov_b32 s11, -1
	s_delay_alu instid0(VALU_DEP_1)
	v_lshlrev_b32_e32 v2, 1, v65
	s_waitcnt lgkmcnt(0)
	v_cmp_ne_u64_e32 vcc_lo, 0, v[8:9]
	v_readfirstlane_b32 s30, v8
	s_cbranch_vccz .LBB2_1187
; %bb.896:                              ;   in Loop: Header=BB2_817 Depth=2
	s_and_saveexec_b32 s13, s12
	s_cbranch_execz .LBB2_898
; %bb.897:                              ;   in Loop: Header=BB2_817 Depth=2
	ds_load_b32 v8, v0 offset:720
	s_waitcnt lgkmcnt(0)
	v_and_b32_e32 v8, 15, v8
	s_delay_alu instid0(VALU_DEP_1)
	v_cmp_eq_u32_e32 vcc_lo, 0, v8
	s_or_not1_b32 s11, vcc_lo, exec_lo
.LBB2_898:                              ;   in Loop: Header=BB2_817 Depth=2
	s_or_b32 exec_lo, exec_lo, s13
	s_and_saveexec_b32 s13, s12
	s_cbranch_execz .LBB2_900
; %bb.899:                              ;   in Loop: Header=BB2_817 Depth=2
	ds_load_b32 v8, v0 offset:784
	s_waitcnt lgkmcnt(0)
	v_and_b32_e32 v8, 15, v8
	s_delay_alu instid0(VALU_DEP_1) | instskip(SKIP_3) | instid1(SALU_CYCLE_1)
	v_cmp_eq_u32_e32 vcc_lo, 0, v8
	s_and_b32 s14, s11, vcc_lo
	s_and_not1_b32 s11, s11, exec_lo
	s_and_b32 s14, s14, exec_lo
	s_or_b32 s11, s11, s14
.LBB2_900:                              ;   in Loop: Header=BB2_817 Depth=2
	s_or_b32 exec_lo, exec_lo, s13
	s_xor_b32 s11, s11, -1
	v_dual_mov_b32 v70, 0 :: v_dual_mov_b32 v71, v2
	v_cndmask_b32_e64 v8, 0, 1, s11
	;;#ASMSTART
	;;#ASMEND
	s_delay_alu instid0(VALU_DEP_1)
	v_cmp_ne_u32_e32 vcc_lo, 0, v8
	v_mov_b32_e32 v80, v0
	v_mov_b32_e32 v8, v97
	s_mov_b32 s11, -1
	s_cbranch_vccnz .LBB2_1112
; %bb.901:                              ;   in Loop: Header=BB2_817 Depth=2
	v_ashrrev_i32_e32 v8, 31, v2
	v_sub_nc_u32_e32 v135, v2, v130
	s_mov_b32 s31, exec_lo
	s_delay_alu instid0(VALU_DEP_2) | instskip(NEXT) | instid1(VALU_DEP_1)
	v_lshrrev_b32_e32 v8, 23, v8
	v_add_nc_u32_e32 v8, v2, v8
	s_delay_alu instid0(VALU_DEP_1) | instskip(SKIP_1) | instid1(VALU_DEP_2)
	v_and_b32_e32 v67, 0xfffffe00, v8
	v_ashrrev_i32_e32 v8, 9, v8
	v_sub_nc_u32_e32 v144, v2, v67
	s_delay_alu instid0(VALU_DEP_1) | instskip(NEXT) | instid1(VALU_DEP_1)
	v_cmp_lt_i32_e64 s13, 15, v144
	v_add_co_ci_u32_e64 v145, vcc_lo, v8, v131, s13
	v_cmpx_lt_i32_e32 15, v135
	s_cbranch_execz .LBB2_1004
; %bb.902:                              ;   in Loop: Header=BB2_817 Depth=2
	s_cbranch_execnz .LBB2_2518
; %bb.903:                              ;   in Loop: Header=BB2_817 Depth=2
	ds_load_b128 v[8:11], v0
	s_bitcmp1_b32 s30, 0
	s_mov_b32 s34, 0
	s_cselect_b32 s35, -1, 0
	s_waitcnt lgkmcnt(0)
	v_add_co_u32 v70, vcc_lo, v8, v130
	v_add_co_ci_u32_e32 v71, vcc_lo, v9, v132, vcc_lo
	v_add_co_u32 v80, vcc_lo, v10, v130
	v_add_co_ci_u32_e32 v81, vcc_lo, v11, v132, vcc_lo
	s_delay_alu instid0(VALU_DEP_3) | instskip(NEXT) | instid1(VALU_DEP_2)
	v_dual_mov_b32 v83, v71 :: v_dual_mov_b32 v82, v70
	v_dual_mov_b32 v85, v81 :: v_dual_mov_b32 v84, v80
.LBB2_904:                              ;   Parent Loop BB2_51 Depth=1
                                        ;     Parent Loop BB2_817 Depth=2
                                        ; =>    This Loop Header: Depth=3
                                        ;         Child Loop BB2_1001 Depth 4
	global_load_b128 v[12:15], v[82:83], off slc dlc
	global_load_b128 v[8:11], v[84:85], off slc dlc
	s_mov_b32 s16, -1
	s_and_b32 vcc_lo, exec_lo, s35
	s_waitcnt vmcnt(1)
	v_and_b32_e32 v146, 0x7fff, v12
	s_waitcnt vmcnt(0)
	v_and_b32_e32 v147, 0x7fff, v8
	v_perm_b32 v148, v8, v12, 0x5040100
	s_delay_alu instid0(VALU_DEP_3) | instskip(NEXT) | instid1(VALU_DEP_3)
	v_cmp_lt_u16_e64 s14, 0x7c00, v146
	v_cmp_gt_u16_e64 s15, 0x7c01, v147
                                        ; implicit-def: $vgpr146
	s_delay_alu instid0(VALU_DEP_1) | instskip(NEXT) | instid1(SALU_CYCLE_1)
	s_and_b32 s11, s14, s15
	s_xor_b32 s11, s11, -1
	s_cbranch_vccz .LBB2_910
; %bb.905:                              ;   in Loop: Header=BB2_904 Depth=3
	v_mov_b32_e32 v146, v8
	s_and_saveexec_b32 s24, s11
	s_cbranch_execz .LBB2_909
; %bb.906:                              ;   in Loop: Header=BB2_904 Depth=3
	v_mov_b32_e32 v146, v12
	s_or_b32 s16, s14, s15
	s_delay_alu instid0(SALU_CYCLE_1)
	s_and_saveexec_b32 s36, s16
; %bb.907:                              ;   in Loop: Header=BB2_904 Depth=3
	v_lshrrev_b32_e32 v146, 16, v148
	v_cmp_lt_u16_e64 vcc_lo, 0x7c00, v147
	s_delay_alu instid0(VALU_DEP_2) | instskip(NEXT) | instid1(VALU_DEP_1)
	v_cmp_gt_f16_e64 s16, v148, v146
	v_cndmask_b32_e64 v146, v146, v148, s16
	s_delay_alu instid0(VALU_DEP_3)
	s_and_b32 s16, s14, vcc_lo
	s_delay_alu instid0(VALU_DEP_1) | instid1(SALU_CYCLE_1)
	v_cndmask_b32_e64 v146, v146, 0x7fff, s16
; %bb.908:                              ;   in Loop: Header=BB2_904 Depth=3
	s_or_b32 exec_lo, exec_lo, s36
.LBB2_909:                              ;   in Loop: Header=BB2_904 Depth=3
	s_delay_alu instid0(SALU_CYCLE_1)
	s_or_b32 exec_lo, exec_lo, s24
	s_mov_b32 s16, 0
.LBB2_910:                              ;   in Loop: Header=BB2_904 Depth=3
	s_delay_alu instid0(SALU_CYCLE_1)
	s_and_not1_b32 vcc_lo, exec_lo, s16
	s_cbranch_vccnz .LBB2_916
; %bb.911:                              ;   in Loop: Header=BB2_904 Depth=3
	v_mov_b32_e32 v146, v8
	s_and_saveexec_b32 s16, s11
	s_cbranch_execz .LBB2_915
; %bb.912:                              ;   in Loop: Header=BB2_904 Depth=3
	v_mov_b32_e32 v146, v12
	s_or_b32 s15, s14, s15
	s_delay_alu instid0(SALU_CYCLE_1)
	s_and_saveexec_b32 s11, s15
; %bb.913:                              ;   in Loop: Header=BB2_904 Depth=3
	v_lshrrev_b32_e32 v146, 16, v148
	v_cmp_lt_u16_e64 vcc_lo, 0x7c00, v147
	s_delay_alu instid0(VALU_DEP_2) | instskip(NEXT) | instid1(VALU_DEP_2)
	v_cmp_gt_f16_e64 s15, v148, v146
	s_and_b32 s14, s14, vcc_lo
	s_delay_alu instid0(VALU_DEP_1) | instskip(NEXT) | instid1(VALU_DEP_1)
	v_cndmask_b32_e64 v146, v148, v146, s15
	v_cndmask_b32_e64 v146, v146, 0x7fff, s14
; %bb.914:                              ;   in Loop: Header=BB2_904 Depth=3
	s_or_b32 exec_lo, exec_lo, s11
.LBB2_915:                              ;   in Loop: Header=BB2_904 Depth=3
	s_delay_alu instid0(SALU_CYCLE_1)
	s_or_b32 exec_lo, exec_lo, s16
.LBB2_916:                              ;   in Loop: Header=BB2_904 Depth=3
	v_mov_b32_e32 v150, v12
	v_mov_b32_e32 v12, v13
	;; [unrolled: 1-line block ×3, first 2 shown]
	s_mov_b32 s16, -1
	s_and_b32 vcc_lo, exec_lo, s35
	v_lshrrev_b32_e32 v147, 16, v150
	s_delay_alu instid0(VALU_DEP_1) | instskip(NEXT) | instid1(VALU_DEP_1)
	v_dual_mov_b32 v151, v8 :: v_dual_and_b32 v8, 0x7fff, v147
	v_lshrrev_b32_e32 v149, 16, v151
	v_perm_b32 v9, v151, v150, 0x7060302
	s_delay_alu instid0(VALU_DEP_3) | instskip(NEXT) | instid1(VALU_DEP_3)
	v_cmp_lt_u16_e64 s14, 0x7c00, v8
	v_and_b32_e32 v148, 0x7fff, v149
                                        ; implicit-def: $vgpr8
	s_delay_alu instid0(VALU_DEP_1) | instskip(NEXT) | instid1(VALU_DEP_1)
	v_cmp_gt_u16_e64 s15, 0x7c01, v148
	s_and_b32 s11, s14, s15
	s_delay_alu instid0(SALU_CYCLE_1)
	s_xor_b32 s11, s11, -1
	s_cbranch_vccz .LBB2_922
; %bb.917:                              ;   in Loop: Header=BB2_904 Depth=3
	v_mov_b32_e32 v8, v149
	s_and_saveexec_b32 s24, s11
	s_cbranch_execz .LBB2_921
; %bb.918:                              ;   in Loop: Header=BB2_904 Depth=3
	v_mov_b32_e32 v8, v147
	s_or_b32 s16, s14, s15
	s_delay_alu instid0(SALU_CYCLE_1)
	s_and_saveexec_b32 s36, s16
; %bb.919:                              ;   in Loop: Header=BB2_904 Depth=3
	v_lshrrev_b32_e32 v8, 16, v9
	v_cmp_lt_u16_e64 vcc_lo, 0x7c00, v148
	s_delay_alu instid0(VALU_DEP_2) | instskip(NEXT) | instid1(VALU_DEP_1)
	v_cmp_gt_f16_e64 s16, v9, v8
	v_cndmask_b32_e64 v8, v8, v9, s16
	s_delay_alu instid0(VALU_DEP_3)
	s_and_b32 s16, s14, vcc_lo
	s_delay_alu instid0(VALU_DEP_1) | instid1(SALU_CYCLE_1)
	v_cndmask_b32_e64 v8, v8, 0x7fff, s16
; %bb.920:                              ;   in Loop: Header=BB2_904 Depth=3
	s_or_b32 exec_lo, exec_lo, s36
.LBB2_921:                              ;   in Loop: Header=BB2_904 Depth=3
	s_delay_alu instid0(SALU_CYCLE_1)
	s_or_b32 exec_lo, exec_lo, s24
	s_mov_b32 s16, 0
.LBB2_922:                              ;   in Loop: Header=BB2_904 Depth=3
	s_delay_alu instid0(SALU_CYCLE_1)
	s_and_not1_b32 vcc_lo, exec_lo, s16
	s_cbranch_vccnz .LBB2_928
; %bb.923:                              ;   in Loop: Header=BB2_904 Depth=3
	s_and_saveexec_b32 s16, s11
	s_cbranch_execz .LBB2_927
; %bb.924:                              ;   in Loop: Header=BB2_904 Depth=3
	s_or_b32 s15, s14, s15
	s_delay_alu instid0(SALU_CYCLE_1)
	s_and_saveexec_b32 s11, s15
; %bb.925:                              ;   in Loop: Header=BB2_904 Depth=3
	v_lshrrev_b32_e32 v8, 16, v9
	v_cmp_lt_u16_e64 vcc_lo, 0x7c00, v148
	s_delay_alu instid0(VALU_DEP_2) | instskip(NEXT) | instid1(VALU_DEP_2)
	v_cmp_gt_f16_e64 s15, v9, v8
	s_and_b32 s14, s14, vcc_lo
	s_delay_alu instid0(VALU_DEP_1) | instskip(NEXT) | instid1(VALU_DEP_1)
	v_cndmask_b32_e64 v8, v9, v8, s15
	v_cndmask_b32_e64 v147, v8, 0x7fff, s14
; %bb.926:                              ;   in Loop: Header=BB2_904 Depth=3
	s_or_b32 exec_lo, exec_lo, s11
	s_delay_alu instid0(VALU_DEP_1)
	v_mov_b32_e32 v149, v147
.LBB2_927:                              ;   in Loop: Header=BB2_904 Depth=3
	s_or_b32 exec_lo, exec_lo, s16
	s_delay_alu instid0(VALU_DEP_1)
	v_mov_b32_e32 v8, v149
.LBB2_928:                              ;   in Loop: Header=BB2_904 Depth=3
	v_and_b32_e32 v9, 0x7fff, v12
	v_and_b32_e32 v147, 0x7fff, v13
	v_perm_b32 v148, v13, v12, 0x5040100
	s_mov_b32 s16, -1
	s_and_b32 vcc_lo, exec_lo, s35
	v_cmp_lt_u16_e64 s14, 0x7c00, v9
	v_cmp_gt_u16_e64 s15, 0x7c01, v147
                                        ; implicit-def: $vgpr9
	s_delay_alu instid0(VALU_DEP_1) | instskip(NEXT) | instid1(SALU_CYCLE_1)
	s_and_b32 s11, s14, s15
	s_xor_b32 s11, s11, -1
	s_cbranch_vccz .LBB2_934
; %bb.929:                              ;   in Loop: Header=BB2_904 Depth=3
	v_mov_b32_e32 v9, v13
	s_and_saveexec_b32 s24, s11
	s_cbranch_execz .LBB2_933
; %bb.930:                              ;   in Loop: Header=BB2_904 Depth=3
	v_mov_b32_e32 v9, v12
	s_or_b32 s16, s14, s15
	s_delay_alu instid0(SALU_CYCLE_1)
	s_and_saveexec_b32 s36, s16
; %bb.931:                              ;   in Loop: Header=BB2_904 Depth=3
	v_lshrrev_b32_e32 v9, 16, v148
	v_cmp_lt_u16_e64 vcc_lo, 0x7c00, v147
	s_delay_alu instid0(VALU_DEP_2) | instskip(NEXT) | instid1(VALU_DEP_1)
	v_cmp_gt_f16_e64 s16, v148, v9
	v_cndmask_b32_e64 v9, v9, v148, s16
	s_delay_alu instid0(VALU_DEP_3)
	s_and_b32 s16, s14, vcc_lo
	s_delay_alu instid0(VALU_DEP_1) | instid1(SALU_CYCLE_1)
	v_cndmask_b32_e64 v9, v9, 0x7fff, s16
; %bb.932:                              ;   in Loop: Header=BB2_904 Depth=3
	s_or_b32 exec_lo, exec_lo, s36
.LBB2_933:                              ;   in Loop: Header=BB2_904 Depth=3
	s_delay_alu instid0(SALU_CYCLE_1)
	s_or_b32 exec_lo, exec_lo, s24
	s_mov_b32 s16, 0
.LBB2_934:                              ;   in Loop: Header=BB2_904 Depth=3
	s_delay_alu instid0(SALU_CYCLE_1)
	s_and_not1_b32 vcc_lo, exec_lo, s16
	s_cbranch_vccnz .LBB2_940
; %bb.935:                              ;   in Loop: Header=BB2_904 Depth=3
	v_mov_b32_e32 v9, v13
	s_and_saveexec_b32 s16, s11
	s_cbranch_execz .LBB2_939
; %bb.936:                              ;   in Loop: Header=BB2_904 Depth=3
	v_mov_b32_e32 v9, v12
	s_or_b32 s15, s14, s15
	s_delay_alu instid0(SALU_CYCLE_1)
	s_and_saveexec_b32 s11, s15
; %bb.937:                              ;   in Loop: Header=BB2_904 Depth=3
	v_lshrrev_b32_e32 v9, 16, v148
	v_cmp_lt_u16_e64 vcc_lo, 0x7c00, v147
	s_delay_alu instid0(VALU_DEP_2) | instskip(NEXT) | instid1(VALU_DEP_2)
	v_cmp_gt_f16_e64 s15, v148, v9
	s_and_b32 s14, s14, vcc_lo
	s_delay_alu instid0(VALU_DEP_1) | instskip(NEXT) | instid1(VALU_DEP_1)
	v_cndmask_b32_e64 v9, v148, v9, s15
	v_cndmask_b32_e64 v9, v9, 0x7fff, s14
; %bb.938:                              ;   in Loop: Header=BB2_904 Depth=3
	s_or_b32 exec_lo, exec_lo, s11
.LBB2_939:                              ;   in Loop: Header=BB2_904 Depth=3
	s_delay_alu instid0(SALU_CYCLE_1)
	s_or_b32 exec_lo, exec_lo, s16
.LBB2_940:                              ;   in Loop: Header=BB2_904 Depth=3
	v_lshrrev_b32_e32 v147, 16, v12
	v_lshrrev_b32_e32 v149, 16, v13
	v_perm_b32 v13, v13, v12, 0x7060302
	s_mov_b32 s16, -1
	s_and_b32 vcc_lo, exec_lo, s35
	v_and_b32_e32 v150, 0x7fff, v147
	v_and_b32_e32 v148, 0x7fff, v149
                                        ; implicit-def: $vgpr12
	s_delay_alu instid0(VALU_DEP_2) | instskip(NEXT) | instid1(VALU_DEP_2)
	v_cmp_lt_u16_e64 s14, 0x7c00, v150
	v_cmp_gt_u16_e64 s15, 0x7c01, v148
	s_delay_alu instid0(VALU_DEP_1) | instskip(NEXT) | instid1(SALU_CYCLE_1)
	s_and_b32 s11, s14, s15
	s_xor_b32 s11, s11, -1
	s_cbranch_vccz .LBB2_946
; %bb.941:                              ;   in Loop: Header=BB2_904 Depth=3
	v_mov_b32_e32 v12, v149
	s_and_saveexec_b32 s24, s11
	s_cbranch_execz .LBB2_945
; %bb.942:                              ;   in Loop: Header=BB2_904 Depth=3
	v_mov_b32_e32 v12, v147
	s_or_b32 s16, s14, s15
	s_delay_alu instid0(SALU_CYCLE_1)
	s_and_saveexec_b32 s36, s16
; %bb.943:                              ;   in Loop: Header=BB2_904 Depth=3
	v_lshrrev_b32_e32 v12, 16, v13
	v_cmp_lt_u16_e64 vcc_lo, 0x7c00, v148
	s_delay_alu instid0(VALU_DEP_2) | instskip(NEXT) | instid1(VALU_DEP_1)
	v_cmp_gt_f16_e64 s16, v13, v12
	v_cndmask_b32_e64 v12, v12, v13, s16
	s_delay_alu instid0(VALU_DEP_3)
	s_and_b32 s16, s14, vcc_lo
	s_delay_alu instid0(VALU_DEP_1) | instid1(SALU_CYCLE_1)
	v_cndmask_b32_e64 v12, v12, 0x7fff, s16
; %bb.944:                              ;   in Loop: Header=BB2_904 Depth=3
	s_or_b32 exec_lo, exec_lo, s36
.LBB2_945:                              ;   in Loop: Header=BB2_904 Depth=3
	s_delay_alu instid0(SALU_CYCLE_1)
	s_or_b32 exec_lo, exec_lo, s24
	s_mov_b32 s16, 0
.LBB2_946:                              ;   in Loop: Header=BB2_904 Depth=3
	s_delay_alu instid0(SALU_CYCLE_1)
	s_and_not1_b32 vcc_lo, exec_lo, s16
	s_cbranch_vccnz .LBB2_952
; %bb.947:                              ;   in Loop: Header=BB2_904 Depth=3
	s_and_saveexec_b32 s16, s11
	s_cbranch_execz .LBB2_951
; %bb.948:                              ;   in Loop: Header=BB2_904 Depth=3
	s_or_b32 s15, s14, s15
	s_delay_alu instid0(SALU_CYCLE_1)
	s_and_saveexec_b32 s11, s15
; %bb.949:                              ;   in Loop: Header=BB2_904 Depth=3
	v_lshrrev_b32_e32 v12, 16, v13
	v_cmp_lt_u16_e64 vcc_lo, 0x7c00, v148
	s_delay_alu instid0(VALU_DEP_2) | instskip(NEXT) | instid1(VALU_DEP_2)
	v_cmp_gt_f16_e64 s15, v13, v12
	s_and_b32 s14, s14, vcc_lo
	s_delay_alu instid0(VALU_DEP_1) | instskip(NEXT) | instid1(VALU_DEP_1)
	v_cndmask_b32_e64 v12, v13, v12, s15
	v_cndmask_b32_e64 v147, v12, 0x7fff, s14
; %bb.950:                              ;   in Loop: Header=BB2_904 Depth=3
	s_or_b32 exec_lo, exec_lo, s11
	s_delay_alu instid0(VALU_DEP_1)
	v_mov_b32_e32 v149, v147
.LBB2_951:                              ;   in Loop: Header=BB2_904 Depth=3
	s_or_b32 exec_lo, exec_lo, s16
	s_delay_alu instid0(VALU_DEP_1)
	v_mov_b32_e32 v12, v149
.LBB2_952:                              ;   in Loop: Header=BB2_904 Depth=3
	v_and_b32_e32 v13, 0x7fff, v14
	v_and_b32_e32 v147, 0x7fff, v10
	v_perm_b32 v148, v10, v14, 0x5040100
	s_mov_b32 s16, -1
	s_and_b32 vcc_lo, exec_lo, s35
	v_cmp_lt_u16_e64 s14, 0x7c00, v13
	v_cmp_gt_u16_e64 s15, 0x7c01, v147
                                        ; implicit-def: $vgpr13
	s_delay_alu instid0(VALU_DEP_1) | instskip(NEXT) | instid1(SALU_CYCLE_1)
	s_and_b32 s11, s14, s15
	s_xor_b32 s11, s11, -1
	s_cbranch_vccz .LBB2_958
; %bb.953:                              ;   in Loop: Header=BB2_904 Depth=3
	v_mov_b32_e32 v13, v10
	s_and_saveexec_b32 s24, s11
	s_cbranch_execz .LBB2_957
; %bb.954:                              ;   in Loop: Header=BB2_904 Depth=3
	v_mov_b32_e32 v13, v14
	s_or_b32 s16, s14, s15
	s_delay_alu instid0(SALU_CYCLE_1)
	s_and_saveexec_b32 s36, s16
; %bb.955:                              ;   in Loop: Header=BB2_904 Depth=3
	v_lshrrev_b32_e32 v13, 16, v148
	v_cmp_lt_u16_e64 vcc_lo, 0x7c00, v147
	s_delay_alu instid0(VALU_DEP_2) | instskip(NEXT) | instid1(VALU_DEP_1)
	v_cmp_gt_f16_e64 s16, v148, v13
	v_cndmask_b32_e64 v13, v13, v148, s16
	s_delay_alu instid0(VALU_DEP_3)
	s_and_b32 s16, s14, vcc_lo
	s_delay_alu instid0(VALU_DEP_1) | instid1(SALU_CYCLE_1)
	v_cndmask_b32_e64 v13, v13, 0x7fff, s16
; %bb.956:                              ;   in Loop: Header=BB2_904 Depth=3
	s_or_b32 exec_lo, exec_lo, s36
.LBB2_957:                              ;   in Loop: Header=BB2_904 Depth=3
	s_delay_alu instid0(SALU_CYCLE_1)
	s_or_b32 exec_lo, exec_lo, s24
	s_mov_b32 s16, 0
.LBB2_958:                              ;   in Loop: Header=BB2_904 Depth=3
	s_delay_alu instid0(SALU_CYCLE_1)
	s_and_not1_b32 vcc_lo, exec_lo, s16
	s_cbranch_vccnz .LBB2_964
; %bb.959:                              ;   in Loop: Header=BB2_904 Depth=3
	v_mov_b32_e32 v13, v10
	s_and_saveexec_b32 s16, s11
	s_cbranch_execz .LBB2_963
; %bb.960:                              ;   in Loop: Header=BB2_904 Depth=3
	v_mov_b32_e32 v13, v14
	s_or_b32 s15, s14, s15
	s_delay_alu instid0(SALU_CYCLE_1)
	s_and_saveexec_b32 s11, s15
; %bb.961:                              ;   in Loop: Header=BB2_904 Depth=3
	v_lshrrev_b32_e32 v13, 16, v148
	v_cmp_lt_u16_e64 vcc_lo, 0x7c00, v147
	s_delay_alu instid0(VALU_DEP_2) | instskip(NEXT) | instid1(VALU_DEP_2)
	v_cmp_gt_f16_e64 s15, v148, v13
	s_and_b32 s14, s14, vcc_lo
	s_delay_alu instid0(VALU_DEP_1) | instskip(NEXT) | instid1(VALU_DEP_1)
	v_cndmask_b32_e64 v13, v148, v13, s15
	v_cndmask_b32_e64 v13, v13, 0x7fff, s14
; %bb.962:                              ;   in Loop: Header=BB2_904 Depth=3
	s_or_b32 exec_lo, exec_lo, s11
.LBB2_963:                              ;   in Loop: Header=BB2_904 Depth=3
	s_delay_alu instid0(SALU_CYCLE_1)
	s_or_b32 exec_lo, exec_lo, s16
.LBB2_964:                              ;   in Loop: Header=BB2_904 Depth=3
	v_mov_b32_e32 v150, v14
	v_lshrrev_b32_e32 v149, 16, v10
	s_mov_b32 s16, -1
	s_and_b32 vcc_lo, exec_lo, s35
	s_delay_alu instid0(VALU_DEP_2) | instskip(NEXT) | instid1(VALU_DEP_2)
	v_lshrrev_b32_e32 v147, 16, v150
	v_and_b32_e32 v148, 0x7fff, v149
	v_perm_b32 v10, v10, v150, 0x7060302
	s_delay_alu instid0(VALU_DEP_3) | instskip(NEXT) | instid1(VALU_DEP_3)
	v_and_b32_e32 v14, 0x7fff, v147
	v_cmp_gt_u16_e64 s15, 0x7c01, v148
	s_delay_alu instid0(VALU_DEP_2) | instskip(NEXT) | instid1(VALU_DEP_1)
	v_cmp_lt_u16_e64 s14, 0x7c00, v14
                                        ; implicit-def: $vgpr14
	s_and_b32 s11, s14, s15
	s_delay_alu instid0(SALU_CYCLE_1)
	s_xor_b32 s11, s11, -1
	s_cbranch_vccz .LBB2_970
; %bb.965:                              ;   in Loop: Header=BB2_904 Depth=3
	v_mov_b32_e32 v14, v149
	s_and_saveexec_b32 s24, s11
	s_cbranch_execz .LBB2_969
; %bb.966:                              ;   in Loop: Header=BB2_904 Depth=3
	v_mov_b32_e32 v14, v147
	s_or_b32 s16, s14, s15
	s_delay_alu instid0(SALU_CYCLE_1)
	s_and_saveexec_b32 s36, s16
; %bb.967:                              ;   in Loop: Header=BB2_904 Depth=3
	v_lshrrev_b32_e32 v14, 16, v10
	v_cmp_lt_u16_e64 vcc_lo, 0x7c00, v148
	s_delay_alu instid0(VALU_DEP_2) | instskip(NEXT) | instid1(VALU_DEP_1)
	v_cmp_gt_f16_e64 s16, v10, v14
	v_cndmask_b32_e64 v14, v14, v10, s16
	s_delay_alu instid0(VALU_DEP_3)
	s_and_b32 s16, s14, vcc_lo
	s_delay_alu instid0(VALU_DEP_1) | instid1(SALU_CYCLE_1)
	v_cndmask_b32_e64 v14, v14, 0x7fff, s16
; %bb.968:                              ;   in Loop: Header=BB2_904 Depth=3
	s_or_b32 exec_lo, exec_lo, s36
.LBB2_969:                              ;   in Loop: Header=BB2_904 Depth=3
	s_delay_alu instid0(SALU_CYCLE_1)
	s_or_b32 exec_lo, exec_lo, s24
	s_mov_b32 s16, 0
.LBB2_970:                              ;   in Loop: Header=BB2_904 Depth=3
	s_delay_alu instid0(SALU_CYCLE_1)
	s_and_not1_b32 vcc_lo, exec_lo, s16
	s_cbranch_vccnz .LBB2_976
; %bb.971:                              ;   in Loop: Header=BB2_904 Depth=3
	s_and_saveexec_b32 s16, s11
	s_cbranch_execz .LBB2_975
; %bb.972:                              ;   in Loop: Header=BB2_904 Depth=3
	s_or_b32 s15, s14, s15
	s_delay_alu instid0(SALU_CYCLE_1)
	s_and_saveexec_b32 s11, s15
; %bb.973:                              ;   in Loop: Header=BB2_904 Depth=3
	v_lshrrev_b32_e32 v14, 16, v10
	v_cmp_lt_u16_e64 vcc_lo, 0x7c00, v148
	s_delay_alu instid0(VALU_DEP_2) | instskip(NEXT) | instid1(VALU_DEP_2)
	v_cmp_gt_f16_e64 s15, v10, v14
	s_and_b32 s14, s14, vcc_lo
	s_delay_alu instid0(VALU_DEP_1) | instskip(NEXT) | instid1(VALU_DEP_1)
	v_cndmask_b32_e64 v10, v10, v14, s15
	v_cndmask_b32_e64 v147, v10, 0x7fff, s14
; %bb.974:                              ;   in Loop: Header=BB2_904 Depth=3
	s_or_b32 exec_lo, exec_lo, s11
	s_delay_alu instid0(VALU_DEP_1)
	v_mov_b32_e32 v149, v147
.LBB2_975:                              ;   in Loop: Header=BB2_904 Depth=3
	s_or_b32 exec_lo, exec_lo, s16
	s_delay_alu instid0(VALU_DEP_1)
	v_mov_b32_e32 v14, v149
.LBB2_976:                              ;   in Loop: Header=BB2_904 Depth=3
	v_and_b32_e32 v10, 0x7fff, v15
	v_and_b32_e32 v147, 0x7fff, v11
	v_perm_b32 v148, v11, v15, 0x5040100
	s_mov_b32 s16, -1
	s_and_b32 vcc_lo, exec_lo, s35
	v_cmp_lt_u16_e64 s14, 0x7c00, v10
	v_cmp_gt_u16_e64 s15, 0x7c01, v147
                                        ; implicit-def: $vgpr10
	s_delay_alu instid0(VALU_DEP_1) | instskip(NEXT) | instid1(SALU_CYCLE_1)
	s_and_b32 s11, s14, s15
	s_xor_b32 s11, s11, -1
	s_cbranch_vccz .LBB2_982
; %bb.977:                              ;   in Loop: Header=BB2_904 Depth=3
	v_mov_b32_e32 v10, v11
	s_and_saveexec_b32 s24, s11
	s_cbranch_execz .LBB2_981
; %bb.978:                              ;   in Loop: Header=BB2_904 Depth=3
	v_mov_b32_e32 v10, v15
	s_or_b32 s16, s14, s15
	s_delay_alu instid0(SALU_CYCLE_1)
	s_and_saveexec_b32 s36, s16
; %bb.979:                              ;   in Loop: Header=BB2_904 Depth=3
	v_lshrrev_b32_e32 v10, 16, v148
	v_cmp_lt_u16_e64 vcc_lo, 0x7c00, v147
	s_delay_alu instid0(VALU_DEP_2) | instskip(NEXT) | instid1(VALU_DEP_1)
	v_cmp_gt_f16_e64 s16, v148, v10
	v_cndmask_b32_e64 v10, v10, v148, s16
	s_delay_alu instid0(VALU_DEP_3)
	s_and_b32 s16, s14, vcc_lo
	s_delay_alu instid0(VALU_DEP_1) | instid1(SALU_CYCLE_1)
	v_cndmask_b32_e64 v10, v10, 0x7fff, s16
; %bb.980:                              ;   in Loop: Header=BB2_904 Depth=3
	s_or_b32 exec_lo, exec_lo, s36
.LBB2_981:                              ;   in Loop: Header=BB2_904 Depth=3
	s_delay_alu instid0(SALU_CYCLE_1)
	s_or_b32 exec_lo, exec_lo, s24
	s_mov_b32 s16, 0
.LBB2_982:                              ;   in Loop: Header=BB2_904 Depth=3
	s_delay_alu instid0(SALU_CYCLE_1)
	s_and_not1_b32 vcc_lo, exec_lo, s16
	s_cbranch_vccnz .LBB2_988
; %bb.983:                              ;   in Loop: Header=BB2_904 Depth=3
	v_mov_b32_e32 v10, v11
	s_and_saveexec_b32 s16, s11
	s_cbranch_execz .LBB2_987
; %bb.984:                              ;   in Loop: Header=BB2_904 Depth=3
	v_mov_b32_e32 v10, v15
	s_or_b32 s15, s14, s15
	s_delay_alu instid0(SALU_CYCLE_1)
	s_and_saveexec_b32 s11, s15
; %bb.985:                              ;   in Loop: Header=BB2_904 Depth=3
	v_lshrrev_b32_e32 v10, 16, v148
	v_cmp_lt_u16_e64 vcc_lo, 0x7c00, v147
	s_delay_alu instid0(VALU_DEP_2) | instskip(NEXT) | instid1(VALU_DEP_2)
	v_cmp_gt_f16_e64 s15, v148, v10
	s_and_b32 s14, s14, vcc_lo
	s_delay_alu instid0(VALU_DEP_1) | instskip(NEXT) | instid1(VALU_DEP_1)
	v_cndmask_b32_e64 v10, v148, v10, s15
	v_cndmask_b32_e64 v10, v10, 0x7fff, s14
; %bb.986:                              ;   in Loop: Header=BB2_904 Depth=3
	s_or_b32 exec_lo, exec_lo, s11
.LBB2_987:                              ;   in Loop: Header=BB2_904 Depth=3
	s_delay_alu instid0(SALU_CYCLE_1)
	s_or_b32 exec_lo, exec_lo, s16
.LBB2_988:                              ;   in Loop: Header=BB2_904 Depth=3
	v_lshrrev_b32_e32 v147, 16, v15
	v_lshrrev_b32_e32 v149, 16, v11
	v_perm_b32 v11, v11, v15, 0x7060302
	s_mov_b32 s16, -1
	s_and_b32 vcc_lo, exec_lo, s35
	v_and_b32_e32 v150, 0x7fff, v147
	v_and_b32_e32 v148, 0x7fff, v149
                                        ; implicit-def: $vgpr15
	s_delay_alu instid0(VALU_DEP_2) | instskip(NEXT) | instid1(VALU_DEP_2)
	v_cmp_lt_u16_e64 s14, 0x7c00, v150
	v_cmp_gt_u16_e64 s15, 0x7c01, v148
	s_delay_alu instid0(VALU_DEP_1) | instskip(NEXT) | instid1(SALU_CYCLE_1)
	s_and_b32 s11, s14, s15
	s_xor_b32 s11, s11, -1
	s_cbranch_vccz .LBB2_994
; %bb.989:                              ;   in Loop: Header=BB2_904 Depth=3
	v_mov_b32_e32 v15, v149
	s_and_saveexec_b32 s24, s11
	s_cbranch_execz .LBB2_993
; %bb.990:                              ;   in Loop: Header=BB2_904 Depth=3
	v_mov_b32_e32 v15, v147
	s_or_b32 s16, s14, s15
	s_delay_alu instid0(SALU_CYCLE_1)
	s_and_saveexec_b32 s36, s16
; %bb.991:                              ;   in Loop: Header=BB2_904 Depth=3
	v_lshrrev_b32_e32 v15, 16, v11
	v_cmp_lt_u16_e64 vcc_lo, 0x7c00, v148
	s_delay_alu instid0(VALU_DEP_2) | instskip(NEXT) | instid1(VALU_DEP_1)
	v_cmp_gt_f16_e64 s16, v11, v15
	v_cndmask_b32_e64 v15, v15, v11, s16
	s_delay_alu instid0(VALU_DEP_3)
	s_and_b32 s16, s14, vcc_lo
	s_delay_alu instid0(VALU_DEP_1) | instid1(SALU_CYCLE_1)
	v_cndmask_b32_e64 v15, v15, 0x7fff, s16
; %bb.992:                              ;   in Loop: Header=BB2_904 Depth=3
	s_or_b32 exec_lo, exec_lo, s36
.LBB2_993:                              ;   in Loop: Header=BB2_904 Depth=3
	s_delay_alu instid0(SALU_CYCLE_1)
	s_or_b32 exec_lo, exec_lo, s24
	s_mov_b32 s16, 0
.LBB2_994:                              ;   in Loop: Header=BB2_904 Depth=3
	s_delay_alu instid0(SALU_CYCLE_1)
	s_and_not1_b32 vcc_lo, exec_lo, s16
	s_cbranch_vccnz .LBB2_1000
; %bb.995:                              ;   in Loop: Header=BB2_904 Depth=3
	s_and_saveexec_b32 s16, s11
	s_cbranch_execz .LBB2_999
; %bb.996:                              ;   in Loop: Header=BB2_904 Depth=3
	s_or_b32 s15, s14, s15
	s_delay_alu instid0(SALU_CYCLE_1)
	s_and_saveexec_b32 s11, s15
; %bb.997:                              ;   in Loop: Header=BB2_904 Depth=3
	v_lshrrev_b32_e32 v15, 16, v11
	v_cmp_lt_u16_e64 vcc_lo, 0x7c00, v148
	s_delay_alu instid0(VALU_DEP_2) | instskip(NEXT) | instid1(VALU_DEP_2)
	v_cmp_gt_f16_e64 s15, v11, v15
	s_and_b32 s14, s14, vcc_lo
	s_delay_alu instid0(VALU_DEP_1) | instskip(NEXT) | instid1(VALU_DEP_1)
	v_cndmask_b32_e64 v11, v11, v15, s15
	v_cndmask_b32_e64 v147, v11, 0x7fff, s14
; %bb.998:                              ;   in Loop: Header=BB2_904 Depth=3
	s_or_b32 exec_lo, exec_lo, s11
	s_delay_alu instid0(VALU_DEP_1)
	v_mov_b32_e32 v149, v147
.LBB2_999:                              ;   in Loop: Header=BB2_904 Depth=3
	s_or_b32 exec_lo, exec_lo, s16
	s_delay_alu instid0(VALU_DEP_1)
	v_mov_b32_e32 v15, v149
.LBB2_1000:                             ;   in Loop: Header=BB2_904 Depth=3
	v_lshlrev_b32_e32 v8, 16, v8
	v_and_b32_e32 v11, 0xffff, v146
	v_lshlrev_b32_e32 v14, 16, v14
	v_and_b32_e32 v13, 0xffff, v13
	;; [unrolled: 2-line block ×3, first 2 shown]
	v_or_b32_e32 v8, v8, v11
	v_lshlrev_b32_e32 v11, 16, v15
	v_and_b32_e32 v10, 0xffff, v10
	v_or_b32_e32 v13, v14, v13
	v_or3_b32 v9, v12, v9, 0
	v_or3_b32 v8, 0, 0, v8
	s_mov_b64 s[14:15], 0
	v_or3_b32 v11, v11, v10, 0
	v_or3_b32 v10, 0, 0, v13
	s_mov_b32 s11, -1
.LBB2_1001:                             ;   Parent Loop BB2_51 Depth=1
                                        ;     Parent Loop BB2_817 Depth=2
                                        ;       Parent Loop BB2_904 Depth=3
                                        ; =>      This Inner Loop Header: Depth=4
	s_cmp_eq_u32 s14, 0
	v_cndmask_b32_e64 v14, 0, 1, s11
	s_cselect_b32 vcc_lo, -1, 0
	s_cmp_eq_u32 s14, 1
	s_mov_b32 s11, 0
	s_cselect_b32 s14, -1, 0
	s_delay_alu instid0(SALU_CYCLE_1) | instskip(SKIP_1) | instid1(VALU_DEP_2)
	v_cndmask_b32_e64 v12, v70, v80, s14
	v_cndmask_b32_e64 v13, v71, v81, s14
	v_add_co_u32 v15, s15, 0x200, v12
	s_delay_alu instid0(VALU_DEP_1) | instskip(SKIP_1) | instid1(VALU_DEP_3)
	v_add_co_ci_u32_e64 v146, s15, 0, v13, s15
	v_cmp_ne_u32_e64 s15, 1, v14
	v_cndmask_b32_e64 v80, v80, v15, s14
	v_cndmask_b32_e32 v70, v70, v15, vcc_lo
	s_delay_alu instid0(VALU_DEP_4)
	v_cndmask_b32_e64 v81, v81, v146, s14
	v_cndmask_b32_e32 v71, v71, v146, vcc_lo
	s_and_b32 vcc_lo, exec_lo, s15
	s_mov_b64 s[14:15], 1
	global_store_b128 v[12:13], v[8:11], off glc slc dlc
	s_cbranch_vccz .LBB2_1001
; %bb.1002:                             ;   in Loop: Header=BB2_904 Depth=3
	v_add_co_u32 v82, vcc_lo, v82, v114
	v_add_co_ci_u32_e32 v83, vcc_lo, v83, v115, vcc_lo
	v_add_co_u32 v84, vcc_lo, v84, v114
	v_sub_nc_u32_e32 v135, v135, v100
	v_add_co_ci_u32_e32 v85, vcc_lo, v85, v115, vcc_lo
	v_add_co_u32 v70, vcc_lo, v70, v101
	v_add_co_ci_u32_e32 v71, vcc_lo, v71, v112, vcc_lo
	s_delay_alu instid0(VALU_DEP_4) | instskip(SKIP_1) | instid1(VALU_DEP_1)
	v_cmp_gt_i32_e32 vcc_lo, 16, v135
	v_add_co_u32 v80, s14, v80, v101
	v_add_co_ci_u32_e64 v81, s14, v81, v112, s14
	v_sub_nc_u32_e32 v145, v145, v99
	s_or_b32 s34, vcc_lo, s34
	s_delay_alu instid0(SALU_CYCLE_1)
	s_and_not1_b32 exec_lo, exec_lo, s34
	s_cbranch_execnz .LBB2_904
; %bb.1003:                             ;   in Loop: Header=BB2_817 Depth=2
	s_or_b32 exec_lo, exec_lo, s34
.LBB2_1004:                             ;   in Loop: Header=BB2_817 Depth=2
	s_delay_alu instid0(SALU_CYCLE_1) | instskip(SKIP_3) | instid1(VALU_DEP_1)
	s_or_b32 exec_lo, exec_lo, s31
	v_dual_mov_b32 v70, 0 :: v_dual_and_b32 v9, 14, v2
	s_mov_b32 s11, 0
	s_mov_b32 s31, exec_lo
                                        ; implicit-def: $vgpr71
                                        ; implicit-def: $vgpr80
                                        ; implicit-def: $vgpr8
	v_cndmask_b32_e64 v135, v144, v9, s13
	s_delay_alu instid0(VALU_DEP_1)
	v_cmpx_ne_u32_e32 0, v135
	s_cbranch_execz .LBB2_1111
; %bb.1005:                             ;   in Loop: Header=BB2_817 Depth=2
	v_cmp_lt_i32_e32 vcc_lo, 0, v145
	v_ashrrev_i32_e32 v11, 31, v135
	v_sub_nc_u32_e32 v9, v144, v9
	s_mov_b32 s34, exec_lo
	v_cndmask_b32_e32 v8, 0, v99, vcc_lo
	s_delay_alu instid0(VALU_DEP_3) | instskip(NEXT) | instid1(VALU_DEP_3)
	v_lshrrev_b32_e32 v11, 23, v11
	v_cndmask_b32_e64 v9, 0, v9, s13
	s_delay_alu instid0(VALU_DEP_3) | instskip(NEXT) | instid1(VALU_DEP_3)
	v_sub_nc_u32_e32 v8, v8, v145
	v_add_nc_u32_e32 v11, v135, v11
	s_delay_alu instid0(VALU_DEP_3) | instskip(NEXT) | instid1(VALU_DEP_3)
	v_add_nc_u32_e32 v67, v9, v67
	v_lshl_add_u32 v8, v8, 5, v98
	s_delay_alu instid0(VALU_DEP_3) | instskip(SKIP_1) | instid1(VALU_DEP_3)
	v_and_b32_e32 v145, 0xfffffe00, v11
	v_ashrrev_i32_e32 v11, 9, v11
	v_ashrrev_i32_e32 v10, 31, v8
	s_delay_alu instid0(VALU_DEP_3) | instskip(NEXT) | instid1(VALU_DEP_2)
	v_sub_nc_u32_e32 v144, v135, v145
	v_lshrrev_b32_e32 v10, 27, v10
	s_delay_alu instid0(VALU_DEP_2) | instskip(NEXT) | instid1(VALU_DEP_2)
	v_cmp_lt_i32_e64 s13, 15, v144
	v_add_nc_u32_e32 v10, v8, v10
	s_delay_alu instid0(VALU_DEP_2) | instskip(NEXT) | instid1(VALU_DEP_2)
	v_add_co_ci_u32_e64 v11, vcc_lo, 0, v11, s13
	v_and_b32_e32 v12, 0xffffffe0, v10
	v_ashrrev_i32_e32 v10, 5, v10
	s_delay_alu instid0(VALU_DEP_2) | instskip(NEXT) | instid1(VALU_DEP_2)
	v_sub_nc_u32_e32 v146, v8, v12
	v_sub_nc_u32_e32 v147, v11, v10
	s_delay_alu instid0(VALU_DEP_2) | instskip(NEXT) | instid1(VALU_DEP_1)
	v_lshlrev_b32_e32 v8, 4, v146
	v_lshl_add_u32 v8, v10, 9, v8
	s_delay_alu instid0(VALU_DEP_1) | instskip(NEXT) | instid1(VALU_DEP_1)
	v_sub_nc_u32_e32 v148, v135, v8
	v_cmpx_lt_i32_e32 15, v148
	s_cbranch_execz .LBB2_1108
; %bb.1006:                             ;   in Loop: Header=BB2_817 Depth=2
	s_cbranch_execnz .LBB2_2584
; %bb.1007:                             ;   in Loop: Header=BB2_817 Depth=2
	ds_load_b128 v[9:12], v0
	v_add_nc_u32_e32 v8, v8, v67
	s_bitcmp1_b32 s30, 0
	s_mov_b32 s35, 0
	s_cselect_b32 s36, -1, 0
	s_delay_alu instid0(VALU_DEP_1) | instskip(SKIP_2) | instid1(VALU_DEP_2)
	v_ashrrev_i32_e32 v13, 31, v8
	s_waitcnt lgkmcnt(0)
	v_add_co_u32 v70, vcc_lo, v9, v8
	v_add_co_ci_u32_e32 v71, vcc_lo, v10, v13, vcc_lo
	s_delay_alu instid0(VALU_DEP_1) | instskip(SKIP_2) | instid1(VALU_DEP_1)
	v_mov_b32_e32 v83, v71
	v_add_co_u32 v80, vcc_lo, v11, v8
	v_add_co_ci_u32_e32 v81, vcc_lo, v12, v13, vcc_lo
	v_dual_mov_b32 v82, v70 :: v_dual_mov_b32 v85, v81
	s_delay_alu instid0(VALU_DEP_3)
	v_mov_b32_e32 v84, v80
.LBB2_1008:                             ;   Parent Loop BB2_51 Depth=1
                                        ;     Parent Loop BB2_817 Depth=2
                                        ; =>    This Loop Header: Depth=3
                                        ;         Child Loop BB2_1105 Depth 4
	global_load_b128 v[12:15], v[82:83], off slc dlc
	global_load_b128 v[8:11], v[84:85], off slc dlc
	s_mov_b32 s16, -1
	s_and_b32 vcc_lo, exec_lo, s36
	s_waitcnt vmcnt(1)
	v_and_b32_e32 v149, 0x7fff, v12
	s_waitcnt vmcnt(0)
	v_and_b32_e32 v150, 0x7fff, v8
	v_perm_b32 v151, v8, v12, 0x5040100
	s_delay_alu instid0(VALU_DEP_3) | instskip(NEXT) | instid1(VALU_DEP_3)
	v_cmp_lt_u16_e64 s14, 0x7c00, v149
	v_cmp_gt_u16_e64 s15, 0x7c01, v150
                                        ; implicit-def: $vgpr149
	s_delay_alu instid0(VALU_DEP_1) | instskip(NEXT) | instid1(SALU_CYCLE_1)
	s_and_b32 s11, s14, s15
	s_xor_b32 s11, s11, -1
	s_cbranch_vccz .LBB2_1014
; %bb.1009:                             ;   in Loop: Header=BB2_1008 Depth=3
	v_mov_b32_e32 v149, v8
	s_and_saveexec_b32 s24, s11
	s_cbranch_execz .LBB2_1013
; %bb.1010:                             ;   in Loop: Header=BB2_1008 Depth=3
	v_mov_b32_e32 v149, v12
	s_or_b32 s16, s14, s15
	s_delay_alu instid0(SALU_CYCLE_1)
	s_and_saveexec_b32 s37, s16
; %bb.1011:                             ;   in Loop: Header=BB2_1008 Depth=3
	v_lshrrev_b32_e32 v149, 16, v151
	v_cmp_lt_u16_e64 vcc_lo, 0x7c00, v150
	s_delay_alu instid0(VALU_DEP_2) | instskip(NEXT) | instid1(VALU_DEP_1)
	v_cmp_gt_f16_e64 s16, v151, v149
	v_cndmask_b32_e64 v149, v149, v151, s16
	s_delay_alu instid0(VALU_DEP_3)
	s_and_b32 s16, s14, vcc_lo
	s_delay_alu instid0(VALU_DEP_1) | instid1(SALU_CYCLE_1)
	v_cndmask_b32_e64 v149, v149, 0x7fff, s16
; %bb.1012:                             ;   in Loop: Header=BB2_1008 Depth=3
	s_or_b32 exec_lo, exec_lo, s37
.LBB2_1013:                             ;   in Loop: Header=BB2_1008 Depth=3
	s_delay_alu instid0(SALU_CYCLE_1)
	s_or_b32 exec_lo, exec_lo, s24
	s_mov_b32 s16, 0
.LBB2_1014:                             ;   in Loop: Header=BB2_1008 Depth=3
	s_delay_alu instid0(SALU_CYCLE_1)
	s_and_not1_b32 vcc_lo, exec_lo, s16
	s_cbranch_vccnz .LBB2_1020
; %bb.1015:                             ;   in Loop: Header=BB2_1008 Depth=3
	v_mov_b32_e32 v149, v8
	s_and_saveexec_b32 s16, s11
	s_cbranch_execz .LBB2_1019
; %bb.1016:                             ;   in Loop: Header=BB2_1008 Depth=3
	v_mov_b32_e32 v149, v12
	s_or_b32 s15, s14, s15
	s_delay_alu instid0(SALU_CYCLE_1)
	s_and_saveexec_b32 s11, s15
; %bb.1017:                             ;   in Loop: Header=BB2_1008 Depth=3
	v_lshrrev_b32_e32 v149, 16, v151
	v_cmp_lt_u16_e64 vcc_lo, 0x7c00, v150
	s_delay_alu instid0(VALU_DEP_2) | instskip(NEXT) | instid1(VALU_DEP_2)
	v_cmp_gt_f16_e64 s15, v151, v149
	s_and_b32 s14, s14, vcc_lo
	s_delay_alu instid0(VALU_DEP_1) | instskip(NEXT) | instid1(VALU_DEP_1)
	v_cndmask_b32_e64 v149, v151, v149, s15
	v_cndmask_b32_e64 v149, v149, 0x7fff, s14
; %bb.1018:                             ;   in Loop: Header=BB2_1008 Depth=3
	s_or_b32 exec_lo, exec_lo, s11
.LBB2_1019:                             ;   in Loop: Header=BB2_1008 Depth=3
	s_delay_alu instid0(SALU_CYCLE_1)
	s_or_b32 exec_lo, exec_lo, s16
.LBB2_1020:                             ;   in Loop: Header=BB2_1008 Depth=3
	v_mov_b32_e32 v161, v12
	v_mov_b32_e32 v162, v8
	;; [unrolled: 1-line block ×4, first 2 shown]
	s_mov_b32 s16, -1
	v_lshrrev_b32_e32 v150, 16, v161
	v_lshrrev_b32_e32 v160, 16, v162
	s_and_b32 vcc_lo, exec_lo, s36
	s_delay_alu instid0(VALU_DEP_2) | instskip(NEXT) | instid1(VALU_DEP_2)
	v_and_b32_e32 v8, 0x7fff, v150
	v_and_b32_e32 v151, 0x7fff, v160
	v_perm_b32 v9, v162, v161, 0x7060302
	s_delay_alu instid0(VALU_DEP_3) | instskip(NEXT) | instid1(VALU_DEP_3)
	v_cmp_lt_u16_e64 s14, 0x7c00, v8
	v_cmp_gt_u16_e64 s15, 0x7c01, v151
                                        ; implicit-def: $vgpr8
	s_delay_alu instid0(VALU_DEP_1) | instskip(NEXT) | instid1(SALU_CYCLE_1)
	s_and_b32 s11, s14, s15
	s_xor_b32 s11, s11, -1
	s_cbranch_vccz .LBB2_1026
; %bb.1021:                             ;   in Loop: Header=BB2_1008 Depth=3
	v_mov_b32_e32 v8, v160
	s_and_saveexec_b32 s24, s11
	s_cbranch_execz .LBB2_1025
; %bb.1022:                             ;   in Loop: Header=BB2_1008 Depth=3
	v_mov_b32_e32 v8, v150
	s_or_b32 s16, s14, s15
	s_delay_alu instid0(SALU_CYCLE_1)
	s_and_saveexec_b32 s37, s16
; %bb.1023:                             ;   in Loop: Header=BB2_1008 Depth=3
	v_lshrrev_b32_e32 v8, 16, v9
	v_cmp_lt_u16_e64 vcc_lo, 0x7c00, v151
	s_delay_alu instid0(VALU_DEP_2) | instskip(NEXT) | instid1(VALU_DEP_1)
	v_cmp_gt_f16_e64 s16, v9, v8
	v_cndmask_b32_e64 v8, v8, v9, s16
	s_delay_alu instid0(VALU_DEP_3)
	s_and_b32 s16, s14, vcc_lo
	s_delay_alu instid0(VALU_DEP_1) | instid1(SALU_CYCLE_1)
	v_cndmask_b32_e64 v8, v8, 0x7fff, s16
; %bb.1024:                             ;   in Loop: Header=BB2_1008 Depth=3
	s_or_b32 exec_lo, exec_lo, s37
.LBB2_1025:                             ;   in Loop: Header=BB2_1008 Depth=3
	s_delay_alu instid0(SALU_CYCLE_1)
	s_or_b32 exec_lo, exec_lo, s24
	s_mov_b32 s16, 0
.LBB2_1026:                             ;   in Loop: Header=BB2_1008 Depth=3
	s_delay_alu instid0(SALU_CYCLE_1)
	s_and_not1_b32 vcc_lo, exec_lo, s16
	s_cbranch_vccnz .LBB2_1032
; %bb.1027:                             ;   in Loop: Header=BB2_1008 Depth=3
	s_and_saveexec_b32 s16, s11
	s_cbranch_execz .LBB2_1031
; %bb.1028:                             ;   in Loop: Header=BB2_1008 Depth=3
	s_or_b32 s15, s14, s15
	s_delay_alu instid0(SALU_CYCLE_1)
	s_and_saveexec_b32 s11, s15
; %bb.1029:                             ;   in Loop: Header=BB2_1008 Depth=3
	v_lshrrev_b32_e32 v8, 16, v9
	v_cmp_lt_u16_e64 vcc_lo, 0x7c00, v151
	s_delay_alu instid0(VALU_DEP_2) | instskip(NEXT) | instid1(VALU_DEP_2)
	v_cmp_gt_f16_e64 s15, v9, v8
	s_and_b32 s14, s14, vcc_lo
	s_delay_alu instid0(VALU_DEP_1) | instskip(NEXT) | instid1(VALU_DEP_1)
	v_cndmask_b32_e64 v8, v9, v8, s15
	v_cndmask_b32_e64 v150, v8, 0x7fff, s14
; %bb.1030:                             ;   in Loop: Header=BB2_1008 Depth=3
	s_or_b32 exec_lo, exec_lo, s11
	s_delay_alu instid0(VALU_DEP_1)
	v_mov_b32_e32 v160, v150
.LBB2_1031:                             ;   in Loop: Header=BB2_1008 Depth=3
	s_or_b32 exec_lo, exec_lo, s16
	s_delay_alu instid0(VALU_DEP_1)
	v_mov_b32_e32 v8, v160
.LBB2_1032:                             ;   in Loop: Header=BB2_1008 Depth=3
	v_and_b32_e32 v9, 0x7fff, v12
	v_and_b32_e32 v150, 0x7fff, v13
	v_perm_b32 v151, v13, v12, 0x5040100
	s_mov_b32 s16, -1
	s_and_b32 vcc_lo, exec_lo, s36
	v_cmp_lt_u16_e64 s14, 0x7c00, v9
	v_cmp_gt_u16_e64 s15, 0x7c01, v150
                                        ; implicit-def: $vgpr9
	s_delay_alu instid0(VALU_DEP_1) | instskip(NEXT) | instid1(SALU_CYCLE_1)
	s_and_b32 s11, s14, s15
	s_xor_b32 s11, s11, -1
	s_cbranch_vccz .LBB2_1038
; %bb.1033:                             ;   in Loop: Header=BB2_1008 Depth=3
	v_mov_b32_e32 v9, v13
	s_and_saveexec_b32 s24, s11
	s_cbranch_execz .LBB2_1037
; %bb.1034:                             ;   in Loop: Header=BB2_1008 Depth=3
	v_mov_b32_e32 v9, v12
	s_or_b32 s16, s14, s15
	s_delay_alu instid0(SALU_CYCLE_1)
	s_and_saveexec_b32 s37, s16
; %bb.1035:                             ;   in Loop: Header=BB2_1008 Depth=3
	v_lshrrev_b32_e32 v9, 16, v151
	v_cmp_lt_u16_e64 vcc_lo, 0x7c00, v150
	s_delay_alu instid0(VALU_DEP_2) | instskip(NEXT) | instid1(VALU_DEP_1)
	v_cmp_gt_f16_e64 s16, v151, v9
	v_cndmask_b32_e64 v9, v9, v151, s16
	s_delay_alu instid0(VALU_DEP_3)
	s_and_b32 s16, s14, vcc_lo
	s_delay_alu instid0(VALU_DEP_1) | instid1(SALU_CYCLE_1)
	v_cndmask_b32_e64 v9, v9, 0x7fff, s16
; %bb.1036:                             ;   in Loop: Header=BB2_1008 Depth=3
	s_or_b32 exec_lo, exec_lo, s37
.LBB2_1037:                             ;   in Loop: Header=BB2_1008 Depth=3
	s_delay_alu instid0(SALU_CYCLE_1)
	s_or_b32 exec_lo, exec_lo, s24
	s_mov_b32 s16, 0
.LBB2_1038:                             ;   in Loop: Header=BB2_1008 Depth=3
	s_delay_alu instid0(SALU_CYCLE_1)
	s_and_not1_b32 vcc_lo, exec_lo, s16
	s_cbranch_vccnz .LBB2_1044
; %bb.1039:                             ;   in Loop: Header=BB2_1008 Depth=3
	v_mov_b32_e32 v9, v13
	s_and_saveexec_b32 s16, s11
	s_cbranch_execz .LBB2_1043
; %bb.1040:                             ;   in Loop: Header=BB2_1008 Depth=3
	v_mov_b32_e32 v9, v12
	s_or_b32 s15, s14, s15
	s_delay_alu instid0(SALU_CYCLE_1)
	s_and_saveexec_b32 s11, s15
; %bb.1041:                             ;   in Loop: Header=BB2_1008 Depth=3
	v_lshrrev_b32_e32 v9, 16, v151
	v_cmp_lt_u16_e64 vcc_lo, 0x7c00, v150
	s_delay_alu instid0(VALU_DEP_2) | instskip(NEXT) | instid1(VALU_DEP_2)
	v_cmp_gt_f16_e64 s15, v151, v9
	s_and_b32 s14, s14, vcc_lo
	s_delay_alu instid0(VALU_DEP_1) | instskip(NEXT) | instid1(VALU_DEP_1)
	v_cndmask_b32_e64 v9, v151, v9, s15
	v_cndmask_b32_e64 v9, v9, 0x7fff, s14
; %bb.1042:                             ;   in Loop: Header=BB2_1008 Depth=3
	s_or_b32 exec_lo, exec_lo, s11
.LBB2_1043:                             ;   in Loop: Header=BB2_1008 Depth=3
	s_delay_alu instid0(SALU_CYCLE_1)
	s_or_b32 exec_lo, exec_lo, s16
.LBB2_1044:                             ;   in Loop: Header=BB2_1008 Depth=3
	v_lshrrev_b32_e32 v150, 16, v12
	v_lshrrev_b32_e32 v160, 16, v13
	v_perm_b32 v13, v13, v12, 0x7060302
	s_mov_b32 s16, -1
	s_and_b32 vcc_lo, exec_lo, s36
	v_and_b32_e32 v161, 0x7fff, v150
	v_and_b32_e32 v151, 0x7fff, v160
                                        ; implicit-def: $vgpr12
	s_delay_alu instid0(VALU_DEP_2) | instskip(NEXT) | instid1(VALU_DEP_2)
	v_cmp_lt_u16_e64 s14, 0x7c00, v161
	v_cmp_gt_u16_e64 s15, 0x7c01, v151
	s_delay_alu instid0(VALU_DEP_1) | instskip(NEXT) | instid1(SALU_CYCLE_1)
	s_and_b32 s11, s14, s15
	s_xor_b32 s11, s11, -1
	s_cbranch_vccz .LBB2_1050
; %bb.1045:                             ;   in Loop: Header=BB2_1008 Depth=3
	v_mov_b32_e32 v12, v160
	s_and_saveexec_b32 s24, s11
	s_cbranch_execz .LBB2_1049
; %bb.1046:                             ;   in Loop: Header=BB2_1008 Depth=3
	v_mov_b32_e32 v12, v150
	s_or_b32 s16, s14, s15
	s_delay_alu instid0(SALU_CYCLE_1)
	s_and_saveexec_b32 s37, s16
; %bb.1047:                             ;   in Loop: Header=BB2_1008 Depth=3
	v_lshrrev_b32_e32 v12, 16, v13
	v_cmp_lt_u16_e64 vcc_lo, 0x7c00, v151
	s_delay_alu instid0(VALU_DEP_2) | instskip(NEXT) | instid1(VALU_DEP_1)
	v_cmp_gt_f16_e64 s16, v13, v12
	v_cndmask_b32_e64 v12, v12, v13, s16
	s_delay_alu instid0(VALU_DEP_3)
	s_and_b32 s16, s14, vcc_lo
	s_delay_alu instid0(VALU_DEP_1) | instid1(SALU_CYCLE_1)
	v_cndmask_b32_e64 v12, v12, 0x7fff, s16
; %bb.1048:                             ;   in Loop: Header=BB2_1008 Depth=3
	s_or_b32 exec_lo, exec_lo, s37
.LBB2_1049:                             ;   in Loop: Header=BB2_1008 Depth=3
	s_delay_alu instid0(SALU_CYCLE_1)
	s_or_b32 exec_lo, exec_lo, s24
	s_mov_b32 s16, 0
.LBB2_1050:                             ;   in Loop: Header=BB2_1008 Depth=3
	s_delay_alu instid0(SALU_CYCLE_1)
	s_and_not1_b32 vcc_lo, exec_lo, s16
	s_cbranch_vccnz .LBB2_1056
; %bb.1051:                             ;   in Loop: Header=BB2_1008 Depth=3
	s_and_saveexec_b32 s16, s11
	s_cbranch_execz .LBB2_1055
; %bb.1052:                             ;   in Loop: Header=BB2_1008 Depth=3
	s_or_b32 s15, s14, s15
	s_delay_alu instid0(SALU_CYCLE_1)
	s_and_saveexec_b32 s11, s15
; %bb.1053:                             ;   in Loop: Header=BB2_1008 Depth=3
	v_lshrrev_b32_e32 v12, 16, v13
	v_cmp_lt_u16_e64 vcc_lo, 0x7c00, v151
	s_delay_alu instid0(VALU_DEP_2) | instskip(NEXT) | instid1(VALU_DEP_2)
	v_cmp_gt_f16_e64 s15, v13, v12
	s_and_b32 s14, s14, vcc_lo
	s_delay_alu instid0(VALU_DEP_1) | instskip(NEXT) | instid1(VALU_DEP_1)
	v_cndmask_b32_e64 v12, v13, v12, s15
	v_cndmask_b32_e64 v150, v12, 0x7fff, s14
; %bb.1054:                             ;   in Loop: Header=BB2_1008 Depth=3
	s_or_b32 exec_lo, exec_lo, s11
	s_delay_alu instid0(VALU_DEP_1)
	v_mov_b32_e32 v160, v150
.LBB2_1055:                             ;   in Loop: Header=BB2_1008 Depth=3
	s_or_b32 exec_lo, exec_lo, s16
	s_delay_alu instid0(VALU_DEP_1)
	v_mov_b32_e32 v12, v160
.LBB2_1056:                             ;   in Loop: Header=BB2_1008 Depth=3
	v_and_b32_e32 v13, 0x7fff, v14
	v_and_b32_e32 v150, 0x7fff, v10
	v_perm_b32 v151, v10, v14, 0x5040100
	s_mov_b32 s16, -1
	s_and_b32 vcc_lo, exec_lo, s36
	v_cmp_lt_u16_e64 s14, 0x7c00, v13
	v_cmp_gt_u16_e64 s15, 0x7c01, v150
                                        ; implicit-def: $vgpr13
	s_delay_alu instid0(VALU_DEP_1) | instskip(NEXT) | instid1(SALU_CYCLE_1)
	s_and_b32 s11, s14, s15
	s_xor_b32 s11, s11, -1
	s_cbranch_vccz .LBB2_1062
; %bb.1057:                             ;   in Loop: Header=BB2_1008 Depth=3
	v_mov_b32_e32 v13, v10
	s_and_saveexec_b32 s24, s11
	s_cbranch_execz .LBB2_1061
; %bb.1058:                             ;   in Loop: Header=BB2_1008 Depth=3
	v_mov_b32_e32 v13, v14
	s_or_b32 s16, s14, s15
	s_delay_alu instid0(SALU_CYCLE_1)
	s_and_saveexec_b32 s37, s16
; %bb.1059:                             ;   in Loop: Header=BB2_1008 Depth=3
	v_lshrrev_b32_e32 v13, 16, v151
	v_cmp_lt_u16_e64 vcc_lo, 0x7c00, v150
	s_delay_alu instid0(VALU_DEP_2) | instskip(NEXT) | instid1(VALU_DEP_1)
	v_cmp_gt_f16_e64 s16, v151, v13
	v_cndmask_b32_e64 v13, v13, v151, s16
	s_delay_alu instid0(VALU_DEP_3)
	s_and_b32 s16, s14, vcc_lo
	s_delay_alu instid0(VALU_DEP_1) | instid1(SALU_CYCLE_1)
	v_cndmask_b32_e64 v13, v13, 0x7fff, s16
; %bb.1060:                             ;   in Loop: Header=BB2_1008 Depth=3
	s_or_b32 exec_lo, exec_lo, s37
.LBB2_1061:                             ;   in Loop: Header=BB2_1008 Depth=3
	s_delay_alu instid0(SALU_CYCLE_1)
	s_or_b32 exec_lo, exec_lo, s24
	s_mov_b32 s16, 0
.LBB2_1062:                             ;   in Loop: Header=BB2_1008 Depth=3
	s_delay_alu instid0(SALU_CYCLE_1)
	s_and_not1_b32 vcc_lo, exec_lo, s16
	s_cbranch_vccnz .LBB2_1068
; %bb.1063:                             ;   in Loop: Header=BB2_1008 Depth=3
	v_mov_b32_e32 v13, v10
	s_and_saveexec_b32 s16, s11
	s_cbranch_execz .LBB2_1067
; %bb.1064:                             ;   in Loop: Header=BB2_1008 Depth=3
	v_mov_b32_e32 v13, v14
	s_or_b32 s15, s14, s15
	s_delay_alu instid0(SALU_CYCLE_1)
	s_and_saveexec_b32 s11, s15
; %bb.1065:                             ;   in Loop: Header=BB2_1008 Depth=3
	v_lshrrev_b32_e32 v13, 16, v151
	v_cmp_lt_u16_e64 vcc_lo, 0x7c00, v150
	s_delay_alu instid0(VALU_DEP_2) | instskip(NEXT) | instid1(VALU_DEP_2)
	v_cmp_gt_f16_e64 s15, v151, v13
	s_and_b32 s14, s14, vcc_lo
	s_delay_alu instid0(VALU_DEP_1) | instskip(NEXT) | instid1(VALU_DEP_1)
	v_cndmask_b32_e64 v13, v151, v13, s15
	v_cndmask_b32_e64 v13, v13, 0x7fff, s14
; %bb.1066:                             ;   in Loop: Header=BB2_1008 Depth=3
	s_or_b32 exec_lo, exec_lo, s11
.LBB2_1067:                             ;   in Loop: Header=BB2_1008 Depth=3
	s_delay_alu instid0(SALU_CYCLE_1)
	s_or_b32 exec_lo, exec_lo, s16
.LBB2_1068:                             ;   in Loop: Header=BB2_1008 Depth=3
	v_mov_b32_e32 v161, v14
	v_lshrrev_b32_e32 v160, 16, v10
	s_mov_b32 s16, -1
	s_and_b32 vcc_lo, exec_lo, s36
	s_delay_alu instid0(VALU_DEP_2) | instskip(NEXT) | instid1(VALU_DEP_2)
	v_lshrrev_b32_e32 v150, 16, v161
	v_and_b32_e32 v151, 0x7fff, v160
	s_delay_alu instid0(VALU_DEP_2) | instskip(NEXT) | instid1(VALU_DEP_2)
	v_and_b32_e32 v14, 0x7fff, v150
	v_cmp_gt_u16_e64 s15, 0x7c01, v151
	v_perm_b32 v10, v10, v161, 0x7060302
	s_delay_alu instid0(VALU_DEP_3) | instskip(NEXT) | instid1(VALU_DEP_1)
	v_cmp_lt_u16_e64 s14, 0x7c00, v14
                                        ; implicit-def: $vgpr14
	s_and_b32 s11, s14, s15
	s_delay_alu instid0(SALU_CYCLE_1)
	s_xor_b32 s11, s11, -1
	s_cbranch_vccz .LBB2_1074
; %bb.1069:                             ;   in Loop: Header=BB2_1008 Depth=3
	v_mov_b32_e32 v14, v160
	s_and_saveexec_b32 s24, s11
	s_cbranch_execz .LBB2_1073
; %bb.1070:                             ;   in Loop: Header=BB2_1008 Depth=3
	v_mov_b32_e32 v14, v150
	s_or_b32 s16, s14, s15
	s_delay_alu instid0(SALU_CYCLE_1)
	s_and_saveexec_b32 s37, s16
; %bb.1071:                             ;   in Loop: Header=BB2_1008 Depth=3
	v_lshrrev_b32_e32 v14, 16, v10
	v_cmp_lt_u16_e64 vcc_lo, 0x7c00, v151
	s_delay_alu instid0(VALU_DEP_2) | instskip(NEXT) | instid1(VALU_DEP_1)
	v_cmp_gt_f16_e64 s16, v10, v14
	v_cndmask_b32_e64 v14, v14, v10, s16
	s_delay_alu instid0(VALU_DEP_3)
	s_and_b32 s16, s14, vcc_lo
	s_delay_alu instid0(VALU_DEP_1) | instid1(SALU_CYCLE_1)
	v_cndmask_b32_e64 v14, v14, 0x7fff, s16
; %bb.1072:                             ;   in Loop: Header=BB2_1008 Depth=3
	s_or_b32 exec_lo, exec_lo, s37
.LBB2_1073:                             ;   in Loop: Header=BB2_1008 Depth=3
	s_delay_alu instid0(SALU_CYCLE_1)
	s_or_b32 exec_lo, exec_lo, s24
	s_mov_b32 s16, 0
.LBB2_1074:                             ;   in Loop: Header=BB2_1008 Depth=3
	s_delay_alu instid0(SALU_CYCLE_1)
	s_and_not1_b32 vcc_lo, exec_lo, s16
	s_cbranch_vccnz .LBB2_1080
; %bb.1075:                             ;   in Loop: Header=BB2_1008 Depth=3
	s_and_saveexec_b32 s16, s11
	s_cbranch_execz .LBB2_1079
; %bb.1076:                             ;   in Loop: Header=BB2_1008 Depth=3
	s_or_b32 s15, s14, s15
	s_delay_alu instid0(SALU_CYCLE_1)
	s_and_saveexec_b32 s11, s15
; %bb.1077:                             ;   in Loop: Header=BB2_1008 Depth=3
	v_lshrrev_b32_e32 v14, 16, v10
	v_cmp_lt_u16_e64 vcc_lo, 0x7c00, v151
	s_delay_alu instid0(VALU_DEP_2) | instskip(NEXT) | instid1(VALU_DEP_2)
	v_cmp_gt_f16_e64 s15, v10, v14
	s_and_b32 s14, s14, vcc_lo
	s_delay_alu instid0(VALU_DEP_1) | instskip(NEXT) | instid1(VALU_DEP_1)
	v_cndmask_b32_e64 v10, v10, v14, s15
	v_cndmask_b32_e64 v150, v10, 0x7fff, s14
; %bb.1078:                             ;   in Loop: Header=BB2_1008 Depth=3
	s_or_b32 exec_lo, exec_lo, s11
	s_delay_alu instid0(VALU_DEP_1)
	v_mov_b32_e32 v160, v150
.LBB2_1079:                             ;   in Loop: Header=BB2_1008 Depth=3
	s_or_b32 exec_lo, exec_lo, s16
	s_delay_alu instid0(VALU_DEP_1)
	v_mov_b32_e32 v14, v160
.LBB2_1080:                             ;   in Loop: Header=BB2_1008 Depth=3
	v_and_b32_e32 v10, 0x7fff, v15
	v_and_b32_e32 v150, 0x7fff, v11
	v_perm_b32 v151, v11, v15, 0x5040100
	s_mov_b32 s16, -1
	s_and_b32 vcc_lo, exec_lo, s36
	v_cmp_lt_u16_e64 s14, 0x7c00, v10
	v_cmp_gt_u16_e64 s15, 0x7c01, v150
                                        ; implicit-def: $vgpr10
	s_delay_alu instid0(VALU_DEP_1) | instskip(NEXT) | instid1(SALU_CYCLE_1)
	s_and_b32 s11, s14, s15
	s_xor_b32 s11, s11, -1
	s_cbranch_vccz .LBB2_1086
; %bb.1081:                             ;   in Loop: Header=BB2_1008 Depth=3
	v_mov_b32_e32 v10, v11
	s_and_saveexec_b32 s24, s11
	s_cbranch_execz .LBB2_1085
; %bb.1082:                             ;   in Loop: Header=BB2_1008 Depth=3
	v_mov_b32_e32 v10, v15
	s_or_b32 s16, s14, s15
	s_delay_alu instid0(SALU_CYCLE_1)
	s_and_saveexec_b32 s37, s16
; %bb.1083:                             ;   in Loop: Header=BB2_1008 Depth=3
	v_lshrrev_b32_e32 v10, 16, v151
	v_cmp_lt_u16_e64 vcc_lo, 0x7c00, v150
	s_delay_alu instid0(VALU_DEP_2) | instskip(NEXT) | instid1(VALU_DEP_1)
	v_cmp_gt_f16_e64 s16, v151, v10
	v_cndmask_b32_e64 v10, v10, v151, s16
	s_delay_alu instid0(VALU_DEP_3)
	s_and_b32 s16, s14, vcc_lo
	s_delay_alu instid0(VALU_DEP_1) | instid1(SALU_CYCLE_1)
	v_cndmask_b32_e64 v10, v10, 0x7fff, s16
; %bb.1084:                             ;   in Loop: Header=BB2_1008 Depth=3
	s_or_b32 exec_lo, exec_lo, s37
.LBB2_1085:                             ;   in Loop: Header=BB2_1008 Depth=3
	s_delay_alu instid0(SALU_CYCLE_1)
	s_or_b32 exec_lo, exec_lo, s24
	s_mov_b32 s16, 0
.LBB2_1086:                             ;   in Loop: Header=BB2_1008 Depth=3
	s_delay_alu instid0(SALU_CYCLE_1)
	s_and_not1_b32 vcc_lo, exec_lo, s16
	s_cbranch_vccnz .LBB2_1092
; %bb.1087:                             ;   in Loop: Header=BB2_1008 Depth=3
	v_mov_b32_e32 v10, v11
	s_and_saveexec_b32 s16, s11
	s_cbranch_execz .LBB2_1091
; %bb.1088:                             ;   in Loop: Header=BB2_1008 Depth=3
	v_mov_b32_e32 v10, v15
	s_or_b32 s15, s14, s15
	s_delay_alu instid0(SALU_CYCLE_1)
	s_and_saveexec_b32 s11, s15
; %bb.1089:                             ;   in Loop: Header=BB2_1008 Depth=3
	v_lshrrev_b32_e32 v10, 16, v151
	v_cmp_lt_u16_e64 vcc_lo, 0x7c00, v150
	s_delay_alu instid0(VALU_DEP_2) | instskip(NEXT) | instid1(VALU_DEP_2)
	v_cmp_gt_f16_e64 s15, v151, v10
	s_and_b32 s14, s14, vcc_lo
	s_delay_alu instid0(VALU_DEP_1) | instskip(NEXT) | instid1(VALU_DEP_1)
	v_cndmask_b32_e64 v10, v151, v10, s15
	v_cndmask_b32_e64 v10, v10, 0x7fff, s14
; %bb.1090:                             ;   in Loop: Header=BB2_1008 Depth=3
	s_or_b32 exec_lo, exec_lo, s11
.LBB2_1091:                             ;   in Loop: Header=BB2_1008 Depth=3
	s_delay_alu instid0(SALU_CYCLE_1)
	s_or_b32 exec_lo, exec_lo, s16
.LBB2_1092:                             ;   in Loop: Header=BB2_1008 Depth=3
	v_lshrrev_b32_e32 v150, 16, v15
	v_lshrrev_b32_e32 v160, 16, v11
	v_perm_b32 v11, v11, v15, 0x7060302
	s_mov_b32 s16, -1
	s_and_b32 vcc_lo, exec_lo, s36
	v_and_b32_e32 v161, 0x7fff, v150
	v_and_b32_e32 v151, 0x7fff, v160
                                        ; implicit-def: $vgpr15
	s_delay_alu instid0(VALU_DEP_2) | instskip(NEXT) | instid1(VALU_DEP_2)
	v_cmp_lt_u16_e64 s14, 0x7c00, v161
	v_cmp_gt_u16_e64 s15, 0x7c01, v151
	s_delay_alu instid0(VALU_DEP_1) | instskip(NEXT) | instid1(SALU_CYCLE_1)
	s_and_b32 s11, s14, s15
	s_xor_b32 s11, s11, -1
	s_cbranch_vccz .LBB2_1098
; %bb.1093:                             ;   in Loop: Header=BB2_1008 Depth=3
	v_mov_b32_e32 v15, v160
	s_and_saveexec_b32 s24, s11
	s_cbranch_execz .LBB2_1097
; %bb.1094:                             ;   in Loop: Header=BB2_1008 Depth=3
	v_mov_b32_e32 v15, v150
	s_or_b32 s16, s14, s15
	s_delay_alu instid0(SALU_CYCLE_1)
	s_and_saveexec_b32 s37, s16
; %bb.1095:                             ;   in Loop: Header=BB2_1008 Depth=3
	v_lshrrev_b32_e32 v15, 16, v11
	v_cmp_lt_u16_e64 vcc_lo, 0x7c00, v151
	s_delay_alu instid0(VALU_DEP_2) | instskip(NEXT) | instid1(VALU_DEP_1)
	v_cmp_gt_f16_e64 s16, v11, v15
	v_cndmask_b32_e64 v15, v15, v11, s16
	s_delay_alu instid0(VALU_DEP_3)
	s_and_b32 s16, s14, vcc_lo
	s_delay_alu instid0(VALU_DEP_1) | instid1(SALU_CYCLE_1)
	v_cndmask_b32_e64 v15, v15, 0x7fff, s16
; %bb.1096:                             ;   in Loop: Header=BB2_1008 Depth=3
	s_or_b32 exec_lo, exec_lo, s37
.LBB2_1097:                             ;   in Loop: Header=BB2_1008 Depth=3
	s_delay_alu instid0(SALU_CYCLE_1)
	s_or_b32 exec_lo, exec_lo, s24
	s_mov_b32 s16, 0
.LBB2_1098:                             ;   in Loop: Header=BB2_1008 Depth=3
	s_delay_alu instid0(SALU_CYCLE_1)
	s_and_not1_b32 vcc_lo, exec_lo, s16
	s_cbranch_vccnz .LBB2_1104
; %bb.1099:                             ;   in Loop: Header=BB2_1008 Depth=3
	s_and_saveexec_b32 s16, s11
	s_cbranch_execz .LBB2_1103
; %bb.1100:                             ;   in Loop: Header=BB2_1008 Depth=3
	s_or_b32 s15, s14, s15
	s_delay_alu instid0(SALU_CYCLE_1)
	s_and_saveexec_b32 s11, s15
; %bb.1101:                             ;   in Loop: Header=BB2_1008 Depth=3
	v_lshrrev_b32_e32 v15, 16, v11
	v_cmp_lt_u16_e64 vcc_lo, 0x7c00, v151
	s_delay_alu instid0(VALU_DEP_2) | instskip(NEXT) | instid1(VALU_DEP_2)
	v_cmp_gt_f16_e64 s15, v11, v15
	s_and_b32 s14, s14, vcc_lo
	s_delay_alu instid0(VALU_DEP_1) | instskip(NEXT) | instid1(VALU_DEP_1)
	v_cndmask_b32_e64 v11, v11, v15, s15
	v_cndmask_b32_e64 v150, v11, 0x7fff, s14
; %bb.1102:                             ;   in Loop: Header=BB2_1008 Depth=3
	s_or_b32 exec_lo, exec_lo, s11
	s_delay_alu instid0(VALU_DEP_1)
	v_mov_b32_e32 v160, v150
.LBB2_1103:                             ;   in Loop: Header=BB2_1008 Depth=3
	s_or_b32 exec_lo, exec_lo, s16
	s_delay_alu instid0(VALU_DEP_1)
	v_mov_b32_e32 v15, v160
.LBB2_1104:                             ;   in Loop: Header=BB2_1008 Depth=3
	v_lshlrev_b32_e32 v8, 16, v8
	v_and_b32_e32 v11, 0xffff, v149
	v_lshlrev_b32_e32 v14, 16, v14
	v_and_b32_e32 v13, 0xffff, v13
	;; [unrolled: 2-line block ×3, first 2 shown]
	v_or_b32_e32 v8, v8, v11
	v_lshlrev_b32_e32 v11, 16, v15
	v_and_b32_e32 v10, 0xffff, v10
	v_or_b32_e32 v13, v14, v13
	v_or3_b32 v9, v12, v9, 0
	v_or3_b32 v8, 0, 0, v8
	s_mov_b64 s[14:15], 0
	v_or3_b32 v11, v11, v10, 0
	v_or3_b32 v10, 0, 0, v13
	s_mov_b32 s11, -1
.LBB2_1105:                             ;   Parent Loop BB2_51 Depth=1
                                        ;     Parent Loop BB2_817 Depth=2
                                        ;       Parent Loop BB2_1008 Depth=3
                                        ; =>      This Inner Loop Header: Depth=4
	s_cmp_eq_u32 s14, 0
	v_cndmask_b32_e64 v14, 0, 1, s11
	s_cselect_b32 vcc_lo, -1, 0
	s_cmp_eq_u32 s14, 1
	s_mov_b32 s11, 0
	s_cselect_b32 s14, -1, 0
	s_delay_alu instid0(SALU_CYCLE_1) | instskip(SKIP_1) | instid1(VALU_DEP_2)
	v_cndmask_b32_e64 v12, v70, v80, s14
	v_cndmask_b32_e64 v13, v71, v81, s14
	v_add_co_u32 v15, s15, 0x200, v12
	s_delay_alu instid0(VALU_DEP_1) | instskip(SKIP_1) | instid1(VALU_DEP_3)
	v_add_co_ci_u32_e64 v149, s15, 0, v13, s15
	v_cmp_ne_u32_e64 s15, 1, v14
	v_cndmask_b32_e64 v80, v80, v15, s14
	v_cndmask_b32_e32 v70, v70, v15, vcc_lo
	s_delay_alu instid0(VALU_DEP_4)
	v_cndmask_b32_e64 v81, v81, v149, s14
	v_cndmask_b32_e32 v71, v71, v149, vcc_lo
	s_and_b32 vcc_lo, exec_lo, s15
	s_mov_b64 s[14:15], 1
	global_store_b128 v[12:13], v[8:11], off glc slc dlc
	s_cbranch_vccz .LBB2_1105
; %bb.1106:                             ;   in Loop: Header=BB2_1008 Depth=3
	v_add_co_u32 v82, vcc_lo, v82, v114
	v_add_co_ci_u32_e32 v83, vcc_lo, v83, v115, vcc_lo
	v_add_co_u32 v84, vcc_lo, v84, v114
	v_sub_nc_u32_e32 v148, v148, v100
	v_add_co_ci_u32_e32 v85, vcc_lo, v85, v115, vcc_lo
	v_add_co_u32 v70, vcc_lo, v70, v101
	v_add_co_ci_u32_e32 v71, vcc_lo, v71, v112, vcc_lo
	s_delay_alu instid0(VALU_DEP_4) | instskip(SKIP_1) | instid1(VALU_DEP_1)
	v_cmp_gt_i32_e32 vcc_lo, 16, v148
	v_add_co_u32 v80, s14, v80, v101
	v_add_co_ci_u32_e64 v81, s14, v81, v112, s14
	v_sub_nc_u32_e32 v147, v147, v99
	s_or_b32 s35, vcc_lo, s35
	s_delay_alu instid0(SALU_CYCLE_1)
	s_and_not1_b32 exec_lo, exec_lo, s35
	s_cbranch_execnz .LBB2_1008
; %bb.1107:                             ;   in Loop: Header=BB2_817 Depth=2
	s_or_b32 exec_lo, exec_lo, s35
.LBB2_1108:                             ;   in Loop: Header=BB2_817 Depth=2
	s_delay_alu instid0(SALU_CYCLE_1) | instskip(SKIP_2) | instid1(VALU_DEP_1)
	s_or_b32 exec_lo, exec_lo, s34
	v_dual_mov_b32 v70, 0 :: v_dual_and_b32 v9, 14, v135
	s_mov_b32 s14, exec_lo
                                        ; implicit-def: $vgpr80
                                        ; implicit-def: $vgpr8
	v_cndmask_b32_e64 v71, v144, v9, s13
	s_delay_alu instid0(VALU_DEP_1)
	v_cmpx_ne_u32_e32 0, v71
	s_cbranch_execz .LBB2_1110
; %bb.1109:                             ;   in Loop: Header=BB2_817 Depth=2
	v_cmp_lt_i32_e32 vcc_lo, 0, v147
	v_sub_nc_u32_e32 v9, v144, v9
	s_mov_b32 s11, exec_lo
	v_cndmask_b32_e32 v8, 0, v99, vcc_lo
	s_delay_alu instid0(VALU_DEP_2) | instskip(NEXT) | instid1(VALU_DEP_2)
	v_cndmask_b32_e64 v9, 0, v9, s13
	v_sub_nc_u32_e32 v8, v8, v147
	s_delay_alu instid0(VALU_DEP_2) | instskip(NEXT) | instid1(VALU_DEP_2)
	v_add3_u32 v70, v145, v67, v9
	v_lshl_add_u32 v80, v8, 5, v146
	s_delay_alu instid0(VALU_DEP_1) | instskip(NEXT) | instid1(VALU_DEP_1)
	v_ashrrev_i32_e32 v8, 31, v80
	v_lshrrev_b32_e32 v8, 27, v8
	s_delay_alu instid0(VALU_DEP_1) | instskip(NEXT) | instid1(VALU_DEP_1)
	v_add_nc_u32_e32 v8, v80, v8
	v_ashrrev_i32_e32 v8, 5, v8
.LBB2_1110:                             ;   in Loop: Header=BB2_817 Depth=2
	s_or_b32 exec_lo, exec_lo, s14
	s_delay_alu instid0(SALU_CYCLE_1)
	s_and_b32 s11, s11, exec_lo
.LBB2_1111:                             ;   in Loop: Header=BB2_817 Depth=2
	s_or_b32 exec_lo, exec_lo, s31
.LBB2_1112:                             ;   in Loop: Header=BB2_817 Depth=2
	s_and_saveexec_b32 s16, s11
	s_cbranch_execz .LBB2_1186
; %bb.1113:                             ;   in Loop: Header=BB2_817 Depth=2
	v_ashrrev_i32_e32 v9, 31, v71
	s_mov_b32 s31, exec_lo
	s_delay_alu instid0(VALU_DEP_1) | instskip(NEXT) | instid1(VALU_DEP_1)
	v_lshrrev_b32_e32 v9, 24, v9
	v_add_nc_u32_e32 v9, v71, v9
	s_delay_alu instid0(VALU_DEP_1) | instskip(NEXT) | instid1(VALU_DEP_1)
	v_ashrrev_i32_e32 v81, 8, v9
	v_sub_nc_u32_e32 v67, v81, v8
	s_delay_alu instid0(VALU_DEP_1)
	v_cmpx_lt_i32_e32 0, v67
	s_cbranch_execz .LBB2_1166
; %bb.1114:                             ;   in Loop: Header=BB2_817 Depth=2
	s_cbranch_execnz .LBB2_2514
; %bb.1115:                             ;   in Loop: Header=BB2_817 Depth=2
	v_ashrrev_i32_e32 v9, 31, v80
	v_lshlrev_b32_e32 v8, 8, v8
	s_bitcmp1_b32 s30, 0
	s_mov_b32 s34, 0
	s_cselect_b32 s35, -1, 0
	v_lshrrev_b32_e32 v9, 27, v9
	s_delay_alu instid0(VALU_DEP_1) | instskip(NEXT) | instid1(VALU_DEP_1)
	v_add_nc_u32_e32 v9, v80, v9
	v_and_b32_e32 v13, 0x7fffffe0, v9
	ds_load_b128 v[9:12], v0
	v_sub_nc_u32_e32 v13, v80, v13
	s_delay_alu instid0(VALU_DEP_1) | instskip(NEXT) | instid1(VALU_DEP_1)
	v_lshlrev_b32_e32 v13, 1, v13
	v_add3_u32 v13, v13, v70, v8
	s_delay_alu instid0(VALU_DEP_1) | instskip(SKIP_2) | instid1(VALU_DEP_2)
	v_ashrrev_i32_e32 v14, 31, v13
	s_waitcnt lgkmcnt(0)
	v_add_co_u32 v8, vcc_lo, v9, v13
	v_add_co_ci_u32_e32 v9, vcc_lo, v10, v14, vcc_lo
	v_add_co_u32 v10, vcc_lo, v11, v13
	v_add_co_ci_u32_e32 v11, vcc_lo, v12, v14, vcc_lo
	s_delay_alu instid0(VALU_DEP_3) | instskip(NEXT) | instid1(VALU_DEP_2)
	v_dual_mov_b32 v13, v9 :: v_dual_mov_b32 v12, v8
	v_dual_mov_b32 v15, v11 :: v_dual_mov_b32 v14, v10
	s_branch .LBB2_1119
.LBB2_1116:                             ;   in Loop: Header=BB2_1119 Depth=3
	s_or_b32 exec_lo, exec_lo, s11
	s_delay_alu instid0(VALU_DEP_1)
	v_mov_b32_e32 v83, v82
.LBB2_1117:                             ;   in Loop: Header=BB2_1119 Depth=3
	s_or_b32 exec_lo, exec_lo, s15
	s_delay_alu instid0(VALU_DEP_1)
	v_mov_b32_e32 v135, v83
.LBB2_1118:                             ;   in Loop: Header=BB2_1119 Depth=3
	v_add_co_u32 v8, vcc_lo, v8, v117
	v_add_co_ci_u32_e32 v9, vcc_lo, v9, v118, vcc_lo
	v_add_co_u32 v10, vcc_lo, v10, v117
	v_sub_nc_u32_e32 v67, v67, v99
	v_add_co_ci_u32_e32 v11, vcc_lo, v11, v118, vcc_lo
	s_clause 0x3
	flat_store_b16 v[12:13], v84 glc slc dlc
	flat_store_b16 v[12:13], v144 offset:64 glc slc dlc
	flat_store_b16 v[12:13], v145 offset:128 glc slc dlc
	;; [unrolled: 1-line block ×3, first 2 shown]
	s_clause 0x3
	flat_store_b16 v[14:15], v84 glc slc dlc
	flat_store_b16 v[14:15], v144 offset:64 glc slc dlc
	flat_store_b16 v[14:15], v145 offset:128 glc slc dlc
	;; [unrolled: 1-line block ×3, first 2 shown]
	v_add_co_u32 v12, vcc_lo, v12, v117
	v_add_co_ci_u32_e32 v13, vcc_lo, v13, v118, vcc_lo
	v_cmp_gt_i32_e32 vcc_lo, 1, v67
	v_add_co_u32 v14, s13, v14, v117
	s_delay_alu instid0(VALU_DEP_1) | instskip(SKIP_1) | instid1(SALU_CYCLE_1)
	v_add_co_ci_u32_e64 v15, s13, v15, v118, s13
	s_or_b32 s34, vcc_lo, s34
	s_and_not1_b32 exec_lo, exec_lo, s34
	s_cbranch_execz .LBB2_1165
.LBB2_1119:                             ;   Parent Loop BB2_51 Depth=1
                                        ;     Parent Loop BB2_817 Depth=2
                                        ; =>    This Inner Loop Header: Depth=3
	flat_load_u16 v144, v[8:9] slc dlc
	flat_load_u16 v147, v[10:11] slc dlc
	s_clause 0x2
	flat_load_u16 v145, v[8:9] offset:64 slc dlc
	flat_load_u16 v85, v[8:9] offset:128 slc dlc
	;; [unrolled: 1-line block ×3, first 2 shown]
	s_clause 0x2
	flat_load_u16 v146, v[10:11] offset:64 slc dlc
	flat_load_u16 v135, v[10:11] offset:128 slc dlc
	;; [unrolled: 1-line block ×3, first 2 shown]
	s_mov_b32 s15, -1
	s_and_b32 vcc_lo, exec_lo, s35
	s_waitcnt vmcnt(7) lgkmcnt(7)
	v_and_b32_e32 v84, 0x7fff, v144
	s_waitcnt vmcnt(6) lgkmcnt(6)
	v_and_b32_e32 v148, 0x7fff, v147
	s_delay_alu instid0(VALU_DEP_2) | instskip(NEXT) | instid1(VALU_DEP_2)
	v_cmp_lt_u16_e64 s13, 0x7c00, v84
	v_cmp_gt_u16_e64 s14, 0x7c01, v148
                                        ; implicit-def: $vgpr84
	s_delay_alu instid0(VALU_DEP_1) | instskip(NEXT) | instid1(SALU_CYCLE_1)
	s_and_b32 s11, s13, s14
	s_xor_b32 s11, s11, -1
	s_cbranch_vccz .LBB2_1125
; %bb.1120:                             ;   in Loop: Header=BB2_1119 Depth=3
	v_mov_b32_e32 v84, v147
	s_and_saveexec_b32 s24, s11
	s_cbranch_execz .LBB2_1124
; %bb.1121:                             ;   in Loop: Header=BB2_1119 Depth=3
	v_mov_b32_e32 v84, v144
	s_or_b32 s15, s13, s14
	s_delay_alu instid0(SALU_CYCLE_1)
	s_and_saveexec_b32 s36, s15
; %bb.1122:                             ;   in Loop: Header=BB2_1119 Depth=3
	v_cmp_gt_f16_e64 s15, v144, v147
	v_cmp_lt_u16_e64 vcc_lo, 0x7c00, v148
	s_delay_alu instid0(VALU_DEP_2) | instskip(NEXT) | instid1(VALU_DEP_2)
	v_cndmask_b32_e64 v84, v147, v144, s15
	s_and_b32 s15, s13, vcc_lo
	s_delay_alu instid0(VALU_DEP_1) | instid1(SALU_CYCLE_1)
	v_cndmask_b32_e64 v84, v84, 0x7fff, s15
; %bb.1123:                             ;   in Loop: Header=BB2_1119 Depth=3
	s_or_b32 exec_lo, exec_lo, s36
.LBB2_1124:                             ;   in Loop: Header=BB2_1119 Depth=3
	s_delay_alu instid0(SALU_CYCLE_1)
	s_or_b32 exec_lo, exec_lo, s24
	s_mov_b32 s15, 0
.LBB2_1125:                             ;   in Loop: Header=BB2_1119 Depth=3
	s_delay_alu instid0(SALU_CYCLE_1)
	s_and_not1_b32 vcc_lo, exec_lo, s15
	s_cbranch_vccnz .LBB2_1131
; %bb.1126:                             ;   in Loop: Header=BB2_1119 Depth=3
	s_and_saveexec_b32 s15, s11
	s_cbranch_execz .LBB2_1130
; %bb.1127:                             ;   in Loop: Header=BB2_1119 Depth=3
	s_or_b32 s14, s13, s14
	s_delay_alu instid0(SALU_CYCLE_1)
	s_and_saveexec_b32 s11, s14
; %bb.1128:                             ;   in Loop: Header=BB2_1119 Depth=3
	v_cmp_gt_f16_e64 s14, v144, v147
	v_cmp_lt_u16_e64 vcc_lo, 0x7c00, v148
	s_delay_alu instid0(VALU_DEP_2) | instskip(NEXT) | instid1(VALU_DEP_2)
	v_cndmask_b32_e64 v84, v144, v147, s14
	s_and_b32 s13, s13, vcc_lo
	s_delay_alu instid0(VALU_DEP_1) | instid1(SALU_CYCLE_1)
	v_cndmask_b32_e64 v144, v84, 0x7fff, s13
; %bb.1129:                             ;   in Loop: Header=BB2_1119 Depth=3
	s_or_b32 exec_lo, exec_lo, s11
	s_delay_alu instid0(VALU_DEP_1)
	v_mov_b32_e32 v147, v144
.LBB2_1130:                             ;   in Loop: Header=BB2_1119 Depth=3
	s_or_b32 exec_lo, exec_lo, s15
	s_delay_alu instid0(VALU_DEP_1)
	v_mov_b32_e32 v84, v147
.LBB2_1131:                             ;   in Loop: Header=BB2_1119 Depth=3
	s_waitcnt vmcnt(5) lgkmcnt(5)
	v_and_b32_e32 v144, 0x7fff, v145
	s_waitcnt vmcnt(2) lgkmcnt(2)
	v_and_b32_e32 v147, 0x7fff, v146
	s_mov_b32 s15, -1
	s_and_not1_b32 vcc_lo, exec_lo, s35
	v_cmp_lt_u16_e64 s13, 0x7c00, v144
	s_delay_alu instid0(VALU_DEP_2) | instskip(NEXT) | instid1(VALU_DEP_1)
	v_cmp_gt_u16_e64 s14, 0x7c01, v147
                                        ; implicit-def: $vgpr144
	s_and_b32 s11, s13, s14
	s_delay_alu instid0(SALU_CYCLE_1)
	s_xor_b32 s11, s11, -1
	s_cbranch_vccnz .LBB2_1137
; %bb.1132:                             ;   in Loop: Header=BB2_1119 Depth=3
	v_mov_b32_e32 v144, v146
	s_and_saveexec_b32 s24, s11
	s_cbranch_execz .LBB2_1136
; %bb.1133:                             ;   in Loop: Header=BB2_1119 Depth=3
	v_mov_b32_e32 v144, v145
	s_or_b32 s15, s13, s14
	s_delay_alu instid0(SALU_CYCLE_1)
	s_and_saveexec_b32 s36, s15
; %bb.1134:                             ;   in Loop: Header=BB2_1119 Depth=3
	v_cmp_gt_f16_e64 s15, v145, v146
	v_cmp_lt_u16_e64 vcc_lo, 0x7c00, v147
	s_delay_alu instid0(VALU_DEP_2) | instskip(NEXT) | instid1(VALU_DEP_2)
	v_cndmask_b32_e64 v144, v146, v145, s15
	s_and_b32 s15, s13, vcc_lo
	s_delay_alu instid0(VALU_DEP_1) | instid1(SALU_CYCLE_1)
	v_cndmask_b32_e64 v144, v144, 0x7fff, s15
; %bb.1135:                             ;   in Loop: Header=BB2_1119 Depth=3
	s_or_b32 exec_lo, exec_lo, s36
.LBB2_1136:                             ;   in Loop: Header=BB2_1119 Depth=3
	s_delay_alu instid0(SALU_CYCLE_1)
	s_or_b32 exec_lo, exec_lo, s24
	s_mov_b32 s15, 0
.LBB2_1137:                             ;   in Loop: Header=BB2_1119 Depth=3
	s_delay_alu instid0(SALU_CYCLE_1)
	s_and_not1_b32 vcc_lo, exec_lo, s15
	s_cbranch_vccnz .LBB2_1143
; %bb.1138:                             ;   in Loop: Header=BB2_1119 Depth=3
	s_and_saveexec_b32 s15, s11
	s_cbranch_execz .LBB2_1142
; %bb.1139:                             ;   in Loop: Header=BB2_1119 Depth=3
	s_or_b32 s14, s13, s14
	s_delay_alu instid0(SALU_CYCLE_1)
	s_and_saveexec_b32 s11, s14
; %bb.1140:                             ;   in Loop: Header=BB2_1119 Depth=3
	v_cmp_gt_f16_e64 s14, v145, v146
	v_cmp_lt_u16_e64 vcc_lo, 0x7c00, v147
	s_delay_alu instid0(VALU_DEP_2) | instskip(NEXT) | instid1(VALU_DEP_2)
	v_cndmask_b32_e64 v144, v145, v146, s14
	s_and_b32 s13, s13, vcc_lo
	s_delay_alu instid0(VALU_DEP_1) | instid1(SALU_CYCLE_1)
	v_cndmask_b32_e64 v145, v144, 0x7fff, s13
; %bb.1141:                             ;   in Loop: Header=BB2_1119 Depth=3
	s_or_b32 exec_lo, exec_lo, s11
	s_delay_alu instid0(VALU_DEP_1)
	v_mov_b32_e32 v146, v145
.LBB2_1142:                             ;   in Loop: Header=BB2_1119 Depth=3
	s_or_b32 exec_lo, exec_lo, s15
	s_delay_alu instid0(VALU_DEP_1)
	v_mov_b32_e32 v144, v146
.LBB2_1143:                             ;   in Loop: Header=BB2_1119 Depth=3
	v_and_b32_e32 v145, 0x7fff, v85
	s_waitcnt vmcnt(1) lgkmcnt(1)
	v_and_b32_e32 v146, 0x7fff, v135
	s_mov_b32 s15, -1
	s_and_not1_b32 vcc_lo, exec_lo, s35
	v_cmp_lt_u16_e64 s13, 0x7c00, v145
	s_delay_alu instid0(VALU_DEP_2) | instskip(NEXT) | instid1(VALU_DEP_1)
	v_cmp_gt_u16_e64 s14, 0x7c01, v146
                                        ; implicit-def: $vgpr145
	s_and_b32 s11, s13, s14
	s_delay_alu instid0(SALU_CYCLE_1)
	s_xor_b32 s11, s11, -1
	s_cbranch_vccnz .LBB2_1149
; %bb.1144:                             ;   in Loop: Header=BB2_1119 Depth=3
	v_mov_b32_e32 v145, v135
	s_and_saveexec_b32 s24, s11
	s_cbranch_execz .LBB2_1148
; %bb.1145:                             ;   in Loop: Header=BB2_1119 Depth=3
	v_mov_b32_e32 v145, v85
	s_or_b32 s15, s13, s14
	s_delay_alu instid0(SALU_CYCLE_1)
	s_and_saveexec_b32 s36, s15
; %bb.1146:                             ;   in Loop: Header=BB2_1119 Depth=3
	v_cmp_gt_f16_e64 s15, v85, v135
	v_cmp_lt_u16_e64 vcc_lo, 0x7c00, v146
	s_delay_alu instid0(VALU_DEP_2) | instskip(NEXT) | instid1(VALU_DEP_2)
	v_cndmask_b32_e64 v145, v135, v85, s15
	s_and_b32 s15, s13, vcc_lo
	s_delay_alu instid0(VALU_DEP_1) | instid1(SALU_CYCLE_1)
	v_cndmask_b32_e64 v145, v145, 0x7fff, s15
; %bb.1147:                             ;   in Loop: Header=BB2_1119 Depth=3
	s_or_b32 exec_lo, exec_lo, s36
.LBB2_1148:                             ;   in Loop: Header=BB2_1119 Depth=3
	s_delay_alu instid0(SALU_CYCLE_1)
	s_or_b32 exec_lo, exec_lo, s24
	s_mov_b32 s15, 0
.LBB2_1149:                             ;   in Loop: Header=BB2_1119 Depth=3
	s_delay_alu instid0(SALU_CYCLE_1)
	s_and_not1_b32 vcc_lo, exec_lo, s15
	s_cbranch_vccnz .LBB2_1155
; %bb.1150:                             ;   in Loop: Header=BB2_1119 Depth=3
	s_and_saveexec_b32 s15, s11
	s_cbranch_execz .LBB2_1154
; %bb.1151:                             ;   in Loop: Header=BB2_1119 Depth=3
	s_or_b32 s14, s13, s14
	s_delay_alu instid0(SALU_CYCLE_1)
	s_and_saveexec_b32 s11, s14
; %bb.1152:                             ;   in Loop: Header=BB2_1119 Depth=3
	v_cmp_gt_f16_e64 s14, v85, v135
	v_cmp_lt_u16_e64 vcc_lo, 0x7c00, v146
	s_delay_alu instid0(VALU_DEP_2) | instskip(NEXT) | instid1(VALU_DEP_2)
	v_cndmask_b32_e64 v85, v85, v135, s14
	s_and_b32 s13, s13, vcc_lo
	s_delay_alu instid0(VALU_DEP_1) | instid1(SALU_CYCLE_1)
	v_cndmask_b32_e64 v85, v85, 0x7fff, s13
; %bb.1153:                             ;   in Loop: Header=BB2_1119 Depth=3
	s_or_b32 exec_lo, exec_lo, s11
	s_delay_alu instid0(VALU_DEP_1)
	v_mov_b32_e32 v135, v85
.LBB2_1154:                             ;   in Loop: Header=BB2_1119 Depth=3
	s_or_b32 exec_lo, exec_lo, s15
	s_delay_alu instid0(VALU_DEP_1)
	v_mov_b32_e32 v145, v135
.LBB2_1155:                             ;   in Loop: Header=BB2_1119 Depth=3
	v_and_b32_e32 v135, 0x7fff, v82
	s_waitcnt vmcnt(0) lgkmcnt(0)
	v_and_b32_e32 v85, 0x7fff, v83
	s_mov_b32 s15, -1
	s_and_not1_b32 vcc_lo, exec_lo, s35
	v_cmp_lt_u16_e64 s13, 0x7c00, v135
	s_delay_alu instid0(VALU_DEP_2) | instskip(NEXT) | instid1(VALU_DEP_1)
	v_cmp_gt_u16_e64 s14, 0x7c01, v85
                                        ; implicit-def: $vgpr135
	s_and_b32 s11, s13, s14
	s_delay_alu instid0(SALU_CYCLE_1)
	s_xor_b32 s11, s11, -1
	s_cbranch_vccnz .LBB2_1161
; %bb.1156:                             ;   in Loop: Header=BB2_1119 Depth=3
	v_mov_b32_e32 v135, v83
	s_and_saveexec_b32 s24, s11
	s_cbranch_execz .LBB2_1160
; %bb.1157:                             ;   in Loop: Header=BB2_1119 Depth=3
	v_mov_b32_e32 v135, v82
	s_or_b32 s15, s13, s14
	s_delay_alu instid0(SALU_CYCLE_1)
	s_and_saveexec_b32 s36, s15
; %bb.1158:                             ;   in Loop: Header=BB2_1119 Depth=3
	v_cmp_gt_f16_e64 s15, v82, v83
	v_cmp_lt_u16_e32 vcc_lo, 0x7c00, v85
	s_delay_alu instid0(VALU_DEP_2)
	v_cndmask_b32_e64 v135, v83, v82, s15
	s_and_b32 s15, s13, vcc_lo
	s_delay_alu instid0(VALU_DEP_1) | instid1(SALU_CYCLE_1)
	v_cndmask_b32_e64 v135, v135, 0x7fff, s15
; %bb.1159:                             ;   in Loop: Header=BB2_1119 Depth=3
	s_or_b32 exec_lo, exec_lo, s36
.LBB2_1160:                             ;   in Loop: Header=BB2_1119 Depth=3
	s_delay_alu instid0(SALU_CYCLE_1)
	s_or_b32 exec_lo, exec_lo, s24
	s_mov_b32 s15, 0
.LBB2_1161:                             ;   in Loop: Header=BB2_1119 Depth=3
	s_delay_alu instid0(SALU_CYCLE_1)
	s_and_not1_b32 vcc_lo, exec_lo, s15
	s_cbranch_vccnz .LBB2_1118
; %bb.1162:                             ;   in Loop: Header=BB2_1119 Depth=3
	s_and_saveexec_b32 s15, s11
	s_cbranch_execz .LBB2_1117
; %bb.1163:                             ;   in Loop: Header=BB2_1119 Depth=3
	s_or_b32 s14, s13, s14
	s_delay_alu instid0(SALU_CYCLE_1)
	s_and_saveexec_b32 s11, s14
	s_cbranch_execz .LBB2_1116
; %bb.1164:                             ;   in Loop: Header=BB2_1119 Depth=3
	v_cmp_gt_f16_e64 s14, v82, v83
	v_cmp_lt_u16_e32 vcc_lo, 0x7c00, v85
	s_delay_alu instid0(VALU_DEP_2)
	v_cndmask_b32_e64 v82, v82, v83, s14
	s_and_b32 s13, s13, vcc_lo
	s_delay_alu instid0(VALU_DEP_1) | instid1(SALU_CYCLE_1)
	v_cndmask_b32_e64 v82, v82, 0x7fff, s13
	s_branch .LBB2_1116
.LBB2_1165:                             ;   in Loop: Header=BB2_817 Depth=2
	s_or_b32 exec_lo, exec_lo, s34
.LBB2_1166:                             ;   in Loop: Header=BB2_817 Depth=2
	s_delay_alu instid0(SALU_CYCLE_1) | instskip(SKIP_2) | instid1(VALU_DEP_1)
	s_or_b32 exec_lo, exec_lo, s31
	v_lshlrev_b32_e32 v8, 8, v81
	s_mov_b32 s31, exec_lo
	v_cmpx_ne_u32_e64 v71, v8
	s_cbranch_execz .LBB2_1185
; %bb.1167:                             ;   in Loop: Header=BB2_817 Depth=2
	v_ashrrev_i32_e32 v9, 31, v80
	v_lshlrev_b32_e32 v10, 5, v67
	s_delay_alu instid0(VALU_DEP_2) | instskip(NEXT) | instid1(VALU_DEP_1)
	v_lshrrev_b32_e32 v9, 27, v9
	v_add_nc_u32_e32 v9, v80, v9
	s_delay_alu instid0(VALU_DEP_1) | instskip(NEXT) | instid1(VALU_DEP_1)
	v_and_b32_e32 v9, 0xffffffe0, v9
	v_sub_nc_u32_e32 v9, v80, v9
	s_delay_alu instid0(VALU_DEP_1) | instskip(NEXT) | instid1(VALU_DEP_1)
	v_sub_nc_u32_e32 v9, v9, v10
	v_ashrrev_i32_e32 v10, 31, v9
	s_delay_alu instid0(VALU_DEP_1) | instskip(NEXT) | instid1(VALU_DEP_1)
	v_lshrrev_b32_e32 v10, 27, v10
	v_add_nc_u32_e32 v10, v9, v10
	s_delay_alu instid0(VALU_DEP_1) | instskip(SKIP_1) | instid1(VALU_DEP_2)
	v_and_b32_e32 v11, 0x7fffffe0, v10
	v_lshlrev_b32_e32 v10, 1, v10
	v_sub_nc_u32_e32 v9, v9, v11
	s_delay_alu instid0(VALU_DEP_2) | instskip(NEXT) | instid1(VALU_DEP_2)
	v_and_b32_e32 v10, 0xffffffc0, v10
	v_lshlrev_b32_e32 v9, 1, v9
	s_delay_alu instid0(VALU_DEP_1) | instskip(NEXT) | instid1(VALU_DEP_1)
	v_add3_u32 v8, v10, v9, v8
	v_sub_nc_u32_e32 v67, v71, v8
	s_delay_alu instid0(VALU_DEP_1)
	v_cmp_lt_i32_e32 vcc_lo, 1, v67
	s_and_b32 exec_lo, exec_lo, vcc_lo
	s_cbranch_execz .LBB2_1185
; %bb.1168:                             ;   in Loop: Header=BB2_817 Depth=2
	s_cbranch_execnz .LBB2_2580
; %bb.1169:                             ;   in Loop: Header=BB2_817 Depth=2
	ds_load_b128 v[9:12], v0
	v_add_nc_u32_e32 v13, v8, v70
	s_bitcmp1_b32 s30, 0
	s_mov_b32 s34, 0
	s_cselect_b32 s35, -1, 0
	s_delay_alu instid0(VALU_DEP_1) | instskip(SKIP_2) | instid1(VALU_DEP_2)
	v_ashrrev_i32_e32 v14, 31, v13
	s_waitcnt lgkmcnt(0)
	v_add_co_u32 v8, vcc_lo, v9, v13
	v_add_co_ci_u32_e32 v9, vcc_lo, v10, v14, vcc_lo
	v_add_co_u32 v10, vcc_lo, v11, v13
	v_add_co_ci_u32_e32 v11, vcc_lo, v12, v14, vcc_lo
	s_delay_alu instid0(VALU_DEP_3) | instskip(NEXT) | instid1(VALU_DEP_2)
	v_dual_mov_b32 v13, v9 :: v_dual_mov_b32 v12, v8
	v_dual_mov_b32 v15, v11 :: v_dual_mov_b32 v14, v10
.LBB2_1170:                             ;   Parent Loop BB2_51 Depth=1
                                        ;     Parent Loop BB2_817 Depth=2
                                        ; =>    This Loop Header: Depth=3
                                        ;         Child Loop BB2_1183 Depth 4
	flat_load_u16 v70, v[12:13] slc dlc
	flat_load_u16 v80, v[14:15] slc dlc
	s_mov_b32 s15, -1
	s_and_b32 vcc_lo, exec_lo, s35
	s_waitcnt vmcnt(1) lgkmcnt(1)
	v_and_b32_e32 v71, 0x7fff, v70
	s_waitcnt vmcnt(0) lgkmcnt(0)
	v_and_b32_e32 v81, 0x7fff, v80
	s_delay_alu instid0(VALU_DEP_2) | instskip(NEXT) | instid1(VALU_DEP_2)
	v_cmp_lt_u16_e64 s13, 0x7c00, v71
	v_cmp_gt_u16_e64 s14, 0x7c01, v81
                                        ; implicit-def: $vgpr71
	s_delay_alu instid0(VALU_DEP_1) | instskip(NEXT) | instid1(SALU_CYCLE_1)
	s_and_b32 s11, s13, s14
	s_xor_b32 s11, s11, -1
	s_cbranch_vccz .LBB2_1176
; %bb.1171:                             ;   in Loop: Header=BB2_1170 Depth=3
	v_mov_b32_e32 v71, v80
	s_and_saveexec_b32 s24, s11
	s_cbranch_execz .LBB2_1175
; %bb.1172:                             ;   in Loop: Header=BB2_1170 Depth=3
	v_mov_b32_e32 v71, v70
	s_or_b32 s15, s13, s14
	s_delay_alu instid0(SALU_CYCLE_1)
	s_and_saveexec_b32 s36, s15
; %bb.1173:                             ;   in Loop: Header=BB2_1170 Depth=3
	v_cmp_gt_f16_e64 s15, v70, v80
	v_cmp_lt_u16_e32 vcc_lo, 0x7c00, v81
	s_delay_alu instid0(VALU_DEP_2)
	v_cndmask_b32_e64 v71, v80, v70, s15
	s_and_b32 s15, s13, vcc_lo
	s_delay_alu instid0(VALU_DEP_1) | instid1(SALU_CYCLE_1)
	v_cndmask_b32_e64 v71, v71, 0x7fff, s15
; %bb.1174:                             ;   in Loop: Header=BB2_1170 Depth=3
	s_or_b32 exec_lo, exec_lo, s36
.LBB2_1175:                             ;   in Loop: Header=BB2_1170 Depth=3
	s_delay_alu instid0(SALU_CYCLE_1)
	s_or_b32 exec_lo, exec_lo, s24
	s_mov_b32 s15, 0
.LBB2_1176:                             ;   in Loop: Header=BB2_1170 Depth=3
	s_delay_alu instid0(SALU_CYCLE_1)
	s_and_not1_b32 vcc_lo, exec_lo, s15
	s_cbranch_vccnz .LBB2_1182
; %bb.1177:                             ;   in Loop: Header=BB2_1170 Depth=3
	s_and_saveexec_b32 s15, s11
	s_cbranch_execz .LBB2_1181
; %bb.1178:                             ;   in Loop: Header=BB2_1170 Depth=3
	s_or_b32 s14, s13, s14
	s_delay_alu instid0(SALU_CYCLE_1)
	s_and_saveexec_b32 s11, s14
; %bb.1179:                             ;   in Loop: Header=BB2_1170 Depth=3
	v_cmp_gt_f16_e64 s14, v70, v80
	v_cmp_lt_u16_e32 vcc_lo, 0x7c00, v81
	s_delay_alu instid0(VALU_DEP_2)
	v_cndmask_b32_e64 v70, v70, v80, s14
	s_and_b32 s13, s13, vcc_lo
	s_delay_alu instid0(VALU_DEP_1) | instid1(SALU_CYCLE_1)
	v_cndmask_b32_e64 v70, v70, 0x7fff, s13
; %bb.1180:                             ;   in Loop: Header=BB2_1170 Depth=3
	s_or_b32 exec_lo, exec_lo, s11
	s_delay_alu instid0(VALU_DEP_1)
	v_mov_b32_e32 v80, v70
.LBB2_1181:                             ;   in Loop: Header=BB2_1170 Depth=3
	s_or_b32 exec_lo, exec_lo, s15
	s_delay_alu instid0(VALU_DEP_1)
	v_mov_b32_e32 v71, v80
.LBB2_1182:                             ;   in Loop: Header=BB2_1170 Depth=3
	s_mov_b64 s[14:15], 0
	s_mov_b32 s11, -1
.LBB2_1183:                             ;   Parent Loop BB2_51 Depth=1
                                        ;     Parent Loop BB2_817 Depth=2
                                        ;       Parent Loop BB2_1170 Depth=3
                                        ; =>      This Inner Loop Header: Depth=4
	s_cmp_eq_u32 s14, 0
	v_cndmask_b32_e64 v70, 0, 1, s11
	s_cselect_b32 vcc_lo, -1, 0
	s_cmp_eq_u32 s14, 1
	s_mov_b32 s11, 0
	s_cselect_b32 s13, -1, 0
	s_delay_alu instid0(SALU_CYCLE_1) | instskip(SKIP_1) | instid1(VALU_DEP_2)
	v_cndmask_b32_e64 v80, v8, v10, s13
	v_cndmask_b32_e64 v81, v9, v11, s13
	v_add_co_u32 v82, s14, v80, 64
	s_delay_alu instid0(VALU_DEP_1) | instskip(SKIP_1) | instid1(VALU_DEP_3)
	v_add_co_ci_u32_e64 v83, s14, 0, v81, s14
	v_cmp_ne_u32_e64 s14, 1, v70
	v_cndmask_b32_e64 v10, v10, v82, s13
	v_cndmask_b32_e32 v8, v8, v82, vcc_lo
	s_delay_alu instid0(VALU_DEP_4)
	v_cndmask_b32_e64 v11, v11, v83, s13
	v_cndmask_b32_e32 v9, v9, v83, vcc_lo
	s_and_b32 vcc_lo, exec_lo, s14
	s_mov_b64 s[14:15], 1
	flat_store_b16 v[80:81], v71 glc slc dlc
	s_cbranch_vccz .LBB2_1183
; %bb.1184:                             ;   in Loop: Header=BB2_1170 Depth=3
	v_add_co_u32 v12, vcc_lo, v12, v128
	v_add_co_ci_u32_e32 v13, vcc_lo, v13, v129, vcc_lo
	v_add_co_u32 v14, vcc_lo, v14, v128
	v_sub_nc_u32_e32 v67, v67, v113
	v_add_co_ci_u32_e32 v15, vcc_lo, v15, v129, vcc_lo
	v_add_co_u32 v8, vcc_lo, v8, v116
	v_add_co_ci_u32_e32 v9, vcc_lo, v9, v119, vcc_lo
	s_delay_alu instid0(VALU_DEP_4) | instskip(SKIP_1) | instid1(VALU_DEP_1)
	v_cmp_gt_i32_e32 vcc_lo, 2, v67
	v_add_co_u32 v10, s13, v10, v116
	v_add_co_ci_u32_e64 v11, s13, v11, v119, s13
	s_or_b32 s34, vcc_lo, s34
	s_delay_alu instid0(SALU_CYCLE_1)
	s_and_not1_b32 exec_lo, exec_lo, s34
	s_cbranch_execnz .LBB2_1170
.LBB2_1185:                             ;   in Loop: Header=BB2_817 Depth=2
	s_or_b32 exec_lo, exec_lo, s31
.LBB2_1186:                             ;   in Loop: Header=BB2_817 Depth=2
	s_delay_alu instid0(SALU_CYCLE_1)
	s_or_b32 exec_lo, exec_lo, s16
	s_mov_b32 s11, 0
.LBB2_1187:                             ;   in Loop: Header=BB2_817 Depth=2
	s_delay_alu instid0(SALU_CYCLE_1)
	s_and_b32 vcc_lo, exec_lo, s11
	s_cbranch_vccz .LBB2_1474
; %bb.1188:                             ;   in Loop: Header=BB2_817 Depth=2
	s_mov_b32 s11, -1
	s_and_saveexec_b32 s13, s12
	s_cbranch_execz .LBB2_1190
; %bb.1189:                             ;   in Loop: Header=BB2_817 Depth=2
	ds_load_b32 v8, v0 offset:720
	s_waitcnt lgkmcnt(0)
	v_and_b32_e32 v8, 15, v8
	s_delay_alu instid0(VALU_DEP_1)
	v_cmp_eq_u32_e32 vcc_lo, 0, v8
	s_or_not1_b32 s11, vcc_lo, exec_lo
.LBB2_1190:                             ;   in Loop: Header=BB2_817 Depth=2
	s_or_b32 exec_lo, exec_lo, s13
	s_and_saveexec_b32 s13, s5
	s_cbranch_execz .LBB2_1192
; %bb.1191:                             ;   in Loop: Header=BB2_817 Depth=2
	ds_load_b32 v8, v0 offset:784
	s_waitcnt lgkmcnt(0)
	v_and_b32_e32 v8, 15, v8
	s_delay_alu instid0(VALU_DEP_1) | instskip(SKIP_3) | instid1(SALU_CYCLE_1)
	v_cmp_eq_u32_e32 vcc_lo, 0, v8
	s_and_b32 s14, s11, vcc_lo
	s_and_not1_b32 s11, s11, exec_lo
	s_and_b32 s14, s14, exec_lo
	s_or_b32 s11, s11, s14
.LBB2_1192:                             ;   in Loop: Header=BB2_817 Depth=2
	s_or_b32 exec_lo, exec_lo, s13
	s_xor_b32 s11, s11, -1
	v_mov_b32_e32 v14, 0
	v_cndmask_b32_e64 v8, 0, 1, s11
	;;#ASMSTART
	;;#ASMEND
	s_delay_alu instid0(VALU_DEP_1)
	v_cmp_ne_u32_e32 vcc_lo, 0, v8
	s_mov_b32 s11, -1
	s_cbranch_vccz .LBB2_1194
; %bb.1193:                             ;   in Loop: Header=BB2_817 Depth=2
	v_dual_mov_b32 v15, v0 :: v_dual_mov_b32 v8, v97
	s_branch .LBB2_1401
.LBB2_1194:                             ;   in Loop: Header=BB2_817 Depth=2
	v_ashrrev_i32_e32 v8, 31, v2
	v_sub_nc_u32_e32 v84, v2, v130
	s_mov_b32 s31, exec_lo
	s_delay_alu instid0(VALU_DEP_2) | instskip(NEXT) | instid1(VALU_DEP_1)
	v_lshrrev_b32_e32 v8, 23, v8
	v_add_nc_u32_e32 v8, v2, v8
	s_delay_alu instid0(VALU_DEP_1) | instskip(SKIP_1) | instid1(VALU_DEP_2)
	v_and_b32_e32 v67, 0xfffffe00, v8
	v_ashrrev_i32_e32 v8, 9, v8
	v_sub_nc_u32_e32 v85, v2, v67
	s_delay_alu instid0(VALU_DEP_1) | instskip(NEXT) | instid1(VALU_DEP_1)
	v_cmp_lt_i32_e64 s13, 15, v85
	v_add_co_ci_u32_e64 v135, vcc_lo, v8, v131, s13
	v_cmpx_lt_i32_e32 15, v84
	s_cbranch_execz .LBB2_1295
; %bb.1195:                             ;   in Loop: Header=BB2_817 Depth=2
	s_cbranch_execnz .LBB2_2546
; %bb.1196:                             ;   in Loop: Header=BB2_817 Depth=2
	ds_load_b128 v[8:11], v0
	ds_load_b64 v[12:13], v0
	s_bitcmp1_b32 s30, 0
	s_mov_b32 s34, 0
	s_cselect_b32 s35, -1, 0
	s_waitcnt lgkmcnt(1)
	v_add_co_u32 v70, vcc_lo, v8, v130
	v_add_co_ci_u32_e32 v71, vcc_lo, v9, v132, vcc_lo
	v_add_co_u32 v80, vcc_lo, v10, v130
	v_add_co_ci_u32_e32 v81, vcc_lo, v11, v132, vcc_lo
	s_waitcnt lgkmcnt(0)
	v_add_co_u32 v82, vcc_lo, v12, v130
	v_add_co_ci_u32_e32 v83, vcc_lo, v13, v132, vcc_lo
	s_branch .LBB2_1200
.LBB2_1197:                             ;   in Loop: Header=BB2_1200 Depth=3
	s_or_b32 exec_lo, exec_lo, s11
	s_delay_alu instid0(VALU_DEP_1)
	v_mov_b32_e32 v147, v145
.LBB2_1198:                             ;   in Loop: Header=BB2_1200 Depth=3
	s_or_b32 exec_lo, exec_lo, s16
	s_delay_alu instid0(VALU_DEP_1)
	v_mov_b32_e32 v15, v147
.LBB2_1199:                             ;   in Loop: Header=BB2_1200 Depth=3
	v_lshlrev_b32_e32 v8, 16, v8
	v_and_b32_e32 v11, 0xffff, v144
	v_lshlrev_b32_e32 v14, 16, v14
	v_and_b32_e32 v13, 0xffff, v13
	;; [unrolled: 2-line block ×3, first 2 shown]
	v_or_b32_e32 v8, v8, v11
	v_lshlrev_b32_e32 v11, 16, v15
	v_and_b32_e32 v10, 0xffff, v10
	v_or_b32_e32 v13, v14, v13
	v_add_co_u32 v70, vcc_lo, v70, v114
	v_or3_b32 v9, v12, v9, 0
	v_or3_b32 v8, 0, 0, v8
	;; [unrolled: 1-line block ×4, first 2 shown]
	v_sub_nc_u32_e32 v84, v84, v100
	v_add_co_ci_u32_e32 v71, vcc_lo, v71, v115, vcc_lo
	v_add_co_u32 v80, vcc_lo, v80, v114
	v_add_co_ci_u32_e32 v81, vcc_lo, v81, v115, vcc_lo
	global_store_b128 v[82:83], v[8:11], off glc slc dlc
	v_cmp_gt_i32_e32 vcc_lo, 16, v84
	v_add_co_u32 v82, s14, v82, v114
	s_delay_alu instid0(VALU_DEP_1) | instskip(SKIP_2) | instid1(SALU_CYCLE_1)
	v_add_co_ci_u32_e64 v83, s14, v83, v115, s14
	v_sub_nc_u32_e32 v135, v135, v99
	s_or_b32 s34, vcc_lo, s34
	s_and_not1_b32 exec_lo, exec_lo, s34
	s_cbranch_execz .LBB2_1294
.LBB2_1200:                             ;   Parent Loop BB2_51 Depth=1
                                        ;     Parent Loop BB2_817 Depth=2
                                        ; =>    This Inner Loop Header: Depth=3
	global_load_b128 v[12:15], v[70:71], off slc dlc
	global_load_b128 v[8:11], v[80:81], off slc dlc
	s_mov_b32 s16, -1
	s_and_b32 vcc_lo, exec_lo, s35
	s_waitcnt vmcnt(1)
	v_and_b32_e32 v144, 0x7fff, v12
	s_waitcnt vmcnt(0)
	v_and_b32_e32 v145, 0x7fff, v8
	v_perm_b32 v146, v8, v12, 0x5040100
	s_delay_alu instid0(VALU_DEP_3) | instskip(NEXT) | instid1(VALU_DEP_3)
	v_cmp_lt_u16_e64 s14, 0x7c00, v144
	v_cmp_gt_u16_e64 s15, 0x7c01, v145
                                        ; implicit-def: $vgpr144
	s_delay_alu instid0(VALU_DEP_1) | instskip(NEXT) | instid1(SALU_CYCLE_1)
	s_and_b32 s11, s14, s15
	s_xor_b32 s11, s11, -1
	s_cbranch_vccz .LBB2_1206
; %bb.1201:                             ;   in Loop: Header=BB2_1200 Depth=3
	v_mov_b32_e32 v144, v8
	s_and_saveexec_b32 s24, s11
	s_cbranch_execz .LBB2_1205
; %bb.1202:                             ;   in Loop: Header=BB2_1200 Depth=3
	v_mov_b32_e32 v144, v12
	s_or_b32 s16, s14, s15
	s_delay_alu instid0(SALU_CYCLE_1)
	s_and_saveexec_b32 s36, s16
; %bb.1203:                             ;   in Loop: Header=BB2_1200 Depth=3
	v_lshrrev_b32_e32 v144, 16, v146
	v_cmp_lt_u16_e64 vcc_lo, 0x7c00, v145
	s_delay_alu instid0(VALU_DEP_2) | instskip(NEXT) | instid1(VALU_DEP_1)
	v_cmp_gt_f16_e64 s16, v146, v144
	v_cndmask_b32_e64 v144, v144, v146, s16
	s_delay_alu instid0(VALU_DEP_3)
	s_and_b32 s16, s14, vcc_lo
	s_delay_alu instid0(VALU_DEP_1) | instid1(SALU_CYCLE_1)
	v_cndmask_b32_e64 v144, v144, 0x7fff, s16
; %bb.1204:                             ;   in Loop: Header=BB2_1200 Depth=3
	s_or_b32 exec_lo, exec_lo, s36
.LBB2_1205:                             ;   in Loop: Header=BB2_1200 Depth=3
	s_delay_alu instid0(SALU_CYCLE_1)
	s_or_b32 exec_lo, exec_lo, s24
	s_mov_b32 s16, 0
.LBB2_1206:                             ;   in Loop: Header=BB2_1200 Depth=3
	s_delay_alu instid0(SALU_CYCLE_1)
	s_and_not1_b32 vcc_lo, exec_lo, s16
	s_cbranch_vccnz .LBB2_1212
; %bb.1207:                             ;   in Loop: Header=BB2_1200 Depth=3
	v_mov_b32_e32 v144, v8
	s_and_saveexec_b32 s16, s11
	s_cbranch_execz .LBB2_1211
; %bb.1208:                             ;   in Loop: Header=BB2_1200 Depth=3
	v_mov_b32_e32 v144, v12
	s_or_b32 s15, s14, s15
	s_delay_alu instid0(SALU_CYCLE_1)
	s_and_saveexec_b32 s11, s15
; %bb.1209:                             ;   in Loop: Header=BB2_1200 Depth=3
	v_lshrrev_b32_e32 v144, 16, v146
	v_cmp_lt_u16_e64 vcc_lo, 0x7c00, v145
	s_delay_alu instid0(VALU_DEP_2) | instskip(NEXT) | instid1(VALU_DEP_2)
	v_cmp_gt_f16_e64 s15, v146, v144
	s_and_b32 s14, s14, vcc_lo
	s_delay_alu instid0(VALU_DEP_1) | instskip(NEXT) | instid1(VALU_DEP_1)
	v_cndmask_b32_e64 v144, v146, v144, s15
	v_cndmask_b32_e64 v144, v144, 0x7fff, s14
; %bb.1210:                             ;   in Loop: Header=BB2_1200 Depth=3
	s_or_b32 exec_lo, exec_lo, s11
.LBB2_1211:                             ;   in Loop: Header=BB2_1200 Depth=3
	s_delay_alu instid0(SALU_CYCLE_1)
	s_or_b32 exec_lo, exec_lo, s16
.LBB2_1212:                             ;   in Loop: Header=BB2_1200 Depth=3
	v_mov_b32_e32 v148, v12
	v_mov_b32_e32 v12, v13
	;; [unrolled: 1-line block ×3, first 2 shown]
	s_mov_b32 s16, -1
	s_and_b32 vcc_lo, exec_lo, s35
	v_lshrrev_b32_e32 v145, 16, v148
	s_delay_alu instid0(VALU_DEP_1) | instskip(NEXT) | instid1(VALU_DEP_1)
	v_dual_mov_b32 v149, v8 :: v_dual_and_b32 v8, 0x7fff, v145
	v_lshrrev_b32_e32 v147, 16, v149
	v_perm_b32 v9, v149, v148, 0x7060302
	s_delay_alu instid0(VALU_DEP_3) | instskip(NEXT) | instid1(VALU_DEP_3)
	v_cmp_lt_u16_e64 s14, 0x7c00, v8
	v_and_b32_e32 v146, 0x7fff, v147
                                        ; implicit-def: $vgpr8
	s_delay_alu instid0(VALU_DEP_1) | instskip(NEXT) | instid1(VALU_DEP_1)
	v_cmp_gt_u16_e64 s15, 0x7c01, v146
	s_and_b32 s11, s14, s15
	s_delay_alu instid0(SALU_CYCLE_1)
	s_xor_b32 s11, s11, -1
	s_cbranch_vccz .LBB2_1218
; %bb.1213:                             ;   in Loop: Header=BB2_1200 Depth=3
	v_mov_b32_e32 v8, v147
	s_and_saveexec_b32 s24, s11
	s_cbranch_execz .LBB2_1217
; %bb.1214:                             ;   in Loop: Header=BB2_1200 Depth=3
	v_mov_b32_e32 v8, v145
	s_or_b32 s16, s14, s15
	s_delay_alu instid0(SALU_CYCLE_1)
	s_and_saveexec_b32 s36, s16
; %bb.1215:                             ;   in Loop: Header=BB2_1200 Depth=3
	v_lshrrev_b32_e32 v8, 16, v9
	v_cmp_lt_u16_e64 vcc_lo, 0x7c00, v146
	s_delay_alu instid0(VALU_DEP_2) | instskip(NEXT) | instid1(VALU_DEP_1)
	v_cmp_gt_f16_e64 s16, v9, v8
	v_cndmask_b32_e64 v8, v8, v9, s16
	s_delay_alu instid0(VALU_DEP_3)
	s_and_b32 s16, s14, vcc_lo
	s_delay_alu instid0(VALU_DEP_1) | instid1(SALU_CYCLE_1)
	v_cndmask_b32_e64 v8, v8, 0x7fff, s16
; %bb.1216:                             ;   in Loop: Header=BB2_1200 Depth=3
	s_or_b32 exec_lo, exec_lo, s36
.LBB2_1217:                             ;   in Loop: Header=BB2_1200 Depth=3
	s_delay_alu instid0(SALU_CYCLE_1)
	s_or_b32 exec_lo, exec_lo, s24
	s_mov_b32 s16, 0
.LBB2_1218:                             ;   in Loop: Header=BB2_1200 Depth=3
	s_delay_alu instid0(SALU_CYCLE_1)
	s_and_not1_b32 vcc_lo, exec_lo, s16
	s_cbranch_vccnz .LBB2_1224
; %bb.1219:                             ;   in Loop: Header=BB2_1200 Depth=3
	s_and_saveexec_b32 s16, s11
	s_cbranch_execz .LBB2_1223
; %bb.1220:                             ;   in Loop: Header=BB2_1200 Depth=3
	s_or_b32 s15, s14, s15
	s_delay_alu instid0(SALU_CYCLE_1)
	s_and_saveexec_b32 s11, s15
; %bb.1221:                             ;   in Loop: Header=BB2_1200 Depth=3
	v_lshrrev_b32_e32 v8, 16, v9
	v_cmp_lt_u16_e64 vcc_lo, 0x7c00, v146
	s_delay_alu instid0(VALU_DEP_2) | instskip(NEXT) | instid1(VALU_DEP_2)
	v_cmp_gt_f16_e64 s15, v9, v8
	s_and_b32 s14, s14, vcc_lo
	s_delay_alu instid0(VALU_DEP_1) | instskip(NEXT) | instid1(VALU_DEP_1)
	v_cndmask_b32_e64 v8, v9, v8, s15
	v_cndmask_b32_e64 v145, v8, 0x7fff, s14
; %bb.1222:                             ;   in Loop: Header=BB2_1200 Depth=3
	s_or_b32 exec_lo, exec_lo, s11
	s_delay_alu instid0(VALU_DEP_1)
	v_mov_b32_e32 v147, v145
.LBB2_1223:                             ;   in Loop: Header=BB2_1200 Depth=3
	s_or_b32 exec_lo, exec_lo, s16
	s_delay_alu instid0(VALU_DEP_1)
	v_mov_b32_e32 v8, v147
.LBB2_1224:                             ;   in Loop: Header=BB2_1200 Depth=3
	v_and_b32_e32 v9, 0x7fff, v12
	v_and_b32_e32 v145, 0x7fff, v13
	v_perm_b32 v146, v13, v12, 0x5040100
	s_mov_b32 s16, -1
	s_and_b32 vcc_lo, exec_lo, s35
	v_cmp_lt_u16_e64 s14, 0x7c00, v9
	v_cmp_gt_u16_e64 s15, 0x7c01, v145
                                        ; implicit-def: $vgpr9
	s_delay_alu instid0(VALU_DEP_1) | instskip(NEXT) | instid1(SALU_CYCLE_1)
	s_and_b32 s11, s14, s15
	s_xor_b32 s11, s11, -1
	s_cbranch_vccz .LBB2_1230
; %bb.1225:                             ;   in Loop: Header=BB2_1200 Depth=3
	v_mov_b32_e32 v9, v13
	s_and_saveexec_b32 s24, s11
	s_cbranch_execz .LBB2_1229
; %bb.1226:                             ;   in Loop: Header=BB2_1200 Depth=3
	v_mov_b32_e32 v9, v12
	s_or_b32 s16, s14, s15
	s_delay_alu instid0(SALU_CYCLE_1)
	s_and_saveexec_b32 s36, s16
; %bb.1227:                             ;   in Loop: Header=BB2_1200 Depth=3
	v_lshrrev_b32_e32 v9, 16, v146
	v_cmp_lt_u16_e64 vcc_lo, 0x7c00, v145
	s_delay_alu instid0(VALU_DEP_2) | instskip(NEXT) | instid1(VALU_DEP_1)
	v_cmp_gt_f16_e64 s16, v146, v9
	v_cndmask_b32_e64 v9, v9, v146, s16
	s_delay_alu instid0(VALU_DEP_3)
	s_and_b32 s16, s14, vcc_lo
	s_delay_alu instid0(VALU_DEP_1) | instid1(SALU_CYCLE_1)
	v_cndmask_b32_e64 v9, v9, 0x7fff, s16
; %bb.1228:                             ;   in Loop: Header=BB2_1200 Depth=3
	s_or_b32 exec_lo, exec_lo, s36
.LBB2_1229:                             ;   in Loop: Header=BB2_1200 Depth=3
	s_delay_alu instid0(SALU_CYCLE_1)
	s_or_b32 exec_lo, exec_lo, s24
	s_mov_b32 s16, 0
.LBB2_1230:                             ;   in Loop: Header=BB2_1200 Depth=3
	s_delay_alu instid0(SALU_CYCLE_1)
	s_and_not1_b32 vcc_lo, exec_lo, s16
	s_cbranch_vccnz .LBB2_1236
; %bb.1231:                             ;   in Loop: Header=BB2_1200 Depth=3
	v_mov_b32_e32 v9, v13
	s_and_saveexec_b32 s16, s11
	s_cbranch_execz .LBB2_1235
; %bb.1232:                             ;   in Loop: Header=BB2_1200 Depth=3
	v_mov_b32_e32 v9, v12
	s_or_b32 s15, s14, s15
	s_delay_alu instid0(SALU_CYCLE_1)
	s_and_saveexec_b32 s11, s15
; %bb.1233:                             ;   in Loop: Header=BB2_1200 Depth=3
	v_lshrrev_b32_e32 v9, 16, v146
	v_cmp_lt_u16_e64 vcc_lo, 0x7c00, v145
	s_delay_alu instid0(VALU_DEP_2) | instskip(NEXT) | instid1(VALU_DEP_2)
	v_cmp_gt_f16_e64 s15, v146, v9
	s_and_b32 s14, s14, vcc_lo
	s_delay_alu instid0(VALU_DEP_1) | instskip(NEXT) | instid1(VALU_DEP_1)
	v_cndmask_b32_e64 v9, v146, v9, s15
	v_cndmask_b32_e64 v9, v9, 0x7fff, s14
; %bb.1234:                             ;   in Loop: Header=BB2_1200 Depth=3
	s_or_b32 exec_lo, exec_lo, s11
.LBB2_1235:                             ;   in Loop: Header=BB2_1200 Depth=3
	s_delay_alu instid0(SALU_CYCLE_1)
	s_or_b32 exec_lo, exec_lo, s16
.LBB2_1236:                             ;   in Loop: Header=BB2_1200 Depth=3
	v_lshrrev_b32_e32 v145, 16, v12
	v_lshrrev_b32_e32 v147, 16, v13
	v_perm_b32 v13, v13, v12, 0x7060302
	s_mov_b32 s16, -1
	s_and_b32 vcc_lo, exec_lo, s35
	v_and_b32_e32 v148, 0x7fff, v145
	v_and_b32_e32 v146, 0x7fff, v147
                                        ; implicit-def: $vgpr12
	s_delay_alu instid0(VALU_DEP_2) | instskip(NEXT) | instid1(VALU_DEP_2)
	v_cmp_lt_u16_e64 s14, 0x7c00, v148
	v_cmp_gt_u16_e64 s15, 0x7c01, v146
	s_delay_alu instid0(VALU_DEP_1) | instskip(NEXT) | instid1(SALU_CYCLE_1)
	s_and_b32 s11, s14, s15
	s_xor_b32 s11, s11, -1
	s_cbranch_vccz .LBB2_1242
; %bb.1237:                             ;   in Loop: Header=BB2_1200 Depth=3
	v_mov_b32_e32 v12, v147
	s_and_saveexec_b32 s24, s11
	s_cbranch_execz .LBB2_1241
; %bb.1238:                             ;   in Loop: Header=BB2_1200 Depth=3
	v_mov_b32_e32 v12, v145
	s_or_b32 s16, s14, s15
	s_delay_alu instid0(SALU_CYCLE_1)
	s_and_saveexec_b32 s36, s16
; %bb.1239:                             ;   in Loop: Header=BB2_1200 Depth=3
	v_lshrrev_b32_e32 v12, 16, v13
	v_cmp_lt_u16_e64 vcc_lo, 0x7c00, v146
	s_delay_alu instid0(VALU_DEP_2) | instskip(NEXT) | instid1(VALU_DEP_1)
	v_cmp_gt_f16_e64 s16, v13, v12
	v_cndmask_b32_e64 v12, v12, v13, s16
	s_delay_alu instid0(VALU_DEP_3)
	s_and_b32 s16, s14, vcc_lo
	s_delay_alu instid0(VALU_DEP_1) | instid1(SALU_CYCLE_1)
	v_cndmask_b32_e64 v12, v12, 0x7fff, s16
; %bb.1240:                             ;   in Loop: Header=BB2_1200 Depth=3
	s_or_b32 exec_lo, exec_lo, s36
.LBB2_1241:                             ;   in Loop: Header=BB2_1200 Depth=3
	s_delay_alu instid0(SALU_CYCLE_1)
	s_or_b32 exec_lo, exec_lo, s24
	s_mov_b32 s16, 0
.LBB2_1242:                             ;   in Loop: Header=BB2_1200 Depth=3
	s_delay_alu instid0(SALU_CYCLE_1)
	s_and_not1_b32 vcc_lo, exec_lo, s16
	s_cbranch_vccnz .LBB2_1248
; %bb.1243:                             ;   in Loop: Header=BB2_1200 Depth=3
	s_and_saveexec_b32 s16, s11
	s_cbranch_execz .LBB2_1247
; %bb.1244:                             ;   in Loop: Header=BB2_1200 Depth=3
	s_or_b32 s15, s14, s15
	s_delay_alu instid0(SALU_CYCLE_1)
	s_and_saveexec_b32 s11, s15
; %bb.1245:                             ;   in Loop: Header=BB2_1200 Depth=3
	v_lshrrev_b32_e32 v12, 16, v13
	v_cmp_lt_u16_e64 vcc_lo, 0x7c00, v146
	s_delay_alu instid0(VALU_DEP_2) | instskip(NEXT) | instid1(VALU_DEP_2)
	v_cmp_gt_f16_e64 s15, v13, v12
	s_and_b32 s14, s14, vcc_lo
	s_delay_alu instid0(VALU_DEP_1) | instskip(NEXT) | instid1(VALU_DEP_1)
	v_cndmask_b32_e64 v12, v13, v12, s15
	v_cndmask_b32_e64 v145, v12, 0x7fff, s14
; %bb.1246:                             ;   in Loop: Header=BB2_1200 Depth=3
	s_or_b32 exec_lo, exec_lo, s11
	s_delay_alu instid0(VALU_DEP_1)
	v_mov_b32_e32 v147, v145
.LBB2_1247:                             ;   in Loop: Header=BB2_1200 Depth=3
	s_or_b32 exec_lo, exec_lo, s16
	s_delay_alu instid0(VALU_DEP_1)
	v_mov_b32_e32 v12, v147
.LBB2_1248:                             ;   in Loop: Header=BB2_1200 Depth=3
	v_and_b32_e32 v13, 0x7fff, v14
	v_and_b32_e32 v145, 0x7fff, v10
	v_perm_b32 v146, v10, v14, 0x5040100
	s_mov_b32 s16, -1
	s_and_b32 vcc_lo, exec_lo, s35
	v_cmp_lt_u16_e64 s14, 0x7c00, v13
	v_cmp_gt_u16_e64 s15, 0x7c01, v145
                                        ; implicit-def: $vgpr13
	s_delay_alu instid0(VALU_DEP_1) | instskip(NEXT) | instid1(SALU_CYCLE_1)
	s_and_b32 s11, s14, s15
	s_xor_b32 s11, s11, -1
	s_cbranch_vccz .LBB2_1254
; %bb.1249:                             ;   in Loop: Header=BB2_1200 Depth=3
	v_mov_b32_e32 v13, v10
	s_and_saveexec_b32 s24, s11
	s_cbranch_execz .LBB2_1253
; %bb.1250:                             ;   in Loop: Header=BB2_1200 Depth=3
	v_mov_b32_e32 v13, v14
	s_or_b32 s16, s14, s15
	s_delay_alu instid0(SALU_CYCLE_1)
	s_and_saveexec_b32 s36, s16
; %bb.1251:                             ;   in Loop: Header=BB2_1200 Depth=3
	v_lshrrev_b32_e32 v13, 16, v146
	v_cmp_lt_u16_e64 vcc_lo, 0x7c00, v145
	s_delay_alu instid0(VALU_DEP_2) | instskip(NEXT) | instid1(VALU_DEP_1)
	v_cmp_gt_f16_e64 s16, v146, v13
	v_cndmask_b32_e64 v13, v13, v146, s16
	s_delay_alu instid0(VALU_DEP_3)
	s_and_b32 s16, s14, vcc_lo
	s_delay_alu instid0(VALU_DEP_1) | instid1(SALU_CYCLE_1)
	v_cndmask_b32_e64 v13, v13, 0x7fff, s16
; %bb.1252:                             ;   in Loop: Header=BB2_1200 Depth=3
	s_or_b32 exec_lo, exec_lo, s36
.LBB2_1253:                             ;   in Loop: Header=BB2_1200 Depth=3
	s_delay_alu instid0(SALU_CYCLE_1)
	s_or_b32 exec_lo, exec_lo, s24
	s_mov_b32 s16, 0
.LBB2_1254:                             ;   in Loop: Header=BB2_1200 Depth=3
	s_delay_alu instid0(SALU_CYCLE_1)
	s_and_not1_b32 vcc_lo, exec_lo, s16
	s_cbranch_vccnz .LBB2_1260
; %bb.1255:                             ;   in Loop: Header=BB2_1200 Depth=3
	v_mov_b32_e32 v13, v10
	s_and_saveexec_b32 s16, s11
	s_cbranch_execz .LBB2_1259
; %bb.1256:                             ;   in Loop: Header=BB2_1200 Depth=3
	v_mov_b32_e32 v13, v14
	s_or_b32 s15, s14, s15
	s_delay_alu instid0(SALU_CYCLE_1)
	s_and_saveexec_b32 s11, s15
; %bb.1257:                             ;   in Loop: Header=BB2_1200 Depth=3
	v_lshrrev_b32_e32 v13, 16, v146
	v_cmp_lt_u16_e64 vcc_lo, 0x7c00, v145
	s_delay_alu instid0(VALU_DEP_2) | instskip(NEXT) | instid1(VALU_DEP_2)
	v_cmp_gt_f16_e64 s15, v146, v13
	s_and_b32 s14, s14, vcc_lo
	s_delay_alu instid0(VALU_DEP_1) | instskip(NEXT) | instid1(VALU_DEP_1)
	v_cndmask_b32_e64 v13, v146, v13, s15
	v_cndmask_b32_e64 v13, v13, 0x7fff, s14
; %bb.1258:                             ;   in Loop: Header=BB2_1200 Depth=3
	s_or_b32 exec_lo, exec_lo, s11
.LBB2_1259:                             ;   in Loop: Header=BB2_1200 Depth=3
	s_delay_alu instid0(SALU_CYCLE_1)
	s_or_b32 exec_lo, exec_lo, s16
.LBB2_1260:                             ;   in Loop: Header=BB2_1200 Depth=3
	v_mov_b32_e32 v148, v14
	v_lshrrev_b32_e32 v147, 16, v10
	s_mov_b32 s16, -1
	s_and_b32 vcc_lo, exec_lo, s35
	s_delay_alu instid0(VALU_DEP_2) | instskip(NEXT) | instid1(VALU_DEP_2)
	v_lshrrev_b32_e32 v145, 16, v148
	v_and_b32_e32 v146, 0x7fff, v147
	v_perm_b32 v10, v10, v148, 0x7060302
	s_delay_alu instid0(VALU_DEP_3) | instskip(NEXT) | instid1(VALU_DEP_3)
	v_and_b32_e32 v14, 0x7fff, v145
	v_cmp_gt_u16_e64 s15, 0x7c01, v146
	s_delay_alu instid0(VALU_DEP_2) | instskip(NEXT) | instid1(VALU_DEP_1)
	v_cmp_lt_u16_e64 s14, 0x7c00, v14
                                        ; implicit-def: $vgpr14
	s_and_b32 s11, s14, s15
	s_delay_alu instid0(SALU_CYCLE_1)
	s_xor_b32 s11, s11, -1
	s_cbranch_vccz .LBB2_1266
; %bb.1261:                             ;   in Loop: Header=BB2_1200 Depth=3
	v_mov_b32_e32 v14, v147
	s_and_saveexec_b32 s24, s11
	s_cbranch_execz .LBB2_1265
; %bb.1262:                             ;   in Loop: Header=BB2_1200 Depth=3
	v_mov_b32_e32 v14, v145
	s_or_b32 s16, s14, s15
	s_delay_alu instid0(SALU_CYCLE_1)
	s_and_saveexec_b32 s36, s16
; %bb.1263:                             ;   in Loop: Header=BB2_1200 Depth=3
	v_lshrrev_b32_e32 v14, 16, v10
	v_cmp_lt_u16_e64 vcc_lo, 0x7c00, v146
	s_delay_alu instid0(VALU_DEP_2) | instskip(NEXT) | instid1(VALU_DEP_1)
	v_cmp_gt_f16_e64 s16, v10, v14
	v_cndmask_b32_e64 v14, v14, v10, s16
	s_delay_alu instid0(VALU_DEP_3)
	s_and_b32 s16, s14, vcc_lo
	s_delay_alu instid0(VALU_DEP_1) | instid1(SALU_CYCLE_1)
	v_cndmask_b32_e64 v14, v14, 0x7fff, s16
; %bb.1264:                             ;   in Loop: Header=BB2_1200 Depth=3
	s_or_b32 exec_lo, exec_lo, s36
.LBB2_1265:                             ;   in Loop: Header=BB2_1200 Depth=3
	s_delay_alu instid0(SALU_CYCLE_1)
	s_or_b32 exec_lo, exec_lo, s24
	s_mov_b32 s16, 0
.LBB2_1266:                             ;   in Loop: Header=BB2_1200 Depth=3
	s_delay_alu instid0(SALU_CYCLE_1)
	s_and_not1_b32 vcc_lo, exec_lo, s16
	s_cbranch_vccnz .LBB2_1272
; %bb.1267:                             ;   in Loop: Header=BB2_1200 Depth=3
	s_and_saveexec_b32 s16, s11
	s_cbranch_execz .LBB2_1271
; %bb.1268:                             ;   in Loop: Header=BB2_1200 Depth=3
	s_or_b32 s15, s14, s15
	s_delay_alu instid0(SALU_CYCLE_1)
	s_and_saveexec_b32 s11, s15
; %bb.1269:                             ;   in Loop: Header=BB2_1200 Depth=3
	v_lshrrev_b32_e32 v14, 16, v10
	v_cmp_lt_u16_e64 vcc_lo, 0x7c00, v146
	s_delay_alu instid0(VALU_DEP_2) | instskip(NEXT) | instid1(VALU_DEP_2)
	v_cmp_gt_f16_e64 s15, v10, v14
	s_and_b32 s14, s14, vcc_lo
	s_delay_alu instid0(VALU_DEP_1) | instskip(NEXT) | instid1(VALU_DEP_1)
	v_cndmask_b32_e64 v10, v10, v14, s15
	v_cndmask_b32_e64 v145, v10, 0x7fff, s14
; %bb.1270:                             ;   in Loop: Header=BB2_1200 Depth=3
	s_or_b32 exec_lo, exec_lo, s11
	s_delay_alu instid0(VALU_DEP_1)
	v_mov_b32_e32 v147, v145
.LBB2_1271:                             ;   in Loop: Header=BB2_1200 Depth=3
	s_or_b32 exec_lo, exec_lo, s16
	s_delay_alu instid0(VALU_DEP_1)
	v_mov_b32_e32 v14, v147
.LBB2_1272:                             ;   in Loop: Header=BB2_1200 Depth=3
	v_and_b32_e32 v10, 0x7fff, v15
	v_and_b32_e32 v145, 0x7fff, v11
	v_perm_b32 v146, v11, v15, 0x5040100
	s_mov_b32 s16, -1
	s_and_b32 vcc_lo, exec_lo, s35
	v_cmp_lt_u16_e64 s14, 0x7c00, v10
	v_cmp_gt_u16_e64 s15, 0x7c01, v145
                                        ; implicit-def: $vgpr10
	s_delay_alu instid0(VALU_DEP_1) | instskip(NEXT) | instid1(SALU_CYCLE_1)
	s_and_b32 s11, s14, s15
	s_xor_b32 s11, s11, -1
	s_cbranch_vccz .LBB2_1278
; %bb.1273:                             ;   in Loop: Header=BB2_1200 Depth=3
	v_mov_b32_e32 v10, v11
	s_and_saveexec_b32 s24, s11
	s_cbranch_execz .LBB2_1277
; %bb.1274:                             ;   in Loop: Header=BB2_1200 Depth=3
	v_mov_b32_e32 v10, v15
	s_or_b32 s16, s14, s15
	s_delay_alu instid0(SALU_CYCLE_1)
	s_and_saveexec_b32 s36, s16
; %bb.1275:                             ;   in Loop: Header=BB2_1200 Depth=3
	v_lshrrev_b32_e32 v10, 16, v146
	v_cmp_lt_u16_e64 vcc_lo, 0x7c00, v145
	s_delay_alu instid0(VALU_DEP_2) | instskip(NEXT) | instid1(VALU_DEP_1)
	v_cmp_gt_f16_e64 s16, v146, v10
	v_cndmask_b32_e64 v10, v10, v146, s16
	s_delay_alu instid0(VALU_DEP_3)
	s_and_b32 s16, s14, vcc_lo
	s_delay_alu instid0(VALU_DEP_1) | instid1(SALU_CYCLE_1)
	v_cndmask_b32_e64 v10, v10, 0x7fff, s16
; %bb.1276:                             ;   in Loop: Header=BB2_1200 Depth=3
	s_or_b32 exec_lo, exec_lo, s36
.LBB2_1277:                             ;   in Loop: Header=BB2_1200 Depth=3
	s_delay_alu instid0(SALU_CYCLE_1)
	s_or_b32 exec_lo, exec_lo, s24
	s_mov_b32 s16, 0
.LBB2_1278:                             ;   in Loop: Header=BB2_1200 Depth=3
	s_delay_alu instid0(SALU_CYCLE_1)
	s_and_not1_b32 vcc_lo, exec_lo, s16
	s_cbranch_vccnz .LBB2_1284
; %bb.1279:                             ;   in Loop: Header=BB2_1200 Depth=3
	v_mov_b32_e32 v10, v11
	s_and_saveexec_b32 s16, s11
	s_cbranch_execz .LBB2_1283
; %bb.1280:                             ;   in Loop: Header=BB2_1200 Depth=3
	v_mov_b32_e32 v10, v15
	s_or_b32 s15, s14, s15
	s_delay_alu instid0(SALU_CYCLE_1)
	s_and_saveexec_b32 s11, s15
; %bb.1281:                             ;   in Loop: Header=BB2_1200 Depth=3
	v_lshrrev_b32_e32 v10, 16, v146
	v_cmp_lt_u16_e64 vcc_lo, 0x7c00, v145
	s_delay_alu instid0(VALU_DEP_2) | instskip(NEXT) | instid1(VALU_DEP_2)
	v_cmp_gt_f16_e64 s15, v146, v10
	s_and_b32 s14, s14, vcc_lo
	s_delay_alu instid0(VALU_DEP_1) | instskip(NEXT) | instid1(VALU_DEP_1)
	v_cndmask_b32_e64 v10, v146, v10, s15
	v_cndmask_b32_e64 v10, v10, 0x7fff, s14
; %bb.1282:                             ;   in Loop: Header=BB2_1200 Depth=3
	s_or_b32 exec_lo, exec_lo, s11
.LBB2_1283:                             ;   in Loop: Header=BB2_1200 Depth=3
	s_delay_alu instid0(SALU_CYCLE_1)
	s_or_b32 exec_lo, exec_lo, s16
.LBB2_1284:                             ;   in Loop: Header=BB2_1200 Depth=3
	v_lshrrev_b32_e32 v145, 16, v15
	v_lshrrev_b32_e32 v147, 16, v11
	v_perm_b32 v11, v11, v15, 0x7060302
	s_mov_b32 s16, -1
	s_and_b32 vcc_lo, exec_lo, s35
	v_and_b32_e32 v148, 0x7fff, v145
	v_and_b32_e32 v146, 0x7fff, v147
                                        ; implicit-def: $vgpr15
	s_delay_alu instid0(VALU_DEP_2) | instskip(NEXT) | instid1(VALU_DEP_2)
	v_cmp_lt_u16_e64 s14, 0x7c00, v148
	v_cmp_gt_u16_e64 s15, 0x7c01, v146
	s_delay_alu instid0(VALU_DEP_1) | instskip(NEXT) | instid1(SALU_CYCLE_1)
	s_and_b32 s11, s14, s15
	s_xor_b32 s11, s11, -1
	s_cbranch_vccz .LBB2_1290
; %bb.1285:                             ;   in Loop: Header=BB2_1200 Depth=3
	v_mov_b32_e32 v15, v147
	s_and_saveexec_b32 s24, s11
	s_cbranch_execz .LBB2_1289
; %bb.1286:                             ;   in Loop: Header=BB2_1200 Depth=3
	v_mov_b32_e32 v15, v145
	s_or_b32 s16, s14, s15
	s_delay_alu instid0(SALU_CYCLE_1)
	s_and_saveexec_b32 s36, s16
; %bb.1287:                             ;   in Loop: Header=BB2_1200 Depth=3
	v_lshrrev_b32_e32 v15, 16, v11
	v_cmp_lt_u16_e64 vcc_lo, 0x7c00, v146
	s_delay_alu instid0(VALU_DEP_2) | instskip(NEXT) | instid1(VALU_DEP_1)
	v_cmp_gt_f16_e64 s16, v11, v15
	v_cndmask_b32_e64 v15, v15, v11, s16
	s_delay_alu instid0(VALU_DEP_3)
	s_and_b32 s16, s14, vcc_lo
	s_delay_alu instid0(VALU_DEP_1) | instid1(SALU_CYCLE_1)
	v_cndmask_b32_e64 v15, v15, 0x7fff, s16
; %bb.1288:                             ;   in Loop: Header=BB2_1200 Depth=3
	s_or_b32 exec_lo, exec_lo, s36
.LBB2_1289:                             ;   in Loop: Header=BB2_1200 Depth=3
	s_delay_alu instid0(SALU_CYCLE_1)
	s_or_b32 exec_lo, exec_lo, s24
	s_mov_b32 s16, 0
.LBB2_1290:                             ;   in Loop: Header=BB2_1200 Depth=3
	s_delay_alu instid0(SALU_CYCLE_1)
	s_and_not1_b32 vcc_lo, exec_lo, s16
	s_cbranch_vccnz .LBB2_1199
; %bb.1291:                             ;   in Loop: Header=BB2_1200 Depth=3
	s_and_saveexec_b32 s16, s11
	s_cbranch_execz .LBB2_1198
; %bb.1292:                             ;   in Loop: Header=BB2_1200 Depth=3
	s_or_b32 s15, s14, s15
	s_delay_alu instid0(SALU_CYCLE_1)
	s_and_saveexec_b32 s11, s15
	s_cbranch_execz .LBB2_1197
; %bb.1293:                             ;   in Loop: Header=BB2_1200 Depth=3
	v_lshrrev_b32_e32 v15, 16, v11
	v_cmp_lt_u16_e64 vcc_lo, 0x7c00, v146
	s_delay_alu instid0(VALU_DEP_2) | instskip(NEXT) | instid1(VALU_DEP_2)
	v_cmp_gt_f16_e64 s15, v11, v15
	s_and_b32 s14, s14, vcc_lo
	s_delay_alu instid0(VALU_DEP_1) | instskip(NEXT) | instid1(VALU_DEP_1)
	v_cndmask_b32_e64 v11, v11, v15, s15
	v_cndmask_b32_e64 v145, v11, 0x7fff, s14
	s_branch .LBB2_1197
.LBB2_1294:                             ;   in Loop: Header=BB2_817 Depth=2
	s_or_b32 exec_lo, exec_lo, s34
.LBB2_1295:                             ;   in Loop: Header=BB2_817 Depth=2
	s_delay_alu instid0(SALU_CYCLE_1) | instskip(SKIP_3) | instid1(VALU_DEP_1)
	s_or_b32 exec_lo, exec_lo, s31
	v_dual_mov_b32 v14, 0 :: v_dual_and_b32 v9, 14, v2
	s_mov_b32 s11, 0
	s_mov_b32 s31, exec_lo
                                        ; implicit-def: $vgpr2
                                        ; implicit-def: $vgpr15
                                        ; implicit-def: $vgpr8
	v_cndmask_b32_e64 v84, v85, v9, s13
	s_delay_alu instid0(VALU_DEP_1)
	v_cmpx_ne_u32_e32 0, v84
	s_cbranch_execz .LBB2_1400
; %bb.1296:                             ;   in Loop: Header=BB2_817 Depth=2
	v_cmp_lt_i32_e32 vcc_lo, 0, v135
	v_ashrrev_i32_e32 v10, 31, v84
	v_sub_nc_u32_e32 v9, v85, v9
	s_mov_b32 s34, exec_lo
	v_cndmask_b32_e32 v2, 0, v99, vcc_lo
	s_delay_alu instid0(VALU_DEP_3) | instskip(NEXT) | instid1(VALU_DEP_3)
	v_lshrrev_b32_e32 v10, 23, v10
	v_cndmask_b32_e64 v9, 0, v9, s13
	s_delay_alu instid0(VALU_DEP_3) | instskip(NEXT) | instid1(VALU_DEP_3)
	v_sub_nc_u32_e32 v2, v2, v135
	v_add_nc_u32_e32 v10, v84, v10
	s_delay_alu instid0(VALU_DEP_3) | instskip(NEXT) | instid1(VALU_DEP_3)
	v_add_nc_u32_e32 v67, v9, v67
	v_lshl_add_u32 v2, v2, 5, v98
	s_delay_alu instid0(VALU_DEP_3) | instskip(SKIP_1) | instid1(VALU_DEP_3)
	v_and_b32_e32 v135, 0xfffffe00, v10
	v_ashrrev_i32_e32 v10, 9, v10
	v_ashrrev_i32_e32 v8, 31, v2
	s_delay_alu instid0(VALU_DEP_3) | instskip(NEXT) | instid1(VALU_DEP_2)
	v_sub_nc_u32_e32 v85, v84, v135
	v_lshrrev_b32_e32 v8, 27, v8
	s_delay_alu instid0(VALU_DEP_2) | instskip(NEXT) | instid1(VALU_DEP_2)
	v_cmp_lt_i32_e64 s13, 15, v85
	v_add_nc_u32_e32 v8, v2, v8
	s_delay_alu instid0(VALU_DEP_2) | instskip(NEXT) | instid1(VALU_DEP_2)
	v_add_co_ci_u32_e64 v10, vcc_lo, 0, v10, s13
	v_and_b32_e32 v11, 0xffffffe0, v8
	s_delay_alu instid0(VALU_DEP_1) | instskip(SKIP_1) | instid1(VALU_DEP_2)
	v_sub_nc_u32_e32 v144, v2, v11
	v_ashrrev_i32_e32 v11, 5, v8
	v_lshlrev_b32_e32 v2, 4, v144
	s_delay_alu instid0(VALU_DEP_2) | instskip(NEXT) | instid1(VALU_DEP_2)
	v_sub_nc_u32_e32 v145, v10, v11
	v_lshl_add_u32 v8, v11, 9, v2
	s_delay_alu instid0(VALU_DEP_1) | instskip(NEXT) | instid1(VALU_DEP_1)
	v_sub_nc_u32_e32 v2, v84, v8
	v_cmpx_lt_i32_e32 15, v2
	s_cbranch_execz .LBB2_1397
; %bb.1297:                             ;   in Loop: Header=BB2_817 Depth=2
	s_cbranch_execnz .LBB2_2606
; %bb.1298:                             ;   in Loop: Header=BB2_817 Depth=2
	ds_load_b128 v[9:12], v0
	ds_load_b64 v[13:14], v0
	v_add_nc_u32_e32 v8, v8, v67
	s_bitcmp1_b32 s30, 0
	s_mov_b32 s35, 0
	s_cselect_b32 s36, -1, 0
	s_delay_alu instid0(VALU_DEP_1) | instskip(SKIP_2) | instid1(VALU_DEP_2)
	v_ashrrev_i32_e32 v15, 31, v8
	s_waitcnt lgkmcnt(1)
	v_add_co_u32 v70, vcc_lo, v9, v8
	v_add_co_ci_u32_e32 v71, vcc_lo, v10, v15, vcc_lo
	v_add_co_u32 v80, vcc_lo, v11, v8
	v_add_co_ci_u32_e32 v81, vcc_lo, v12, v15, vcc_lo
	s_waitcnt lgkmcnt(0)
	v_add_co_u32 v82, vcc_lo, v13, v8
	v_add_co_ci_u32_e32 v83, vcc_lo, v14, v15, vcc_lo
	s_branch .LBB2_1302
.LBB2_1299:                             ;   in Loop: Header=BB2_1302 Depth=3
	s_or_b32 exec_lo, exec_lo, s11
	s_delay_alu instid0(VALU_DEP_1)
	v_mov_b32_e32 v149, v147
.LBB2_1300:                             ;   in Loop: Header=BB2_1302 Depth=3
	s_or_b32 exec_lo, exec_lo, s16
	s_delay_alu instid0(VALU_DEP_1)
	v_mov_b32_e32 v15, v149
.LBB2_1301:                             ;   in Loop: Header=BB2_1302 Depth=3
	v_lshlrev_b32_e32 v8, 16, v8
	v_and_b32_e32 v11, 0xffff, v146
	v_lshlrev_b32_e32 v14, 16, v14
	v_and_b32_e32 v13, 0xffff, v13
	;; [unrolled: 2-line block ×3, first 2 shown]
	v_or_b32_e32 v8, v8, v11
	v_lshlrev_b32_e32 v11, 16, v15
	v_and_b32_e32 v10, 0xffff, v10
	v_or_b32_e32 v13, v14, v13
	v_add_co_u32 v70, vcc_lo, v70, v114
	v_or3_b32 v9, v12, v9, 0
	v_or3_b32 v8, 0, 0, v8
	;; [unrolled: 1-line block ×4, first 2 shown]
	v_sub_nc_u32_e32 v2, v2, v100
	v_add_co_ci_u32_e32 v71, vcc_lo, v71, v115, vcc_lo
	v_add_co_u32 v80, vcc_lo, v80, v114
	v_add_co_ci_u32_e32 v81, vcc_lo, v81, v115, vcc_lo
	global_store_b128 v[82:83], v[8:11], off glc slc dlc
	v_cmp_gt_i32_e32 vcc_lo, 16, v2
	v_add_co_u32 v82, s14, v82, v114
	s_delay_alu instid0(VALU_DEP_1) | instskip(SKIP_2) | instid1(SALU_CYCLE_1)
	v_add_co_ci_u32_e64 v83, s14, v83, v115, s14
	v_sub_nc_u32_e32 v145, v145, v99
	s_or_b32 s35, vcc_lo, s35
	s_and_not1_b32 exec_lo, exec_lo, s35
	s_cbranch_execz .LBB2_1396
.LBB2_1302:                             ;   Parent Loop BB2_51 Depth=1
                                        ;     Parent Loop BB2_817 Depth=2
                                        ; =>    This Inner Loop Header: Depth=3
	global_load_b128 v[12:15], v[70:71], off slc dlc
	global_load_b128 v[8:11], v[80:81], off slc dlc
	s_mov_b32 s16, -1
	s_and_b32 vcc_lo, exec_lo, s36
	s_waitcnt vmcnt(1)
	v_and_b32_e32 v146, 0x7fff, v12
	s_waitcnt vmcnt(0)
	v_and_b32_e32 v147, 0x7fff, v8
	v_perm_b32 v148, v8, v12, 0x5040100
	s_delay_alu instid0(VALU_DEP_3) | instskip(NEXT) | instid1(VALU_DEP_3)
	v_cmp_lt_u16_e64 s14, 0x7c00, v146
	v_cmp_gt_u16_e64 s15, 0x7c01, v147
                                        ; implicit-def: $vgpr146
	s_delay_alu instid0(VALU_DEP_1) | instskip(NEXT) | instid1(SALU_CYCLE_1)
	s_and_b32 s11, s14, s15
	s_xor_b32 s11, s11, -1
	s_cbranch_vccz .LBB2_1308
; %bb.1303:                             ;   in Loop: Header=BB2_1302 Depth=3
	v_mov_b32_e32 v146, v8
	s_and_saveexec_b32 s24, s11
	s_cbranch_execz .LBB2_1307
; %bb.1304:                             ;   in Loop: Header=BB2_1302 Depth=3
	v_mov_b32_e32 v146, v12
	s_or_b32 s16, s14, s15
	s_delay_alu instid0(SALU_CYCLE_1)
	s_and_saveexec_b32 s37, s16
; %bb.1305:                             ;   in Loop: Header=BB2_1302 Depth=3
	v_lshrrev_b32_e32 v146, 16, v148
	v_cmp_lt_u16_e64 vcc_lo, 0x7c00, v147
	s_delay_alu instid0(VALU_DEP_2) | instskip(NEXT) | instid1(VALU_DEP_1)
	v_cmp_gt_f16_e64 s16, v148, v146
	v_cndmask_b32_e64 v146, v146, v148, s16
	s_delay_alu instid0(VALU_DEP_3)
	s_and_b32 s16, s14, vcc_lo
	s_delay_alu instid0(VALU_DEP_1) | instid1(SALU_CYCLE_1)
	v_cndmask_b32_e64 v146, v146, 0x7fff, s16
; %bb.1306:                             ;   in Loop: Header=BB2_1302 Depth=3
	s_or_b32 exec_lo, exec_lo, s37
.LBB2_1307:                             ;   in Loop: Header=BB2_1302 Depth=3
	s_delay_alu instid0(SALU_CYCLE_1)
	s_or_b32 exec_lo, exec_lo, s24
	s_mov_b32 s16, 0
.LBB2_1308:                             ;   in Loop: Header=BB2_1302 Depth=3
	s_delay_alu instid0(SALU_CYCLE_1)
	s_and_not1_b32 vcc_lo, exec_lo, s16
	s_cbranch_vccnz .LBB2_1314
; %bb.1309:                             ;   in Loop: Header=BB2_1302 Depth=3
	v_mov_b32_e32 v146, v8
	s_and_saveexec_b32 s16, s11
	s_cbranch_execz .LBB2_1313
; %bb.1310:                             ;   in Loop: Header=BB2_1302 Depth=3
	v_mov_b32_e32 v146, v12
	s_or_b32 s15, s14, s15
	s_delay_alu instid0(SALU_CYCLE_1)
	s_and_saveexec_b32 s11, s15
; %bb.1311:                             ;   in Loop: Header=BB2_1302 Depth=3
	v_lshrrev_b32_e32 v146, 16, v148
	v_cmp_lt_u16_e64 vcc_lo, 0x7c00, v147
	s_delay_alu instid0(VALU_DEP_2) | instskip(NEXT) | instid1(VALU_DEP_2)
	v_cmp_gt_f16_e64 s15, v148, v146
	s_and_b32 s14, s14, vcc_lo
	s_delay_alu instid0(VALU_DEP_1) | instskip(NEXT) | instid1(VALU_DEP_1)
	v_cndmask_b32_e64 v146, v148, v146, s15
	v_cndmask_b32_e64 v146, v146, 0x7fff, s14
; %bb.1312:                             ;   in Loop: Header=BB2_1302 Depth=3
	s_or_b32 exec_lo, exec_lo, s11
.LBB2_1313:                             ;   in Loop: Header=BB2_1302 Depth=3
	s_delay_alu instid0(SALU_CYCLE_1)
	s_or_b32 exec_lo, exec_lo, s16
.LBB2_1314:                             ;   in Loop: Header=BB2_1302 Depth=3
	v_mov_b32_e32 v150, v12
	v_mov_b32_e32 v12, v13
	v_mov_b32_e32 v13, v9
	s_mov_b32 s16, -1
	s_and_b32 vcc_lo, exec_lo, s36
	v_lshrrev_b32_e32 v147, 16, v150
	s_delay_alu instid0(VALU_DEP_1) | instskip(NEXT) | instid1(VALU_DEP_1)
	v_dual_mov_b32 v151, v8 :: v_dual_and_b32 v8, 0x7fff, v147
	v_lshrrev_b32_e32 v149, 16, v151
	v_perm_b32 v9, v151, v150, 0x7060302
	s_delay_alu instid0(VALU_DEP_3) | instskip(NEXT) | instid1(VALU_DEP_3)
	v_cmp_lt_u16_e64 s14, 0x7c00, v8
	v_and_b32_e32 v148, 0x7fff, v149
                                        ; implicit-def: $vgpr8
	s_delay_alu instid0(VALU_DEP_1) | instskip(NEXT) | instid1(VALU_DEP_1)
	v_cmp_gt_u16_e64 s15, 0x7c01, v148
	s_and_b32 s11, s14, s15
	s_delay_alu instid0(SALU_CYCLE_1)
	s_xor_b32 s11, s11, -1
	s_cbranch_vccz .LBB2_1320
; %bb.1315:                             ;   in Loop: Header=BB2_1302 Depth=3
	v_mov_b32_e32 v8, v149
	s_and_saveexec_b32 s24, s11
	s_cbranch_execz .LBB2_1319
; %bb.1316:                             ;   in Loop: Header=BB2_1302 Depth=3
	v_mov_b32_e32 v8, v147
	s_or_b32 s16, s14, s15
	s_delay_alu instid0(SALU_CYCLE_1)
	s_and_saveexec_b32 s37, s16
; %bb.1317:                             ;   in Loop: Header=BB2_1302 Depth=3
	v_lshrrev_b32_e32 v8, 16, v9
	v_cmp_lt_u16_e64 vcc_lo, 0x7c00, v148
	s_delay_alu instid0(VALU_DEP_2) | instskip(NEXT) | instid1(VALU_DEP_1)
	v_cmp_gt_f16_e64 s16, v9, v8
	v_cndmask_b32_e64 v8, v8, v9, s16
	s_delay_alu instid0(VALU_DEP_3)
	s_and_b32 s16, s14, vcc_lo
	s_delay_alu instid0(VALU_DEP_1) | instid1(SALU_CYCLE_1)
	v_cndmask_b32_e64 v8, v8, 0x7fff, s16
; %bb.1318:                             ;   in Loop: Header=BB2_1302 Depth=3
	s_or_b32 exec_lo, exec_lo, s37
.LBB2_1319:                             ;   in Loop: Header=BB2_1302 Depth=3
	s_delay_alu instid0(SALU_CYCLE_1)
	s_or_b32 exec_lo, exec_lo, s24
	s_mov_b32 s16, 0
.LBB2_1320:                             ;   in Loop: Header=BB2_1302 Depth=3
	s_delay_alu instid0(SALU_CYCLE_1)
	s_and_not1_b32 vcc_lo, exec_lo, s16
	s_cbranch_vccnz .LBB2_1326
; %bb.1321:                             ;   in Loop: Header=BB2_1302 Depth=3
	s_and_saveexec_b32 s16, s11
	s_cbranch_execz .LBB2_1325
; %bb.1322:                             ;   in Loop: Header=BB2_1302 Depth=3
	s_or_b32 s15, s14, s15
	s_delay_alu instid0(SALU_CYCLE_1)
	s_and_saveexec_b32 s11, s15
; %bb.1323:                             ;   in Loop: Header=BB2_1302 Depth=3
	v_lshrrev_b32_e32 v8, 16, v9
	v_cmp_lt_u16_e64 vcc_lo, 0x7c00, v148
	s_delay_alu instid0(VALU_DEP_2) | instskip(NEXT) | instid1(VALU_DEP_2)
	v_cmp_gt_f16_e64 s15, v9, v8
	s_and_b32 s14, s14, vcc_lo
	s_delay_alu instid0(VALU_DEP_1) | instskip(NEXT) | instid1(VALU_DEP_1)
	v_cndmask_b32_e64 v8, v9, v8, s15
	v_cndmask_b32_e64 v147, v8, 0x7fff, s14
; %bb.1324:                             ;   in Loop: Header=BB2_1302 Depth=3
	s_or_b32 exec_lo, exec_lo, s11
	s_delay_alu instid0(VALU_DEP_1)
	v_mov_b32_e32 v149, v147
.LBB2_1325:                             ;   in Loop: Header=BB2_1302 Depth=3
	s_or_b32 exec_lo, exec_lo, s16
	s_delay_alu instid0(VALU_DEP_1)
	v_mov_b32_e32 v8, v149
.LBB2_1326:                             ;   in Loop: Header=BB2_1302 Depth=3
	v_and_b32_e32 v9, 0x7fff, v12
	v_and_b32_e32 v147, 0x7fff, v13
	v_perm_b32 v148, v13, v12, 0x5040100
	s_mov_b32 s16, -1
	s_and_b32 vcc_lo, exec_lo, s36
	v_cmp_lt_u16_e64 s14, 0x7c00, v9
	v_cmp_gt_u16_e64 s15, 0x7c01, v147
                                        ; implicit-def: $vgpr9
	s_delay_alu instid0(VALU_DEP_1) | instskip(NEXT) | instid1(SALU_CYCLE_1)
	s_and_b32 s11, s14, s15
	s_xor_b32 s11, s11, -1
	s_cbranch_vccz .LBB2_1332
; %bb.1327:                             ;   in Loop: Header=BB2_1302 Depth=3
	v_mov_b32_e32 v9, v13
	s_and_saveexec_b32 s24, s11
	s_cbranch_execz .LBB2_1331
; %bb.1328:                             ;   in Loop: Header=BB2_1302 Depth=3
	v_mov_b32_e32 v9, v12
	s_or_b32 s16, s14, s15
	s_delay_alu instid0(SALU_CYCLE_1)
	s_and_saveexec_b32 s37, s16
; %bb.1329:                             ;   in Loop: Header=BB2_1302 Depth=3
	v_lshrrev_b32_e32 v9, 16, v148
	v_cmp_lt_u16_e64 vcc_lo, 0x7c00, v147
	s_delay_alu instid0(VALU_DEP_2) | instskip(NEXT) | instid1(VALU_DEP_1)
	v_cmp_gt_f16_e64 s16, v148, v9
	v_cndmask_b32_e64 v9, v9, v148, s16
	s_delay_alu instid0(VALU_DEP_3)
	s_and_b32 s16, s14, vcc_lo
	s_delay_alu instid0(VALU_DEP_1) | instid1(SALU_CYCLE_1)
	v_cndmask_b32_e64 v9, v9, 0x7fff, s16
; %bb.1330:                             ;   in Loop: Header=BB2_1302 Depth=3
	s_or_b32 exec_lo, exec_lo, s37
.LBB2_1331:                             ;   in Loop: Header=BB2_1302 Depth=3
	s_delay_alu instid0(SALU_CYCLE_1)
	s_or_b32 exec_lo, exec_lo, s24
	s_mov_b32 s16, 0
.LBB2_1332:                             ;   in Loop: Header=BB2_1302 Depth=3
	s_delay_alu instid0(SALU_CYCLE_1)
	s_and_not1_b32 vcc_lo, exec_lo, s16
	s_cbranch_vccnz .LBB2_1338
; %bb.1333:                             ;   in Loop: Header=BB2_1302 Depth=3
	v_mov_b32_e32 v9, v13
	s_and_saveexec_b32 s16, s11
	s_cbranch_execz .LBB2_1337
; %bb.1334:                             ;   in Loop: Header=BB2_1302 Depth=3
	v_mov_b32_e32 v9, v12
	s_or_b32 s15, s14, s15
	s_delay_alu instid0(SALU_CYCLE_1)
	s_and_saveexec_b32 s11, s15
; %bb.1335:                             ;   in Loop: Header=BB2_1302 Depth=3
	v_lshrrev_b32_e32 v9, 16, v148
	v_cmp_lt_u16_e64 vcc_lo, 0x7c00, v147
	s_delay_alu instid0(VALU_DEP_2) | instskip(NEXT) | instid1(VALU_DEP_2)
	v_cmp_gt_f16_e64 s15, v148, v9
	s_and_b32 s14, s14, vcc_lo
	s_delay_alu instid0(VALU_DEP_1) | instskip(NEXT) | instid1(VALU_DEP_1)
	v_cndmask_b32_e64 v9, v148, v9, s15
	v_cndmask_b32_e64 v9, v9, 0x7fff, s14
; %bb.1336:                             ;   in Loop: Header=BB2_1302 Depth=3
	s_or_b32 exec_lo, exec_lo, s11
.LBB2_1337:                             ;   in Loop: Header=BB2_1302 Depth=3
	s_delay_alu instid0(SALU_CYCLE_1)
	s_or_b32 exec_lo, exec_lo, s16
.LBB2_1338:                             ;   in Loop: Header=BB2_1302 Depth=3
	v_lshrrev_b32_e32 v147, 16, v12
	v_lshrrev_b32_e32 v149, 16, v13
	v_perm_b32 v13, v13, v12, 0x7060302
	s_mov_b32 s16, -1
	s_and_b32 vcc_lo, exec_lo, s36
	v_and_b32_e32 v150, 0x7fff, v147
	v_and_b32_e32 v148, 0x7fff, v149
                                        ; implicit-def: $vgpr12
	s_delay_alu instid0(VALU_DEP_2) | instskip(NEXT) | instid1(VALU_DEP_2)
	v_cmp_lt_u16_e64 s14, 0x7c00, v150
	v_cmp_gt_u16_e64 s15, 0x7c01, v148
	s_delay_alu instid0(VALU_DEP_1) | instskip(NEXT) | instid1(SALU_CYCLE_1)
	s_and_b32 s11, s14, s15
	s_xor_b32 s11, s11, -1
	s_cbranch_vccz .LBB2_1344
; %bb.1339:                             ;   in Loop: Header=BB2_1302 Depth=3
	v_mov_b32_e32 v12, v149
	s_and_saveexec_b32 s24, s11
	s_cbranch_execz .LBB2_1343
; %bb.1340:                             ;   in Loop: Header=BB2_1302 Depth=3
	v_mov_b32_e32 v12, v147
	s_or_b32 s16, s14, s15
	s_delay_alu instid0(SALU_CYCLE_1)
	s_and_saveexec_b32 s37, s16
; %bb.1341:                             ;   in Loop: Header=BB2_1302 Depth=3
	v_lshrrev_b32_e32 v12, 16, v13
	v_cmp_lt_u16_e64 vcc_lo, 0x7c00, v148
	s_delay_alu instid0(VALU_DEP_2) | instskip(NEXT) | instid1(VALU_DEP_1)
	v_cmp_gt_f16_e64 s16, v13, v12
	v_cndmask_b32_e64 v12, v12, v13, s16
	s_delay_alu instid0(VALU_DEP_3)
	s_and_b32 s16, s14, vcc_lo
	s_delay_alu instid0(VALU_DEP_1) | instid1(SALU_CYCLE_1)
	v_cndmask_b32_e64 v12, v12, 0x7fff, s16
; %bb.1342:                             ;   in Loop: Header=BB2_1302 Depth=3
	s_or_b32 exec_lo, exec_lo, s37
.LBB2_1343:                             ;   in Loop: Header=BB2_1302 Depth=3
	s_delay_alu instid0(SALU_CYCLE_1)
	s_or_b32 exec_lo, exec_lo, s24
	s_mov_b32 s16, 0
.LBB2_1344:                             ;   in Loop: Header=BB2_1302 Depth=3
	s_delay_alu instid0(SALU_CYCLE_1)
	s_and_not1_b32 vcc_lo, exec_lo, s16
	s_cbranch_vccnz .LBB2_1350
; %bb.1345:                             ;   in Loop: Header=BB2_1302 Depth=3
	s_and_saveexec_b32 s16, s11
	s_cbranch_execz .LBB2_1349
; %bb.1346:                             ;   in Loop: Header=BB2_1302 Depth=3
	s_or_b32 s15, s14, s15
	s_delay_alu instid0(SALU_CYCLE_1)
	s_and_saveexec_b32 s11, s15
; %bb.1347:                             ;   in Loop: Header=BB2_1302 Depth=3
	v_lshrrev_b32_e32 v12, 16, v13
	v_cmp_lt_u16_e64 vcc_lo, 0x7c00, v148
	s_delay_alu instid0(VALU_DEP_2) | instskip(NEXT) | instid1(VALU_DEP_2)
	v_cmp_gt_f16_e64 s15, v13, v12
	s_and_b32 s14, s14, vcc_lo
	s_delay_alu instid0(VALU_DEP_1) | instskip(NEXT) | instid1(VALU_DEP_1)
	v_cndmask_b32_e64 v12, v13, v12, s15
	v_cndmask_b32_e64 v147, v12, 0x7fff, s14
; %bb.1348:                             ;   in Loop: Header=BB2_1302 Depth=3
	s_or_b32 exec_lo, exec_lo, s11
	s_delay_alu instid0(VALU_DEP_1)
	v_mov_b32_e32 v149, v147
.LBB2_1349:                             ;   in Loop: Header=BB2_1302 Depth=3
	s_or_b32 exec_lo, exec_lo, s16
	s_delay_alu instid0(VALU_DEP_1)
	v_mov_b32_e32 v12, v149
.LBB2_1350:                             ;   in Loop: Header=BB2_1302 Depth=3
	v_and_b32_e32 v13, 0x7fff, v14
	v_and_b32_e32 v147, 0x7fff, v10
	v_perm_b32 v148, v10, v14, 0x5040100
	s_mov_b32 s16, -1
	s_and_b32 vcc_lo, exec_lo, s36
	v_cmp_lt_u16_e64 s14, 0x7c00, v13
	v_cmp_gt_u16_e64 s15, 0x7c01, v147
                                        ; implicit-def: $vgpr13
	s_delay_alu instid0(VALU_DEP_1) | instskip(NEXT) | instid1(SALU_CYCLE_1)
	s_and_b32 s11, s14, s15
	s_xor_b32 s11, s11, -1
	s_cbranch_vccz .LBB2_1356
; %bb.1351:                             ;   in Loop: Header=BB2_1302 Depth=3
	v_mov_b32_e32 v13, v10
	s_and_saveexec_b32 s24, s11
	s_cbranch_execz .LBB2_1355
; %bb.1352:                             ;   in Loop: Header=BB2_1302 Depth=3
	v_mov_b32_e32 v13, v14
	s_or_b32 s16, s14, s15
	s_delay_alu instid0(SALU_CYCLE_1)
	s_and_saveexec_b32 s37, s16
; %bb.1353:                             ;   in Loop: Header=BB2_1302 Depth=3
	v_lshrrev_b32_e32 v13, 16, v148
	v_cmp_lt_u16_e64 vcc_lo, 0x7c00, v147
	s_delay_alu instid0(VALU_DEP_2) | instskip(NEXT) | instid1(VALU_DEP_1)
	v_cmp_gt_f16_e64 s16, v148, v13
	v_cndmask_b32_e64 v13, v13, v148, s16
	s_delay_alu instid0(VALU_DEP_3)
	s_and_b32 s16, s14, vcc_lo
	s_delay_alu instid0(VALU_DEP_1) | instid1(SALU_CYCLE_1)
	v_cndmask_b32_e64 v13, v13, 0x7fff, s16
; %bb.1354:                             ;   in Loop: Header=BB2_1302 Depth=3
	s_or_b32 exec_lo, exec_lo, s37
.LBB2_1355:                             ;   in Loop: Header=BB2_1302 Depth=3
	s_delay_alu instid0(SALU_CYCLE_1)
	s_or_b32 exec_lo, exec_lo, s24
	s_mov_b32 s16, 0
.LBB2_1356:                             ;   in Loop: Header=BB2_1302 Depth=3
	s_delay_alu instid0(SALU_CYCLE_1)
	s_and_not1_b32 vcc_lo, exec_lo, s16
	s_cbranch_vccnz .LBB2_1362
; %bb.1357:                             ;   in Loop: Header=BB2_1302 Depth=3
	v_mov_b32_e32 v13, v10
	s_and_saveexec_b32 s16, s11
	s_cbranch_execz .LBB2_1361
; %bb.1358:                             ;   in Loop: Header=BB2_1302 Depth=3
	v_mov_b32_e32 v13, v14
	s_or_b32 s15, s14, s15
	s_delay_alu instid0(SALU_CYCLE_1)
	s_and_saveexec_b32 s11, s15
; %bb.1359:                             ;   in Loop: Header=BB2_1302 Depth=3
	v_lshrrev_b32_e32 v13, 16, v148
	v_cmp_lt_u16_e64 vcc_lo, 0x7c00, v147
	s_delay_alu instid0(VALU_DEP_2) | instskip(NEXT) | instid1(VALU_DEP_2)
	v_cmp_gt_f16_e64 s15, v148, v13
	s_and_b32 s14, s14, vcc_lo
	s_delay_alu instid0(VALU_DEP_1) | instskip(NEXT) | instid1(VALU_DEP_1)
	v_cndmask_b32_e64 v13, v148, v13, s15
	v_cndmask_b32_e64 v13, v13, 0x7fff, s14
; %bb.1360:                             ;   in Loop: Header=BB2_1302 Depth=3
	s_or_b32 exec_lo, exec_lo, s11
.LBB2_1361:                             ;   in Loop: Header=BB2_1302 Depth=3
	s_delay_alu instid0(SALU_CYCLE_1)
	s_or_b32 exec_lo, exec_lo, s16
.LBB2_1362:                             ;   in Loop: Header=BB2_1302 Depth=3
	v_mov_b32_e32 v150, v14
	v_lshrrev_b32_e32 v149, 16, v10
	s_mov_b32 s16, -1
	s_and_b32 vcc_lo, exec_lo, s36
	s_delay_alu instid0(VALU_DEP_2) | instskip(NEXT) | instid1(VALU_DEP_2)
	v_lshrrev_b32_e32 v147, 16, v150
	v_and_b32_e32 v148, 0x7fff, v149
	v_perm_b32 v10, v10, v150, 0x7060302
	s_delay_alu instid0(VALU_DEP_3) | instskip(NEXT) | instid1(VALU_DEP_3)
	v_and_b32_e32 v14, 0x7fff, v147
	v_cmp_gt_u16_e64 s15, 0x7c01, v148
	s_delay_alu instid0(VALU_DEP_2) | instskip(NEXT) | instid1(VALU_DEP_1)
	v_cmp_lt_u16_e64 s14, 0x7c00, v14
                                        ; implicit-def: $vgpr14
	s_and_b32 s11, s14, s15
	s_delay_alu instid0(SALU_CYCLE_1)
	s_xor_b32 s11, s11, -1
	s_cbranch_vccz .LBB2_1368
; %bb.1363:                             ;   in Loop: Header=BB2_1302 Depth=3
	v_mov_b32_e32 v14, v149
	s_and_saveexec_b32 s24, s11
	s_cbranch_execz .LBB2_1367
; %bb.1364:                             ;   in Loop: Header=BB2_1302 Depth=3
	v_mov_b32_e32 v14, v147
	s_or_b32 s16, s14, s15
	s_delay_alu instid0(SALU_CYCLE_1)
	s_and_saveexec_b32 s37, s16
; %bb.1365:                             ;   in Loop: Header=BB2_1302 Depth=3
	v_lshrrev_b32_e32 v14, 16, v10
	v_cmp_lt_u16_e64 vcc_lo, 0x7c00, v148
	s_delay_alu instid0(VALU_DEP_2) | instskip(NEXT) | instid1(VALU_DEP_1)
	v_cmp_gt_f16_e64 s16, v10, v14
	v_cndmask_b32_e64 v14, v14, v10, s16
	s_delay_alu instid0(VALU_DEP_3)
	s_and_b32 s16, s14, vcc_lo
	s_delay_alu instid0(VALU_DEP_1) | instid1(SALU_CYCLE_1)
	v_cndmask_b32_e64 v14, v14, 0x7fff, s16
; %bb.1366:                             ;   in Loop: Header=BB2_1302 Depth=3
	s_or_b32 exec_lo, exec_lo, s37
.LBB2_1367:                             ;   in Loop: Header=BB2_1302 Depth=3
	s_delay_alu instid0(SALU_CYCLE_1)
	s_or_b32 exec_lo, exec_lo, s24
	s_mov_b32 s16, 0
.LBB2_1368:                             ;   in Loop: Header=BB2_1302 Depth=3
	s_delay_alu instid0(SALU_CYCLE_1)
	s_and_not1_b32 vcc_lo, exec_lo, s16
	s_cbranch_vccnz .LBB2_1374
; %bb.1369:                             ;   in Loop: Header=BB2_1302 Depth=3
	s_and_saveexec_b32 s16, s11
	s_cbranch_execz .LBB2_1373
; %bb.1370:                             ;   in Loop: Header=BB2_1302 Depth=3
	s_or_b32 s15, s14, s15
	s_delay_alu instid0(SALU_CYCLE_1)
	s_and_saveexec_b32 s11, s15
; %bb.1371:                             ;   in Loop: Header=BB2_1302 Depth=3
	v_lshrrev_b32_e32 v14, 16, v10
	v_cmp_lt_u16_e64 vcc_lo, 0x7c00, v148
	s_delay_alu instid0(VALU_DEP_2) | instskip(NEXT) | instid1(VALU_DEP_2)
	v_cmp_gt_f16_e64 s15, v10, v14
	s_and_b32 s14, s14, vcc_lo
	s_delay_alu instid0(VALU_DEP_1) | instskip(NEXT) | instid1(VALU_DEP_1)
	v_cndmask_b32_e64 v10, v10, v14, s15
	v_cndmask_b32_e64 v147, v10, 0x7fff, s14
; %bb.1372:                             ;   in Loop: Header=BB2_1302 Depth=3
	s_or_b32 exec_lo, exec_lo, s11
	s_delay_alu instid0(VALU_DEP_1)
	v_mov_b32_e32 v149, v147
.LBB2_1373:                             ;   in Loop: Header=BB2_1302 Depth=3
	s_or_b32 exec_lo, exec_lo, s16
	s_delay_alu instid0(VALU_DEP_1)
	v_mov_b32_e32 v14, v149
.LBB2_1374:                             ;   in Loop: Header=BB2_1302 Depth=3
	v_and_b32_e32 v10, 0x7fff, v15
	v_and_b32_e32 v147, 0x7fff, v11
	v_perm_b32 v148, v11, v15, 0x5040100
	s_mov_b32 s16, -1
	s_and_b32 vcc_lo, exec_lo, s36
	v_cmp_lt_u16_e64 s14, 0x7c00, v10
	v_cmp_gt_u16_e64 s15, 0x7c01, v147
                                        ; implicit-def: $vgpr10
	s_delay_alu instid0(VALU_DEP_1) | instskip(NEXT) | instid1(SALU_CYCLE_1)
	s_and_b32 s11, s14, s15
	s_xor_b32 s11, s11, -1
	s_cbranch_vccz .LBB2_1380
; %bb.1375:                             ;   in Loop: Header=BB2_1302 Depth=3
	v_mov_b32_e32 v10, v11
	s_and_saveexec_b32 s24, s11
	s_cbranch_execz .LBB2_1379
; %bb.1376:                             ;   in Loop: Header=BB2_1302 Depth=3
	v_mov_b32_e32 v10, v15
	s_or_b32 s16, s14, s15
	s_delay_alu instid0(SALU_CYCLE_1)
	s_and_saveexec_b32 s37, s16
; %bb.1377:                             ;   in Loop: Header=BB2_1302 Depth=3
	v_lshrrev_b32_e32 v10, 16, v148
	v_cmp_lt_u16_e64 vcc_lo, 0x7c00, v147
	s_delay_alu instid0(VALU_DEP_2) | instskip(NEXT) | instid1(VALU_DEP_1)
	v_cmp_gt_f16_e64 s16, v148, v10
	v_cndmask_b32_e64 v10, v10, v148, s16
	s_delay_alu instid0(VALU_DEP_3)
	s_and_b32 s16, s14, vcc_lo
	s_delay_alu instid0(VALU_DEP_1) | instid1(SALU_CYCLE_1)
	v_cndmask_b32_e64 v10, v10, 0x7fff, s16
; %bb.1378:                             ;   in Loop: Header=BB2_1302 Depth=3
	s_or_b32 exec_lo, exec_lo, s37
.LBB2_1379:                             ;   in Loop: Header=BB2_1302 Depth=3
	s_delay_alu instid0(SALU_CYCLE_1)
	s_or_b32 exec_lo, exec_lo, s24
	s_mov_b32 s16, 0
.LBB2_1380:                             ;   in Loop: Header=BB2_1302 Depth=3
	s_delay_alu instid0(SALU_CYCLE_1)
	s_and_not1_b32 vcc_lo, exec_lo, s16
	s_cbranch_vccnz .LBB2_1386
; %bb.1381:                             ;   in Loop: Header=BB2_1302 Depth=3
	v_mov_b32_e32 v10, v11
	s_and_saveexec_b32 s16, s11
	s_cbranch_execz .LBB2_1385
; %bb.1382:                             ;   in Loop: Header=BB2_1302 Depth=3
	v_mov_b32_e32 v10, v15
	s_or_b32 s15, s14, s15
	s_delay_alu instid0(SALU_CYCLE_1)
	s_and_saveexec_b32 s11, s15
; %bb.1383:                             ;   in Loop: Header=BB2_1302 Depth=3
	v_lshrrev_b32_e32 v10, 16, v148
	v_cmp_lt_u16_e64 vcc_lo, 0x7c00, v147
	s_delay_alu instid0(VALU_DEP_2) | instskip(NEXT) | instid1(VALU_DEP_2)
	v_cmp_gt_f16_e64 s15, v148, v10
	s_and_b32 s14, s14, vcc_lo
	s_delay_alu instid0(VALU_DEP_1) | instskip(NEXT) | instid1(VALU_DEP_1)
	v_cndmask_b32_e64 v10, v148, v10, s15
	v_cndmask_b32_e64 v10, v10, 0x7fff, s14
; %bb.1384:                             ;   in Loop: Header=BB2_1302 Depth=3
	s_or_b32 exec_lo, exec_lo, s11
.LBB2_1385:                             ;   in Loop: Header=BB2_1302 Depth=3
	s_delay_alu instid0(SALU_CYCLE_1)
	s_or_b32 exec_lo, exec_lo, s16
.LBB2_1386:                             ;   in Loop: Header=BB2_1302 Depth=3
	v_lshrrev_b32_e32 v147, 16, v15
	v_lshrrev_b32_e32 v149, 16, v11
	v_perm_b32 v11, v11, v15, 0x7060302
	s_mov_b32 s16, -1
	s_and_b32 vcc_lo, exec_lo, s36
	v_and_b32_e32 v150, 0x7fff, v147
	v_and_b32_e32 v148, 0x7fff, v149
                                        ; implicit-def: $vgpr15
	s_delay_alu instid0(VALU_DEP_2) | instskip(NEXT) | instid1(VALU_DEP_2)
	v_cmp_lt_u16_e64 s14, 0x7c00, v150
	v_cmp_gt_u16_e64 s15, 0x7c01, v148
	s_delay_alu instid0(VALU_DEP_1) | instskip(NEXT) | instid1(SALU_CYCLE_1)
	s_and_b32 s11, s14, s15
	s_xor_b32 s11, s11, -1
	s_cbranch_vccz .LBB2_1392
; %bb.1387:                             ;   in Loop: Header=BB2_1302 Depth=3
	v_mov_b32_e32 v15, v149
	s_and_saveexec_b32 s24, s11
	s_cbranch_execz .LBB2_1391
; %bb.1388:                             ;   in Loop: Header=BB2_1302 Depth=3
	v_mov_b32_e32 v15, v147
	s_or_b32 s16, s14, s15
	s_delay_alu instid0(SALU_CYCLE_1)
	s_and_saveexec_b32 s37, s16
; %bb.1389:                             ;   in Loop: Header=BB2_1302 Depth=3
	v_lshrrev_b32_e32 v15, 16, v11
	v_cmp_lt_u16_e64 vcc_lo, 0x7c00, v148
	s_delay_alu instid0(VALU_DEP_2) | instskip(NEXT) | instid1(VALU_DEP_1)
	v_cmp_gt_f16_e64 s16, v11, v15
	v_cndmask_b32_e64 v15, v15, v11, s16
	s_delay_alu instid0(VALU_DEP_3)
	s_and_b32 s16, s14, vcc_lo
	s_delay_alu instid0(VALU_DEP_1) | instid1(SALU_CYCLE_1)
	v_cndmask_b32_e64 v15, v15, 0x7fff, s16
; %bb.1390:                             ;   in Loop: Header=BB2_1302 Depth=3
	s_or_b32 exec_lo, exec_lo, s37
.LBB2_1391:                             ;   in Loop: Header=BB2_1302 Depth=3
	s_delay_alu instid0(SALU_CYCLE_1)
	s_or_b32 exec_lo, exec_lo, s24
	s_mov_b32 s16, 0
.LBB2_1392:                             ;   in Loop: Header=BB2_1302 Depth=3
	s_delay_alu instid0(SALU_CYCLE_1)
	s_and_not1_b32 vcc_lo, exec_lo, s16
	s_cbranch_vccnz .LBB2_1301
; %bb.1393:                             ;   in Loop: Header=BB2_1302 Depth=3
	s_and_saveexec_b32 s16, s11
	s_cbranch_execz .LBB2_1300
; %bb.1394:                             ;   in Loop: Header=BB2_1302 Depth=3
	s_or_b32 s15, s14, s15
	s_delay_alu instid0(SALU_CYCLE_1)
	s_and_saveexec_b32 s11, s15
	s_cbranch_execz .LBB2_1299
; %bb.1395:                             ;   in Loop: Header=BB2_1302 Depth=3
	v_lshrrev_b32_e32 v15, 16, v11
	v_cmp_lt_u16_e64 vcc_lo, 0x7c00, v148
	s_delay_alu instid0(VALU_DEP_2) | instskip(NEXT) | instid1(VALU_DEP_2)
	v_cmp_gt_f16_e64 s15, v11, v15
	s_and_b32 s14, s14, vcc_lo
	s_delay_alu instid0(VALU_DEP_1) | instskip(NEXT) | instid1(VALU_DEP_1)
	v_cndmask_b32_e64 v11, v11, v15, s15
	v_cndmask_b32_e64 v147, v11, 0x7fff, s14
	s_branch .LBB2_1299
.LBB2_1396:                             ;   in Loop: Header=BB2_817 Depth=2
	s_or_b32 exec_lo, exec_lo, s35
.LBB2_1397:                             ;   in Loop: Header=BB2_817 Depth=2
	s_delay_alu instid0(SALU_CYCLE_1) | instskip(SKIP_3) | instid1(VALU_DEP_1)
	s_or_b32 exec_lo, exec_lo, s34
	v_dual_mov_b32 v14, 0 :: v_dual_and_b32 v9, 14, v84
	s_mov_b32 s11, 0
	s_mov_b32 s14, exec_lo
                                        ; implicit-def: $vgpr15
                                        ; implicit-def: $vgpr8
	v_cndmask_b32_e64 v2, v85, v9, s13
	s_delay_alu instid0(VALU_DEP_1)
	v_cmpx_ne_u32_e32 0, v2
	s_cbranch_execz .LBB2_1399
; %bb.1398:                             ;   in Loop: Header=BB2_817 Depth=2
	v_cmp_lt_i32_e32 vcc_lo, 0, v145
	v_sub_nc_u32_e32 v9, v85, v9
	s_mov_b32 s11, exec_lo
	v_cndmask_b32_e32 v8, 0, v99, vcc_lo
	s_delay_alu instid0(VALU_DEP_2) | instskip(NEXT) | instid1(VALU_DEP_2)
	v_cndmask_b32_e64 v9, 0, v9, s13
	v_sub_nc_u32_e32 v8, v8, v145
	s_delay_alu instid0(VALU_DEP_2) | instskip(NEXT) | instid1(VALU_DEP_2)
	v_add3_u32 v14, v135, v67, v9
	v_lshl_add_u32 v15, v8, 5, v144
	s_delay_alu instid0(VALU_DEP_1) | instskip(NEXT) | instid1(VALU_DEP_1)
	v_ashrrev_i32_e32 v8, 31, v15
	v_lshrrev_b32_e32 v8, 27, v8
	s_delay_alu instid0(VALU_DEP_1) | instskip(NEXT) | instid1(VALU_DEP_1)
	v_add_nc_u32_e32 v8, v15, v8
	v_ashrrev_i32_e32 v8, 5, v8
.LBB2_1399:                             ;   in Loop: Header=BB2_817 Depth=2
	s_or_b32 exec_lo, exec_lo, s14
	s_delay_alu instid0(SALU_CYCLE_1)
	s_and_b32 s11, s11, exec_lo
.LBB2_1400:                             ;   in Loop: Header=BB2_817 Depth=2
	s_or_b32 exec_lo, exec_lo, s31
.LBB2_1401:                             ;   in Loop: Header=BB2_817 Depth=2
	s_and_saveexec_b32 s16, s11
	s_cbranch_execz .LBB2_1473
; %bb.1402:                             ;   in Loop: Header=BB2_817 Depth=2
	v_ashrrev_i32_e32 v9, 31, v2
	s_mov_b32 s31, exec_lo
	s_delay_alu instid0(VALU_DEP_1) | instskip(NEXT) | instid1(VALU_DEP_1)
	v_lshrrev_b32_e32 v9, 24, v9
	v_add_nc_u32_e32 v9, v2, v9
	s_delay_alu instid0(VALU_DEP_1) | instskip(NEXT) | instid1(VALU_DEP_1)
	v_ashrrev_i32_e32 v70, 8, v9
	v_sub_nc_u32_e32 v67, v70, v8
	s_delay_alu instid0(VALU_DEP_1)
	v_cmpx_lt_i32_e32 0, v67
	s_cbranch_execz .LBB2_1455
; %bb.1403:                             ;   in Loop: Header=BB2_817 Depth=2
	s_cbranch_execnz .LBB2_2532
; %bb.1404:                             ;   in Loop: Header=BB2_817 Depth=2
	v_ashrrev_i32_e32 v9, 31, v15
	v_lshlrev_b32_e32 v8, 8, v8
	s_bitcmp1_b32 s30, 0
	s_mov_b32 s34, 0
	s_cselect_b32 s35, -1, 0
	v_lshrrev_b32_e32 v9, 27, v9
	ds_load_b64 v[80:81], v0
	v_add_nc_u32_e32 v9, v15, v9
	s_delay_alu instid0(VALU_DEP_1) | instskip(SKIP_2) | instid1(VALU_DEP_1)
	v_and_b32_e32 v13, 0x7fffffe0, v9
	ds_load_b128 v[9:12], v0
	v_sub_nc_u32_e32 v13, v15, v13
	v_lshlrev_b32_e32 v13, 1, v13
	s_delay_alu instid0(VALU_DEP_1) | instskip(NEXT) | instid1(VALU_DEP_1)
	v_add3_u32 v13, v13, v14, v8
	v_ashrrev_i32_e32 v71, 31, v13
	s_waitcnt lgkmcnt(0)
	v_add_co_u32 v8, vcc_lo, v9, v13
	s_delay_alu instid0(VALU_DEP_2)
	v_add_co_ci_u32_e32 v9, vcc_lo, v10, v71, vcc_lo
	v_add_co_u32 v10, vcc_lo, v11, v13
	v_add_co_ci_u32_e32 v11, vcc_lo, v12, v71, vcc_lo
	v_add_co_u32 v12, vcc_lo, v80, v13
	v_add_co_ci_u32_e32 v13, vcc_lo, v81, v71, vcc_lo
	s_branch .LBB2_1408
.LBB2_1405:                             ;   in Loop: Header=BB2_1408 Depth=3
	s_or_b32 exec_lo, exec_lo, s11
	s_delay_alu instid0(VALU_DEP_1)
	v_mov_b32_e32 v80, v71
.LBB2_1406:                             ;   in Loop: Header=BB2_1408 Depth=3
	s_or_b32 exec_lo, exec_lo, s15
	s_delay_alu instid0(VALU_DEP_1)
	v_mov_b32_e32 v83, v80
.LBB2_1407:                             ;   in Loop: Header=BB2_1408 Depth=3
	v_add_co_u32 v8, vcc_lo, v8, v117
	v_sub_nc_u32_e32 v67, v67, v99
	v_add_co_ci_u32_e32 v9, vcc_lo, v9, v118, vcc_lo
	v_add_co_u32 v10, vcc_lo, v10, v117
	v_add_co_ci_u32_e32 v11, vcc_lo, v11, v118, vcc_lo
	s_clause 0x3
	flat_store_b16 v[12:13], v81 glc slc dlc
	flat_store_b16 v[12:13], v84 offset:64 glc slc dlc
	flat_store_b16 v[12:13], v85 offset:128 glc slc dlc
	;; [unrolled: 1-line block ×3, first 2 shown]
	v_cmp_gt_i32_e32 vcc_lo, 1, v67
	v_add_co_u32 v12, s13, v12, v117
	s_delay_alu instid0(VALU_DEP_1) | instskip(SKIP_1) | instid1(SALU_CYCLE_1)
	v_add_co_ci_u32_e64 v13, s13, v13, v118, s13
	s_or_b32 s34, vcc_lo, s34
	s_and_not1_b32 exec_lo, exec_lo, s34
	s_cbranch_execz .LBB2_1454
.LBB2_1408:                             ;   Parent Loop BB2_51 Depth=1
                                        ;     Parent Loop BB2_817 Depth=2
                                        ; =>    This Inner Loop Header: Depth=3
	flat_load_u16 v84, v[8:9] slc dlc
	flat_load_u16 v144, v[10:11] slc dlc
	s_clause 0x2
	flat_load_u16 v85, v[8:9] offset:64 slc dlc
	flat_load_u16 v82, v[8:9] offset:128 slc dlc
	;; [unrolled: 1-line block ×3, first 2 shown]
	s_clause 0x2
	flat_load_u16 v135, v[10:11] offset:64 slc dlc
	flat_load_u16 v83, v[10:11] offset:128 slc dlc
	;; [unrolled: 1-line block ×3, first 2 shown]
	s_mov_b32 s15, -1
	s_and_b32 vcc_lo, exec_lo, s35
	s_waitcnt vmcnt(7) lgkmcnt(7)
	v_and_b32_e32 v81, 0x7fff, v84
	s_waitcnt vmcnt(6) lgkmcnt(6)
	v_and_b32_e32 v145, 0x7fff, v144
	s_delay_alu instid0(VALU_DEP_2) | instskip(NEXT) | instid1(VALU_DEP_2)
	v_cmp_lt_u16_e64 s13, 0x7c00, v81
	v_cmp_gt_u16_e64 s14, 0x7c01, v145
                                        ; implicit-def: $vgpr81
	s_delay_alu instid0(VALU_DEP_1) | instskip(NEXT) | instid1(SALU_CYCLE_1)
	s_and_b32 s11, s13, s14
	s_xor_b32 s11, s11, -1
	s_cbranch_vccz .LBB2_1414
; %bb.1409:                             ;   in Loop: Header=BB2_1408 Depth=3
	v_mov_b32_e32 v81, v144
	s_and_saveexec_b32 s24, s11
	s_cbranch_execz .LBB2_1413
; %bb.1410:                             ;   in Loop: Header=BB2_1408 Depth=3
	v_mov_b32_e32 v81, v84
	s_or_b32 s15, s13, s14
	s_delay_alu instid0(SALU_CYCLE_1)
	s_and_saveexec_b32 s36, s15
; %bb.1411:                             ;   in Loop: Header=BB2_1408 Depth=3
	v_cmp_gt_f16_e64 s15, v84, v144
	v_cmp_lt_u16_e64 vcc_lo, 0x7c00, v145
	s_delay_alu instid0(VALU_DEP_2) | instskip(NEXT) | instid1(VALU_DEP_2)
	v_cndmask_b32_e64 v81, v144, v84, s15
	s_and_b32 s15, s13, vcc_lo
	s_delay_alu instid0(VALU_DEP_1) | instid1(SALU_CYCLE_1)
	v_cndmask_b32_e64 v81, v81, 0x7fff, s15
; %bb.1412:                             ;   in Loop: Header=BB2_1408 Depth=3
	s_or_b32 exec_lo, exec_lo, s36
.LBB2_1413:                             ;   in Loop: Header=BB2_1408 Depth=3
	s_delay_alu instid0(SALU_CYCLE_1)
	s_or_b32 exec_lo, exec_lo, s24
	s_mov_b32 s15, 0
.LBB2_1414:                             ;   in Loop: Header=BB2_1408 Depth=3
	s_delay_alu instid0(SALU_CYCLE_1)
	s_and_not1_b32 vcc_lo, exec_lo, s15
	s_cbranch_vccnz .LBB2_1420
; %bb.1415:                             ;   in Loop: Header=BB2_1408 Depth=3
	s_and_saveexec_b32 s15, s11
	s_cbranch_execz .LBB2_1419
; %bb.1416:                             ;   in Loop: Header=BB2_1408 Depth=3
	s_or_b32 s14, s13, s14
	s_delay_alu instid0(SALU_CYCLE_1)
	s_and_saveexec_b32 s11, s14
; %bb.1417:                             ;   in Loop: Header=BB2_1408 Depth=3
	v_cmp_gt_f16_e64 s14, v84, v144
	v_cmp_lt_u16_e64 vcc_lo, 0x7c00, v145
	s_delay_alu instid0(VALU_DEP_2) | instskip(NEXT) | instid1(VALU_DEP_2)
	v_cndmask_b32_e64 v81, v84, v144, s14
	s_and_b32 s13, s13, vcc_lo
	s_delay_alu instid0(VALU_DEP_1) | instid1(SALU_CYCLE_1)
	v_cndmask_b32_e64 v84, v81, 0x7fff, s13
; %bb.1418:                             ;   in Loop: Header=BB2_1408 Depth=3
	s_or_b32 exec_lo, exec_lo, s11
	s_delay_alu instid0(VALU_DEP_1)
	v_mov_b32_e32 v144, v84
.LBB2_1419:                             ;   in Loop: Header=BB2_1408 Depth=3
	s_or_b32 exec_lo, exec_lo, s15
	s_delay_alu instid0(VALU_DEP_1)
	v_mov_b32_e32 v81, v144
.LBB2_1420:                             ;   in Loop: Header=BB2_1408 Depth=3
	s_waitcnt vmcnt(5) lgkmcnt(5)
	v_and_b32_e32 v84, 0x7fff, v85
	s_waitcnt vmcnt(2) lgkmcnt(2)
	v_and_b32_e32 v144, 0x7fff, v135
	s_mov_b32 s15, -1
	s_and_not1_b32 vcc_lo, exec_lo, s35
	v_cmp_lt_u16_e64 s13, 0x7c00, v84
	s_delay_alu instid0(VALU_DEP_2) | instskip(NEXT) | instid1(VALU_DEP_1)
	v_cmp_gt_u16_e64 s14, 0x7c01, v144
                                        ; implicit-def: $vgpr84
	s_and_b32 s11, s13, s14
	s_delay_alu instid0(SALU_CYCLE_1)
	s_xor_b32 s11, s11, -1
	s_cbranch_vccnz .LBB2_1426
; %bb.1421:                             ;   in Loop: Header=BB2_1408 Depth=3
	v_mov_b32_e32 v84, v135
	s_and_saveexec_b32 s24, s11
	s_cbranch_execz .LBB2_1425
; %bb.1422:                             ;   in Loop: Header=BB2_1408 Depth=3
	v_mov_b32_e32 v84, v85
	s_or_b32 s15, s13, s14
	s_delay_alu instid0(SALU_CYCLE_1)
	s_and_saveexec_b32 s36, s15
; %bb.1423:                             ;   in Loop: Header=BB2_1408 Depth=3
	v_cmp_gt_f16_e64 s15, v85, v135
	v_cmp_lt_u16_e64 vcc_lo, 0x7c00, v144
	s_delay_alu instid0(VALU_DEP_2) | instskip(NEXT) | instid1(VALU_DEP_2)
	v_cndmask_b32_e64 v84, v135, v85, s15
	s_and_b32 s15, s13, vcc_lo
	s_delay_alu instid0(VALU_DEP_1) | instid1(SALU_CYCLE_1)
	v_cndmask_b32_e64 v84, v84, 0x7fff, s15
; %bb.1424:                             ;   in Loop: Header=BB2_1408 Depth=3
	s_or_b32 exec_lo, exec_lo, s36
.LBB2_1425:                             ;   in Loop: Header=BB2_1408 Depth=3
	s_delay_alu instid0(SALU_CYCLE_1)
	s_or_b32 exec_lo, exec_lo, s24
	s_mov_b32 s15, 0
.LBB2_1426:                             ;   in Loop: Header=BB2_1408 Depth=3
	s_delay_alu instid0(SALU_CYCLE_1)
	s_and_not1_b32 vcc_lo, exec_lo, s15
	s_cbranch_vccnz .LBB2_1432
; %bb.1427:                             ;   in Loop: Header=BB2_1408 Depth=3
	s_and_saveexec_b32 s15, s11
	s_cbranch_execz .LBB2_1431
; %bb.1428:                             ;   in Loop: Header=BB2_1408 Depth=3
	s_or_b32 s14, s13, s14
	s_delay_alu instid0(SALU_CYCLE_1)
	s_and_saveexec_b32 s11, s14
; %bb.1429:                             ;   in Loop: Header=BB2_1408 Depth=3
	v_cmp_gt_f16_e64 s14, v85, v135
	v_cmp_lt_u16_e64 vcc_lo, 0x7c00, v144
	s_delay_alu instid0(VALU_DEP_2) | instskip(NEXT) | instid1(VALU_DEP_2)
	v_cndmask_b32_e64 v84, v85, v135, s14
	s_and_b32 s13, s13, vcc_lo
	s_delay_alu instid0(VALU_DEP_1) | instid1(SALU_CYCLE_1)
	v_cndmask_b32_e64 v85, v84, 0x7fff, s13
; %bb.1430:                             ;   in Loop: Header=BB2_1408 Depth=3
	s_or_b32 exec_lo, exec_lo, s11
	s_delay_alu instid0(VALU_DEP_1)
	v_mov_b32_e32 v135, v85
.LBB2_1431:                             ;   in Loop: Header=BB2_1408 Depth=3
	s_or_b32 exec_lo, exec_lo, s15
	s_delay_alu instid0(VALU_DEP_1)
	v_mov_b32_e32 v84, v135
.LBB2_1432:                             ;   in Loop: Header=BB2_1408 Depth=3
	v_and_b32_e32 v85, 0x7fff, v82
	s_waitcnt vmcnt(1) lgkmcnt(1)
	v_and_b32_e32 v135, 0x7fff, v83
	s_mov_b32 s15, -1
	s_and_not1_b32 vcc_lo, exec_lo, s35
	v_cmp_lt_u16_e64 s13, 0x7c00, v85
	s_delay_alu instid0(VALU_DEP_2) | instskip(NEXT) | instid1(VALU_DEP_1)
	v_cmp_gt_u16_e64 s14, 0x7c01, v135
                                        ; implicit-def: $vgpr85
	s_and_b32 s11, s13, s14
	s_delay_alu instid0(SALU_CYCLE_1)
	s_xor_b32 s11, s11, -1
	s_cbranch_vccnz .LBB2_1438
; %bb.1433:                             ;   in Loop: Header=BB2_1408 Depth=3
	v_mov_b32_e32 v85, v83
	s_and_saveexec_b32 s24, s11
	s_cbranch_execz .LBB2_1437
; %bb.1434:                             ;   in Loop: Header=BB2_1408 Depth=3
	v_mov_b32_e32 v85, v82
	s_or_b32 s15, s13, s14
	s_delay_alu instid0(SALU_CYCLE_1)
	s_and_saveexec_b32 s36, s15
; %bb.1435:                             ;   in Loop: Header=BB2_1408 Depth=3
	v_cmp_gt_f16_e64 s15, v82, v83
	v_cmp_lt_u16_e64 vcc_lo, 0x7c00, v135
	s_delay_alu instid0(VALU_DEP_2) | instskip(NEXT) | instid1(VALU_DEP_2)
	v_cndmask_b32_e64 v85, v83, v82, s15
	s_and_b32 s15, s13, vcc_lo
	s_delay_alu instid0(VALU_DEP_1) | instid1(SALU_CYCLE_1)
	v_cndmask_b32_e64 v85, v85, 0x7fff, s15
; %bb.1436:                             ;   in Loop: Header=BB2_1408 Depth=3
	s_or_b32 exec_lo, exec_lo, s36
.LBB2_1437:                             ;   in Loop: Header=BB2_1408 Depth=3
	s_delay_alu instid0(SALU_CYCLE_1)
	s_or_b32 exec_lo, exec_lo, s24
	s_mov_b32 s15, 0
.LBB2_1438:                             ;   in Loop: Header=BB2_1408 Depth=3
	s_delay_alu instid0(SALU_CYCLE_1)
	s_and_not1_b32 vcc_lo, exec_lo, s15
	s_cbranch_vccnz .LBB2_1444
; %bb.1439:                             ;   in Loop: Header=BB2_1408 Depth=3
	s_and_saveexec_b32 s15, s11
	s_cbranch_execz .LBB2_1443
; %bb.1440:                             ;   in Loop: Header=BB2_1408 Depth=3
	s_or_b32 s14, s13, s14
	s_delay_alu instid0(SALU_CYCLE_1)
	s_and_saveexec_b32 s11, s14
; %bb.1441:                             ;   in Loop: Header=BB2_1408 Depth=3
	v_cmp_gt_f16_e64 s14, v82, v83
	v_cmp_lt_u16_e64 vcc_lo, 0x7c00, v135
	s_delay_alu instid0(VALU_DEP_2) | instskip(NEXT) | instid1(VALU_DEP_2)
	v_cndmask_b32_e64 v82, v82, v83, s14
	s_and_b32 s13, s13, vcc_lo
	s_delay_alu instid0(VALU_DEP_1) | instid1(SALU_CYCLE_1)
	v_cndmask_b32_e64 v82, v82, 0x7fff, s13
; %bb.1442:                             ;   in Loop: Header=BB2_1408 Depth=3
	s_or_b32 exec_lo, exec_lo, s11
	s_delay_alu instid0(VALU_DEP_1)
	v_mov_b32_e32 v83, v82
.LBB2_1443:                             ;   in Loop: Header=BB2_1408 Depth=3
	s_or_b32 exec_lo, exec_lo, s15
	s_delay_alu instid0(VALU_DEP_1)
	v_mov_b32_e32 v85, v83
.LBB2_1444:                             ;   in Loop: Header=BB2_1408 Depth=3
	v_and_b32_e32 v83, 0x7fff, v71
	s_waitcnt vmcnt(0) lgkmcnt(0)
	v_and_b32_e32 v82, 0x7fff, v80
	s_mov_b32 s15, -1
	s_and_not1_b32 vcc_lo, exec_lo, s35
	v_cmp_lt_u16_e64 s13, 0x7c00, v83
	s_delay_alu instid0(VALU_DEP_2) | instskip(NEXT) | instid1(VALU_DEP_1)
	v_cmp_gt_u16_e64 s14, 0x7c01, v82
                                        ; implicit-def: $vgpr83
	s_and_b32 s11, s13, s14
	s_delay_alu instid0(SALU_CYCLE_1)
	s_xor_b32 s11, s11, -1
	s_cbranch_vccnz .LBB2_1450
; %bb.1445:                             ;   in Loop: Header=BB2_1408 Depth=3
	v_mov_b32_e32 v83, v80
	s_and_saveexec_b32 s24, s11
	s_cbranch_execz .LBB2_1449
; %bb.1446:                             ;   in Loop: Header=BB2_1408 Depth=3
	v_mov_b32_e32 v83, v71
	s_or_b32 s15, s13, s14
	s_delay_alu instid0(SALU_CYCLE_1)
	s_and_saveexec_b32 s36, s15
; %bb.1447:                             ;   in Loop: Header=BB2_1408 Depth=3
	v_cmp_gt_f16_e64 s15, v71, v80
	v_cmp_lt_u16_e32 vcc_lo, 0x7c00, v82
	s_delay_alu instid0(VALU_DEP_2)
	v_cndmask_b32_e64 v83, v80, v71, s15
	s_and_b32 s15, s13, vcc_lo
	s_delay_alu instid0(VALU_DEP_1) | instid1(SALU_CYCLE_1)
	v_cndmask_b32_e64 v83, v83, 0x7fff, s15
; %bb.1448:                             ;   in Loop: Header=BB2_1408 Depth=3
	s_or_b32 exec_lo, exec_lo, s36
.LBB2_1449:                             ;   in Loop: Header=BB2_1408 Depth=3
	s_delay_alu instid0(SALU_CYCLE_1)
	s_or_b32 exec_lo, exec_lo, s24
	s_mov_b32 s15, 0
.LBB2_1450:                             ;   in Loop: Header=BB2_1408 Depth=3
	s_delay_alu instid0(SALU_CYCLE_1)
	s_and_not1_b32 vcc_lo, exec_lo, s15
	s_cbranch_vccnz .LBB2_1407
; %bb.1451:                             ;   in Loop: Header=BB2_1408 Depth=3
	s_and_saveexec_b32 s15, s11
	s_cbranch_execz .LBB2_1406
; %bb.1452:                             ;   in Loop: Header=BB2_1408 Depth=3
	s_or_b32 s14, s13, s14
	s_delay_alu instid0(SALU_CYCLE_1)
	s_and_saveexec_b32 s11, s14
	s_cbranch_execz .LBB2_1405
; %bb.1453:                             ;   in Loop: Header=BB2_1408 Depth=3
	v_cmp_gt_f16_e64 s14, v71, v80
	v_cmp_lt_u16_e32 vcc_lo, 0x7c00, v82
	s_delay_alu instid0(VALU_DEP_2)
	v_cndmask_b32_e64 v71, v71, v80, s14
	s_and_b32 s13, s13, vcc_lo
	s_delay_alu instid0(VALU_DEP_1) | instid1(SALU_CYCLE_1)
	v_cndmask_b32_e64 v71, v71, 0x7fff, s13
	s_branch .LBB2_1405
.LBB2_1454:                             ;   in Loop: Header=BB2_817 Depth=2
	s_or_b32 exec_lo, exec_lo, s34
.LBB2_1455:                             ;   in Loop: Header=BB2_817 Depth=2
	s_delay_alu instid0(SALU_CYCLE_1) | instskip(SKIP_2) | instid1(VALU_DEP_1)
	s_or_b32 exec_lo, exec_lo, s31
	v_lshlrev_b32_e32 v8, 8, v70
	s_mov_b32 s31, exec_lo
	v_cmpx_ne_u32_e64 v2, v8
	s_cbranch_execz .LBB2_1472
; %bb.1456:                             ;   in Loop: Header=BB2_817 Depth=2
	v_ashrrev_i32_e32 v9, 31, v15
	v_lshlrev_b32_e32 v10, 5, v67
	s_delay_alu instid0(VALU_DEP_2) | instskip(NEXT) | instid1(VALU_DEP_1)
	v_lshrrev_b32_e32 v9, 27, v9
	v_add_nc_u32_e32 v9, v15, v9
	s_delay_alu instid0(VALU_DEP_1) | instskip(NEXT) | instid1(VALU_DEP_1)
	v_and_b32_e32 v9, 0xffffffe0, v9
	v_sub_nc_u32_e32 v9, v15, v9
	s_delay_alu instid0(VALU_DEP_1) | instskip(NEXT) | instid1(VALU_DEP_1)
	v_sub_nc_u32_e32 v9, v9, v10
	v_ashrrev_i32_e32 v10, 31, v9
	s_delay_alu instid0(VALU_DEP_1) | instskip(NEXT) | instid1(VALU_DEP_1)
	v_lshrrev_b32_e32 v10, 27, v10
	v_add_nc_u32_e32 v10, v9, v10
	s_delay_alu instid0(VALU_DEP_1) | instskip(SKIP_1) | instid1(VALU_DEP_2)
	v_and_b32_e32 v11, 0x7fffffe0, v10
	v_lshlrev_b32_e32 v10, 1, v10
	v_sub_nc_u32_e32 v9, v9, v11
	s_delay_alu instid0(VALU_DEP_2) | instskip(NEXT) | instid1(VALU_DEP_2)
	v_and_b32_e32 v10, 0xffffffc0, v10
	v_lshlrev_b32_e32 v9, 1, v9
	s_delay_alu instid0(VALU_DEP_1) | instskip(NEXT) | instid1(VALU_DEP_1)
	v_add3_u32 v8, v10, v9, v8
	v_sub_nc_u32_e32 v2, v2, v8
	s_delay_alu instid0(VALU_DEP_1)
	v_cmp_lt_i32_e32 vcc_lo, 1, v2
	s_and_b32 exec_lo, exec_lo, vcc_lo
	s_cbranch_execz .LBB2_1472
; %bb.1457:                             ;   in Loop: Header=BB2_817 Depth=2
	s_cbranch_execnz .LBB2_2600
; %bb.1458:                             ;   in Loop: Header=BB2_817 Depth=2
	ds_load_b128 v[9:12], v0
	ds_load_b64 v[70:71], v0
	v_add_nc_u32_e32 v13, v8, v14
	s_bitcmp1_b32 s30, 0
	s_mov_b32 s11, 0
	s_cselect_b32 s24, -1, 0
	s_delay_alu instid0(VALU_DEP_1) | instskip(SKIP_2) | instid1(VALU_DEP_2)
	v_ashrrev_i32_e32 v14, 31, v13
	s_waitcnt lgkmcnt(1)
	v_add_co_u32 v8, vcc_lo, v9, v13
	v_add_co_ci_u32_e32 v9, vcc_lo, v10, v14, vcc_lo
	v_add_co_u32 v10, vcc_lo, v11, v13
	v_add_co_ci_u32_e32 v11, vcc_lo, v12, v14, vcc_lo
	s_waitcnt lgkmcnt(0)
	v_add_co_u32 v12, vcc_lo, v70, v13
	v_add_co_ci_u32_e32 v13, vcc_lo, v71, v14, vcc_lo
	s_branch .LBB2_1462
.LBB2_1459:                             ;   in Loop: Header=BB2_1462 Depth=3
	s_or_b32 exec_lo, exec_lo, s30
	s_delay_alu instid0(VALU_DEP_1)
	v_mov_b32_e32 v15, v14
.LBB2_1460:                             ;   in Loop: Header=BB2_1462 Depth=3
	s_or_b32 exec_lo, exec_lo, s15
	s_delay_alu instid0(VALU_DEP_1)
	v_mov_b32_e32 v70, v15
.LBB2_1461:                             ;   in Loop: Header=BB2_1462 Depth=3
	v_add_co_u32 v8, vcc_lo, v8, v128
	v_sub_nc_u32_e32 v2, v2, v113
	v_add_co_ci_u32_e32 v9, vcc_lo, v9, v129, vcc_lo
	v_add_co_u32 v10, vcc_lo, v10, v128
	v_add_co_ci_u32_e32 v11, vcc_lo, v11, v129, vcc_lo
	flat_store_b16 v[12:13], v70 glc slc dlc
	v_cmp_gt_i32_e32 vcc_lo, 2, v2
	v_add_co_u32 v12, s13, v12, v128
	s_delay_alu instid0(VALU_DEP_1) | instskip(SKIP_1) | instid1(SALU_CYCLE_1)
	v_add_co_ci_u32_e64 v13, s13, v13, v129, s13
	s_or_b32 s11, vcc_lo, s11
	s_and_not1_b32 exec_lo, exec_lo, s11
	s_cbranch_execz .LBB2_1472
.LBB2_1462:                             ;   Parent Loop BB2_51 Depth=1
                                        ;     Parent Loop BB2_817 Depth=2
                                        ; =>    This Inner Loop Header: Depth=3
	flat_load_u16 v14, v[8:9] slc dlc
	flat_load_u16 v15, v[10:11] slc dlc
	s_mov_b32 s15, -1
	s_and_b32 vcc_lo, exec_lo, s24
	s_waitcnt vmcnt(1) lgkmcnt(1)
	v_and_b32_e32 v70, 0x7fff, v14
	s_waitcnt vmcnt(0) lgkmcnt(0)
	v_and_b32_e32 v67, 0x7fff, v15
	s_delay_alu instid0(VALU_DEP_2) | instskip(NEXT) | instid1(VALU_DEP_2)
	v_cmp_lt_u16_e64 s13, 0x7c00, v70
	v_cmp_gt_u16_e64 s14, 0x7c01, v67
                                        ; implicit-def: $vgpr70
	s_delay_alu instid0(VALU_DEP_1) | instskip(NEXT) | instid1(SALU_CYCLE_1)
	s_and_b32 s30, s13, s14
	s_xor_b32 s30, s30, -1
	s_cbranch_vccz .LBB2_1468
; %bb.1463:                             ;   in Loop: Header=BB2_1462 Depth=3
	v_mov_b32_e32 v70, v15
	s_and_saveexec_b32 s34, s30
	s_cbranch_execz .LBB2_1467
; %bb.1464:                             ;   in Loop: Header=BB2_1462 Depth=3
	v_mov_b32_e32 v70, v14
	s_or_b32 s15, s13, s14
	s_delay_alu instid0(SALU_CYCLE_1)
	s_and_saveexec_b32 s35, s15
; %bb.1465:                             ;   in Loop: Header=BB2_1462 Depth=3
	v_cmp_gt_f16_e64 s15, v14, v15
	v_cmp_lt_u16_e32 vcc_lo, 0x7c00, v67
	s_delay_alu instid0(VALU_DEP_2)
	v_cndmask_b32_e64 v70, v15, v14, s15
	s_and_b32 s15, s13, vcc_lo
	s_delay_alu instid0(VALU_DEP_1) | instid1(SALU_CYCLE_1)
	v_cndmask_b32_e64 v70, v70, 0x7fff, s15
; %bb.1466:                             ;   in Loop: Header=BB2_1462 Depth=3
	s_or_b32 exec_lo, exec_lo, s35
.LBB2_1467:                             ;   in Loop: Header=BB2_1462 Depth=3
	s_delay_alu instid0(SALU_CYCLE_1)
	s_or_b32 exec_lo, exec_lo, s34
	s_mov_b32 s15, 0
.LBB2_1468:                             ;   in Loop: Header=BB2_1462 Depth=3
	s_delay_alu instid0(SALU_CYCLE_1)
	s_and_not1_b32 vcc_lo, exec_lo, s15
	s_cbranch_vccnz .LBB2_1461
; %bb.1469:                             ;   in Loop: Header=BB2_1462 Depth=3
	s_and_saveexec_b32 s15, s30
	s_cbranch_execz .LBB2_1460
; %bb.1470:                             ;   in Loop: Header=BB2_1462 Depth=3
	s_or_b32 s14, s13, s14
	s_delay_alu instid0(SALU_CYCLE_1)
	s_and_saveexec_b32 s30, s14
	s_cbranch_execz .LBB2_1459
; %bb.1471:                             ;   in Loop: Header=BB2_1462 Depth=3
	v_cmp_gt_f16_e64 s14, v14, v15
	v_cmp_lt_u16_e32 vcc_lo, 0x7c00, v67
	s_delay_alu instid0(VALU_DEP_2)
	v_cndmask_b32_e64 v14, v14, v15, s14
	s_and_b32 s13, s13, vcc_lo
	s_delay_alu instid0(VALU_DEP_1) | instid1(SALU_CYCLE_1)
	v_cndmask_b32_e64 v14, v14, 0x7fff, s13
	s_branch .LBB2_1459
.LBB2_1472:                             ;   in Loop: Header=BB2_817 Depth=2
	s_or_b32 exec_lo, exec_lo, s31
.LBB2_1473:                             ;   in Loop: Header=BB2_817 Depth=2
	s_delay_alu instid0(SALU_CYCLE_1)
	s_or_b32 exec_lo, exec_lo, s16
.LBB2_1474:                             ;   in Loop: Header=BB2_817 Depth=2
	s_and_saveexec_b32 s13, s3
	s_cbranch_execz .LBB2_1496
; %bb.1475:                             ;   in Loop: Header=BB2_817 Depth=2
	s_and_saveexec_b32 s11, s4
	s_delay_alu instid0(SALU_CYCLE_1)
	s_xor_b32 s11, exec_lo, s11
	s_cbranch_execz .LBB2_1493
; %bb.1476:                             ;   in Loop: Header=BB2_817 Depth=2
	s_and_saveexec_b32 s14, s1
	s_cbranch_execz .LBB2_1492
; %bb.1477:                             ;   in Loop: Header=BB2_817 Depth=2
	s_mov_b32 s16, exec_lo
	s_mov_b32 s15, exec_lo
	v_mbcnt_lo_u32_b32 v2, s16, 0
	s_waitcnt lgkmcnt(0)
	s_waitcnt_vscnt null, 0x0
	buffer_gl1_inv
	buffer_gl0_inv
	v_cmpx_eq_u32_e32 0, v2
	s_cbranch_execz .LBB2_1479
; %bb.1478:                             ;   in Loop: Header=BB2_817 Depth=2
	s_bcnt1_i32_b32 s16, s16
	s_delay_alu instid0(SALU_CYCLE_1)
	v_mov_b32_e32 v2, s16
	ds_add_u64 v0, v[2:3]
	s_cbranch_execnz .LBB2_2500
.LBB2_1479:                             ;   in Loop: Header=BB2_817 Depth=2
	s_or_b32 exec_lo, exec_lo, s15
	s_cbranch_execnz .LBB2_2470
; %bb.1480:                             ;   in Loop: Header=BB2_817 Depth=2
	ds_load_b64 v[8:9], v0
	v_add_co_u32 v32, vcc_lo, v32, v99
	v_add_co_ci_u32_e32 v33, vcc_lo, 0, v33, vcc_lo
	s_mov_b32 s15, exec_lo
	s_waitcnt lgkmcnt(0)
	s_delay_alu instid0(VALU_DEP_1)
	v_cmpx_lt_u64_e64 v[8:9], v[32:33]
	s_cbranch_execz .LBB2_1491
; %bb.1481:                             ;   in Loop: Header=BB2_817 Depth=2
	s_mov_b32 s16, 0
	s_mov_b32 s31, 0
                                        ; implicit-def: $sgpr24
                                        ; implicit-def: $sgpr30
	s_branch .LBB2_1483
.LBB2_1482:                             ;   in Loop: Header=BB2_1483 Depth=3
	s_or_b32 exec_lo, exec_lo, s35
	s_delay_alu instid0(SALU_CYCLE_1) | instskip(NEXT) | instid1(SALU_CYCLE_1)
	s_and_b32 vcc_lo, exec_lo, vcc_lo
	s_or_b32 s16, vcc_lo, s16
	s_and_not1_b32 s24, s24, exec_lo
	s_and_b32 vcc_lo, s30, exec_lo
	s_delay_alu instid0(SALU_CYCLE_1)
	s_or_b32 s24, s24, vcc_lo
	s_and_not1_b32 exec_lo, exec_lo, s16
	s_cbranch_execz .LBB2_1489
.LBB2_1483:                             ;   Parent Loop BB2_51 Depth=1
                                        ;     Parent Loop BB2_817 Depth=2
                                        ; =>    This Inner Loop Header: Depth=3
	s_add_i32 s31, s31, 1
                                        ; implicit-def: $sgpr35
	s_delay_alu instid0(SALU_CYCLE_1) | instskip(SKIP_1) | instid1(SALU_CYCLE_1)
	s_cmpk_lg_i32 s31, 0x2710
	s_cselect_b32 s34, -1, 0
	s_and_b32 vcc_lo, exec_lo, s34
	s_cbranch_vccz .LBB2_1487
.LBB2_1484:                             ;   in Loop: Header=BB2_1483 Depth=3
	s_and_not1_b32 s30, s30, exec_lo
	s_and_b32 s35, s35, exec_lo
	s_mov_b32 vcc_lo, -1
	s_or_b32 s30, s30, s35
	s_and_saveexec_b32 s35, s34
	s_cbranch_execz .LBB2_1482
; %bb.1485:                             ;   in Loop: Header=BB2_1483 Depth=3
	s_sleep 1
	s_cbranch_execnz .LBB2_2554
; %bb.1486:                             ;   in Loop: Header=BB2_1483 Depth=3
	ds_load_b64 v[8:9], v0
	s_and_not1_b32 s30, s30, exec_lo
	s_waitcnt lgkmcnt(0)
	v_cmp_ge_u64_e32 vcc_lo, v[8:9], v[32:33]
	s_or_not1_b32 vcc_lo, vcc_lo, exec_lo
	s_branch .LBB2_1482
.LBB2_1487:                             ;   in Loop: Header=BB2_1483 Depth=3
	s_cbranch_execnz .LBB2_2574
; %bb.1488:                             ;   in Loop: Header=BB2_1483 Depth=3
	ds_load_b64 v[8:9], v0
	s_and_not1_b32 s34, s34, exec_lo
	s_mov_b32 s31, 0
	s_mov_b32 s35, -1
	s_waitcnt lgkmcnt(0)
	flat_load_b32 v2, v[8:9] glc
	s_waitcnt vmcnt(0) lgkmcnt(0)
	buffer_gl1_inv
	buffer_gl0_inv
	v_cmp_eq_u32_e32 vcc_lo, 0, v2
	s_and_b32 vcc_lo, vcc_lo, exec_lo
	s_delay_alu instid0(SALU_CYCLE_1)
	s_or_b32 s34, s34, vcc_lo
	s_branch .LBB2_1484
.LBB2_1489:                             ;   in Loop: Header=BB2_817 Depth=2
	s_or_b32 exec_lo, exec_lo, s16
	s_and_saveexec_b32 s16, s24
	s_delay_alu instid0(SALU_CYCLE_1)
	s_xor_b32 s16, exec_lo, s16
	s_cbranch_execz .LBB2_1491
; %bb.1490:                             ;   in Loop: Header=BB2_817 Depth=2
	ds_store_b32 v0, v133
	s_cbranch_execnz .LBB2_2680
.LBB2_1491:                             ;   in Loop: Header=BB2_817 Depth=2
	s_or_b32 exec_lo, exec_lo, s15
	;;#ASMSTART
	s_wakeup
	;;#ASMEND
.LBB2_1492:                             ;   in Loop: Header=BB2_817 Depth=2
	s_or_b32 exec_lo, exec_lo, s14
.LBB2_1493:                             ;   in Loop: Header=BB2_817 Depth=2
	s_and_not1_saveexec_b32 s11, s11
	s_cbranch_execz .LBB2_1495
; %bb.1494:                             ;   in Loop: Header=BB2_817 Depth=2
	s_waitcnt lgkmcnt(0)
	s_waitcnt_vscnt null, 0x0
	buffer_gl1_inv
	buffer_gl0_inv
	s_barrier
.LBB2_1495:                             ;   in Loop: Header=BB2_817 Depth=2
	s_or_b32 exec_lo, exec_lo, s11
.LBB2_1496:                             ;   in Loop: Header=BB2_817 Depth=2
	s_delay_alu instid0(SALU_CYCLE_1) | instskip(SKIP_1) | instid1(SALU_CYCLE_1)
	s_or_b32 exec_lo, exec_lo, s13
                                        ; implicit-def: $vgpr2
	s_and_saveexec_b32 s11, s7
	s_xor_b32 s11, exec_lo, s11
	s_cbranch_execz .LBB2_1500
; %bb.1497:                             ;   in Loop: Header=BB2_817 Depth=2
	v_and_b32_e32 v2, 16, v30
	v_cmp_lt_i32_e32 vcc_lo, 0, v65
	s_delay_alu instid0(VALU_DEP_2) | instskip(SKIP_1) | instid1(VALU_DEP_2)
	v_cmp_ne_u32_e64 s13, 0, v2
	v_and_b32_e32 v2, 16, v30
	s_and_b32 s14, s13, vcc_lo
	s_delay_alu instid0(SALU_CYCLE_1)
	s_and_saveexec_b32 s13, s14
	s_cbranch_execz .LBB2_1499
; %bb.1498:                             ;   in Loop: Header=BB2_817 Depth=2
	v_mov_b32_e32 v2, 1
	s_waitcnt lgkmcnt(0)
	s_waitcnt_vscnt null, 0x0
	buffer_gl1_inv
	buffer_gl0_inv
.LBB2_1499:                             ;   in Loop: Header=BB2_817 Depth=2
	s_or_b32 exec_lo, exec_lo, s13
.LBB2_1500:                             ;   in Loop: Header=BB2_817 Depth=2
	s_and_not1_saveexec_b32 s13, s11
	s_cbranch_execz .LBB2_1522
; %bb.1501:                             ;   in Loop: Header=BB2_817 Depth=2
	s_and_saveexec_b32 s11, s4
	s_delay_alu instid0(SALU_CYCLE_1)
	s_xor_b32 s11, exec_lo, s11
	s_cbranch_execz .LBB2_1519
; %bb.1502:                             ;   in Loop: Header=BB2_817 Depth=2
	s_and_saveexec_b32 s14, s1
	s_cbranch_execz .LBB2_1518
; %bb.1503:                             ;   in Loop: Header=BB2_817 Depth=2
	s_mov_b32 s16, exec_lo
	s_mov_b32 s15, exec_lo
	v_mbcnt_lo_u32_b32 v2, s16, 0
	;;#ASMSTART
	s_waitcnt lgkmcnt(0) vmcnt(0)
	;;#ASMEND
	s_delay_alu instid0(VALU_DEP_1)
	v_cmpx_eq_u32_e32 0, v2
	s_cbranch_execz .LBB2_1505
; %bb.1504:                             ;   in Loop: Header=BB2_817 Depth=2
	s_bcnt1_i32_b32 s16, s16
	s_delay_alu instid0(SALU_CYCLE_1)
	v_mov_b32_e32 v2, s16
	ds_add_u64 v0, v[2:3]
	s_cbranch_execnz .LBB2_2504
.LBB2_1505:                             ;   in Loop: Header=BB2_817 Depth=2
	s_or_b32 exec_lo, exec_lo, s15
	s_cbranch_execnz .LBB2_2480
; %bb.1506:                             ;   in Loop: Header=BB2_817 Depth=2
	ds_load_b64 v[8:9], v0
	v_add_co_u32 v32, vcc_lo, v32, v99
	v_add_co_ci_u32_e32 v33, vcc_lo, 0, v33, vcc_lo
	s_mov_b32 s15, exec_lo
	s_waitcnt lgkmcnt(0)
	s_delay_alu instid0(VALU_DEP_1)
	v_cmpx_lt_u64_e64 v[8:9], v[32:33]
	s_cbranch_execz .LBB2_1517
; %bb.1507:                             ;   in Loop: Header=BB2_817 Depth=2
	s_mov_b32 s16, 0
	s_mov_b32 s31, 0
                                        ; implicit-def: $sgpr24
                                        ; implicit-def: $sgpr30
	s_branch .LBB2_1509
.LBB2_1508:                             ;   in Loop: Header=BB2_1509 Depth=3
	s_or_b32 exec_lo, exec_lo, s35
	s_delay_alu instid0(SALU_CYCLE_1) | instskip(NEXT) | instid1(SALU_CYCLE_1)
	s_and_b32 vcc_lo, exec_lo, vcc_lo
	s_or_b32 s16, vcc_lo, s16
	s_and_not1_b32 s24, s24, exec_lo
	s_and_b32 vcc_lo, s30, exec_lo
	s_delay_alu instid0(SALU_CYCLE_1)
	s_or_b32 s24, s24, vcc_lo
	s_and_not1_b32 exec_lo, exec_lo, s16
	s_cbranch_execz .LBB2_1515
.LBB2_1509:                             ;   Parent Loop BB2_51 Depth=1
                                        ;     Parent Loop BB2_817 Depth=2
                                        ; =>    This Inner Loop Header: Depth=3
	s_add_i32 s31, s31, 1
                                        ; implicit-def: $sgpr35
	s_delay_alu instid0(SALU_CYCLE_1) | instskip(SKIP_1) | instid1(SALU_CYCLE_1)
	s_cmpk_lg_i32 s31, 0x2710
	s_cselect_b32 s34, -1, 0
	s_and_b32 vcc_lo, exec_lo, s34
	s_cbranch_vccz .LBB2_1513
.LBB2_1510:                             ;   in Loop: Header=BB2_1509 Depth=3
	s_and_not1_b32 s30, s30, exec_lo
	s_and_b32 s35, s35, exec_lo
	s_mov_b32 vcc_lo, -1
	s_or_b32 s30, s30, s35
	s_and_saveexec_b32 s35, s34
	s_cbranch_execz .LBB2_1508
; %bb.1511:                             ;   in Loop: Header=BB2_1509 Depth=3
	s_sleep 1
	s_cbranch_execnz .LBB2_2566
; %bb.1512:                             ;   in Loop: Header=BB2_1509 Depth=3
	ds_load_b64 v[8:9], v0
	s_and_not1_b32 s30, s30, exec_lo
	s_waitcnt lgkmcnt(0)
	v_cmp_ge_u64_e32 vcc_lo, v[8:9], v[32:33]
	s_or_not1_b32 vcc_lo, vcc_lo, exec_lo
	s_branch .LBB2_1508
.LBB2_1513:                             ;   in Loop: Header=BB2_1509 Depth=3
	s_cbranch_execnz .LBB2_2582
; %bb.1514:                             ;   in Loop: Header=BB2_1509 Depth=3
	ds_load_b64 v[8:9], v0
	s_and_not1_b32 s34, s34, exec_lo
	s_mov_b32 s31, 0
	s_mov_b32 s35, -1
	s_waitcnt lgkmcnt(0)
	s_waitcnt_vscnt null, 0x0
	flat_load_b32 v2, v[8:9] glc
	s_waitcnt vmcnt(0) lgkmcnt(0)
	buffer_gl1_inv
	buffer_gl0_inv
	v_cmp_eq_u32_e32 vcc_lo, 0, v2
	s_and_b32 vcc_lo, vcc_lo, exec_lo
	s_delay_alu instid0(SALU_CYCLE_1)
	s_or_b32 s34, s34, vcc_lo
	s_branch .LBB2_1510
.LBB2_1515:                             ;   in Loop: Header=BB2_817 Depth=2
	s_or_b32 exec_lo, exec_lo, s16
	s_and_saveexec_b32 s16, s24
	s_delay_alu instid0(SALU_CYCLE_1)
	s_xor_b32 s16, exec_lo, s16
	s_cbranch_execz .LBB2_1517
; %bb.1516:                             ;   in Loop: Header=BB2_817 Depth=2
	ds_store_b32 v0, v133
	s_cbranch_execnz .LBB2_2684
.LBB2_1517:                             ;   in Loop: Header=BB2_817 Depth=2
	s_or_b32 exec_lo, exec_lo, s15
	;;#ASMSTART
	s_wakeup
	;;#ASMEND
.LBB2_1518:                             ;   in Loop: Header=BB2_817 Depth=2
	s_or_b32 exec_lo, exec_lo, s14
.LBB2_1519:                             ;   in Loop: Header=BB2_817 Depth=2
	s_and_not1_saveexec_b32 s11, s11
	s_cbranch_execz .LBB2_1521
; %bb.1520:                             ;   in Loop: Header=BB2_817 Depth=2
	;;#ASMSTART
	s_waitcnt lgkmcnt(0) vmcnt(0)
	;;#ASMEND
	s_waitcnt lgkmcnt(0)
	s_waitcnt_vscnt null, 0x0
	s_barrier
.LBB2_1521:                             ;   in Loop: Header=BB2_817 Depth=2
	s_or_b32 exec_lo, exec_lo, s11
	v_and_b32_e32 v2, 16, v30
.LBB2_1522:                             ;   in Loop: Header=BB2_817 Depth=2
	s_or_b32 exec_lo, exec_lo, s13
	s_delay_alu instid0(VALU_DEP_1) | instskip(SKIP_1) | instid1(SALU_CYCLE_1)
	v_cmp_ne_u32_e32 vcc_lo, 0, v2
	s_xor_b32 s11, s10, -1
	s_and_b32 s13, vcc_lo, s11
	s_delay_alu instid0(SALU_CYCLE_1)
	s_and_saveexec_b32 s11, s13
	s_cbranch_execz .LBB2_1524
; %bb.1523:                             ;   in Loop: Header=BB2_817 Depth=2
	s_waitcnt lgkmcnt(0)
	s_waitcnt_vscnt null, 0x0
	flat_store_b32 v[28:29], v133
.LBB2_1524:                             ;   in Loop: Header=BB2_817 Depth=2
	s_or_b32 exec_lo, exec_lo, s11
	v_and_b32_e32 v2, 48, v30
	s_mov_b32 s11, exec_lo
	s_delay_alu instid0(VALU_DEP_1)
	v_cmpx_ne_u32_e32 0, v2
	s_cbranch_execz .LBB2_1526
; %bb.1525:                             ;   in Loop: Header=BB2_817 Depth=2
	v_add_co_u32 v24, vcc_lo, v24, 2
	v_add_co_ci_u32_e32 v25, vcc_lo, 0, v25, vcc_lo
	s_waitcnt lgkmcnt(0)
	s_waitcnt_vscnt null, 0x0
	flat_store_b64 v[22:23], v[24:25]
.LBB2_1526:                             ;   in Loop: Header=BB2_817 Depth=2
	s_or_b32 exec_lo, exec_lo, s11
	v_add_nc_u32_e32 v66, v64, v66
	v_readlane_b32 s11, v42, 2
	v_readlane_b32 s30, v42, 4
	;; [unrolled: 1-line block ×4, first 2 shown]
	v_cmp_ge_i32_e32 vcc_lo, v66, v134
	s_xor_b32 s11, s11, -1
	v_readlane_b32 s34, v42, 7
	v_readlane_b32 s16, v42, 9
	;; [unrolled: 1-line block ×3, first 2 shown]
	s_or_b32 s11, s11, vcc_lo
	s_mov_b32 s36, 0
	s_and_b32 s13, exec_lo, s11
	v_readlane_b32 s11, v42, 3
	s_or_b32 s30, s13, s30
	s_mov_b32 s37, 2
	s_delay_alu instid0(VALU_DEP_1)
	v_mov_b32_e32 v2, s11
	s_mov_b32 s11, s6
	s_and_not1_b32 exec_lo, exec_lo, s30
	s_cbranch_execnz .LBB2_817
; %bb.1527:                             ;   in Loop: Header=BB2_51 Depth=1
	s_or_b32 exec_lo, exec_lo, s30
.LBB2_1528:                             ;   in Loop: Header=BB2_51 Depth=1
	s_delay_alu instid0(SALU_CYCLE_1) | instskip(NEXT) | instid1(SALU_CYCLE_1)
	s_or_b32 exec_lo, exec_lo, s17
	s_mov_b32 s15, exec_lo
	v_cmpx_gt_i32_e32 2, v2
	s_cbranch_execz .LBB2_1612
; %bb.1529:                             ;   in Loop: Header=BB2_51 Depth=1
	v_cmp_eq_u32_e64 s13, 0, v2
	s_mov_b32 s6, s29
	s_mov_b32 s17, 0
.LBB2_1530:                             ;   Parent Loop BB2_51 Depth=1
                                        ; =>  This Loop Header: Depth=2
                                        ;       Child Loop BB2_1536 Depth 3
                                        ;       Child Loop BB2_1566 Depth 3
	;; [unrolled: 1-line block ×3, first 2 shown]
	v_and_b32_e32 v2, 12, v30
	s_mov_b32 s29, -1
	s_mov_b32 s24, exec_lo
	s_delay_alu instid0(VALU_DEP_1)
	v_cmpx_ne_u32_e32 0, v2
	s_cbranch_execz .LBB2_1544
; %bb.1531:                             ;   in Loop: Header=BB2_1530 Depth=2
	v_and_b32_e32 v2, 8, v30
	s_delay_alu instid0(VALU_DEP_1) | instskip(SKIP_3) | instid1(VALU_DEP_1)
	v_add_co_u32 v10, vcc_lo, v34, v2
	v_add_co_ci_u32_e32 v11, vcc_lo, 0, v35, vcc_lo
	v_add_co_u32 v8, vcc_lo, v24, 2
	v_add_co_ci_u32_e32 v9, vcc_lo, 0, v25, vcc_lo
	v_cmp_lt_u64_e32 vcc_lo, v[10:11], v[8:9]
	v_mov_b32_e32 v10, 1
	s_and_saveexec_b32 s29, vcc_lo
	s_cbranch_execz .LBB2_1543
; %bb.1532:                             ;   in Loop: Header=BB2_1530 Depth=2
	v_mov_b32_e32 v10, 0
	s_mov_b32 s30, 0
                                        ; implicit-def: $sgpr36
	s_branch .LBB2_1536
.LBB2_1533:                             ;   in Loop: Header=BB2_1536 Depth=3
	s_or_b32 exec_lo, exec_lo, s40
	v_mov_b32_e32 v11, 0
	s_or_not1_b32 s39, s39, exec_lo
.LBB2_1534:                             ;   in Loop: Header=BB2_1536 Depth=3
	s_or_b32 exec_lo, exec_lo, s38
	s_delay_alu instid0(VALU_DEP_1) | instskip(SKIP_2) | instid1(SALU_CYCLE_1)
	v_mov_b32_e32 v10, v11
	s_and_not1_b32 vcc_lo, s36, exec_lo
	s_and_b32 s36, s39, exec_lo
	s_or_b32 s36, vcc_lo, s36
.LBB2_1535:                             ;   in Loop: Header=BB2_1536 Depth=3
	s_or_b32 exec_lo, exec_lo, s37
	s_waitcnt vmcnt(0) lgkmcnt(0)
	v_add_co_u32 v11, vcc_lo, v34, v2
	v_add_co_ci_u32_e32 v12, vcc_lo, 0, v35, vcc_lo
	s_xor_b32 s37, s36, -1
	s_delay_alu instid0(VALU_DEP_1) | instskip(SKIP_1) | instid1(SALU_CYCLE_1)
	v_cmp_ge_u64_e32 vcc_lo, v[11:12], v[8:9]
	s_or_b32 vcc_lo, s37, vcc_lo
	s_and_b32 vcc_lo, exec_lo, vcc_lo
	s_delay_alu instid0(SALU_CYCLE_1) | instskip(NEXT) | instid1(SALU_CYCLE_1)
	s_or_b32 s30, vcc_lo, s30
	s_and_not1_b32 exec_lo, exec_lo, s30
	s_cbranch_execz .LBB2_1542
.LBB2_1536:                             ;   Parent Loop BB2_51 Depth=1
                                        ;     Parent Loop BB2_1530 Depth=2
                                        ; =>    This Inner Loop Header: Depth=3
	s_sleep 1
	flat_load_b64 v[34:35], v[22:23] glc
	v_and_b32_e32 v11, 64, v30
	s_and_not1_b32 s36, s36, exec_lo
	s_mov_b32 s37, exec_lo
	s_delay_alu instid0(VALU_DEP_1)
	v_cmpx_eq_u32_e32 0, v11
	s_cbranch_execz .LBB2_1535
; %bb.1537:                             ;   in Loop: Header=BB2_1536 Depth=3
	v_add_nc_u32_e32 v11, 1, v10
	s_mov_b32 s39, -1
	s_mov_b32 s38, exec_lo
	v_cmpx_lt_i32_e32 0x270e, v10
	s_cbranch_execz .LBB2_1534
; %bb.1538:                             ;   in Loop: Header=BB2_1536 Depth=3
	s_cbranch_execnz .LBB2_2278
; %bb.1539:                             ;   in Loop: Header=BB2_1536 Depth=3
	ds_load_b64 v[10:11], v0
	s_mov_b32 s40, exec_lo
	s_waitcnt vmcnt(0) lgkmcnt(0)
	s_waitcnt_vscnt null, 0x0
	flat_load_b32 v10, v[10:11] glc
	s_waitcnt vmcnt(0) lgkmcnt(0)
	buffer_gl1_inv
	buffer_gl0_inv
	v_cmpx_ne_u32_e32 0, v10
	s_cbranch_execz .LBB2_1533
; %bb.1540:                             ;   in Loop: Header=BB2_1536 Depth=3
	ds_store_b32 v0, v10
	s_cbranch_execnz .LBB2_2332
; %bb.1541:                             ;   in Loop: Header=BB2_1536 Depth=3
	v_or_b32_e32 v30, 64, v30
	s_xor_b32 s39, exec_lo, -1
	s_branch .LBB2_1533
.LBB2_1542:                             ;   in Loop: Header=BB2_1530 Depth=2
	s_or_b32 exec_lo, exec_lo, s30
	v_and_b32_e32 v10, 12, v30
.LBB2_1543:                             ;   in Loop: Header=BB2_1530 Depth=2
	s_or_b32 exec_lo, exec_lo, s29
	s_delay_alu instid0(VALU_DEP_1)
	v_cmp_eq_u32_e32 vcc_lo, 0, v10
	;;#ASMSTART
	s_wakeup
	;;#ASMEND
	s_or_not1_b32 s29, vcc_lo, exec_lo
.LBB2_1544:                             ;   in Loop: Header=BB2_1530 Depth=2
	s_or_b32 exec_lo, exec_lo, s24
	v_sub_nc_u32_e32 v2, v134, v66
	s_xor_b32 s13, s13, -1
	s_delay_alu instid0(SALU_CYCLE_1) | instskip(NEXT) | instid1(SALU_CYCLE_1)
	s_and_b32 s13, exec_lo, s13
	s_or_b32 s17, s13, s17
	s_delay_alu instid0(VALU_DEP_1) | instskip(SKIP_1) | instid1(SALU_CYCLE_1)
	v_min_i32_e32 v64, v64, v2
	s_xor_b32 s13, s29, -1
	s_and_saveexec_b32 s24, s13
	s_cbranch_execz .LBB2_1557
; %bb.1545:                             ;   in Loop: Header=BB2_1530 Depth=2
	v_and_b32_e32 v2, 0x108, v30
	s_delay_alu instid0(VALU_DEP_1) | instskip(SKIP_2) | instid1(SALU_CYCLE_1)
	v_cmp_ne_u32_e32 vcc_lo, 0x108, v2
	v_and_b32_e32 v2, 7, v24
	s_and_saveexec_b32 s13, vcc_lo
	s_xor_b32 s13, exec_lo, s13
	s_delay_alu instid0(SALU_CYCLE_1)
	s_and_not1_saveexec_b32 s13, s13
	s_cbranch_execz .LBB2_1547
; %bb.1546:                             ;   in Loop: Header=BB2_1530 Depth=2
	v_ashrrev_i32_e32 v65, 31, v64
	v_mad_u64_u32 v[8:9], null, v2, 24, v[6:7]
	s_delay_alu instid0(VALU_DEP_2)
	v_lshlrev_b64 v[10:11], 1, v[64:65]
	flat_store_b64 v[8:9], v[10:11] offset:8
.LBB2_1547:                             ;   in Loop: Header=BB2_1530 Depth=2
	s_or_b32 exec_lo, exec_lo, s13
	v_and_b32_e32 v8, 0x100, v30
	s_mov_b32 s13, -1
	s_delay_alu instid0(VALU_DEP_1)
	v_cmp_ne_u32_e32 vcc_lo, 0, v8
                                        ; implicit-def: $vgpr8_vgpr9
	s_and_saveexec_b32 s29, vcc_lo
	s_cbranch_execnz .LBB2_1550
; %bb.1548:                             ;   in Loop: Header=BB2_1530 Depth=2
	s_or_b32 exec_lo, exec_lo, s29
	s_and_saveexec_b32 s29, s13
	s_cbranch_execnz .LBB2_1553
.LBB2_1549:                             ;   in Loop: Header=BB2_1530 Depth=2
	s_or_b32 exec_lo, exec_lo, s29
	s_cbranch_execnz .LBB2_2274
	s_branch .LBB2_1554
.LBB2_1550:                             ;   in Loop: Header=BB2_1530 Depth=2
	v_mad_u64_u32 v[10:11], null, v2, 24, v[6:7]
	s_delay_alu instid0(VALU_DEP_1) | instskip(NEXT) | instid1(VALU_DEP_1)
	v_mov_b32_e32 v8, v11
	v_mad_u64_u32 v[11:12], null, v3, 24, v[8:9]
	flat_load_b32 v8, v[10:11]
	s_waitcnt vmcnt(0) lgkmcnt(0)
	v_cmp_ne_u32_e32 vcc_lo, 1, v8
	v_cmp_eq_u32_e64 s13, 1, v8
                                        ; implicit-def: $vgpr8_vgpr9
	s_delay_alu instid0(VALU_DEP_1)
	s_and_saveexec_b32 s30, s13
	s_cbranch_execz .LBB2_1552
; %bb.1551:                             ;   in Loop: Header=BB2_1530 Depth=2
	flat_load_b32 v8, v[10:11] offset:4 glc
	s_waitcnt vmcnt(0) lgkmcnt(0)
	v_ashrrev_i32_e32 v9, 31, v8
	s_delay_alu instid0(VALU_DEP_1)
	v_lshrrev_b64 v[8:9], 1, v[8:9]
.LBB2_1552:                             ;   in Loop: Header=BB2_1530 Depth=2
	s_or_b32 exec_lo, exec_lo, s30
	s_delay_alu instid0(SALU_CYCLE_1)
	s_or_not1_b32 s13, vcc_lo, exec_lo
	s_or_b32 exec_lo, exec_lo, s29
	s_and_saveexec_b32 s29, s13
	s_cbranch_execz .LBB2_1549
.LBB2_1553:                             ;   in Loop: Header=BB2_1530 Depth=2
	v_mul_lo_u32 v10, v3, v87
	v_mul_lo_u32 v11, v2, v96
	v_mad_u64_u32 v[8:9], null, v2, v87, 0
	s_delay_alu instid0(VALU_DEP_1)
	v_add3_u32 v9, v9, v11, v10
	s_or_b32 exec_lo, exec_lo, s29
	s_cbranch_execnz .LBB2_2274
.LBB2_1554:                             ;   in Loop: Header=BB2_1530 Depth=2
	s_delay_alu instid0(VALU_DEP_1) | instskip(SKIP_2) | instid1(VALU_DEP_2)
	v_lshlrev_b64 v[8:9], 1, v[8:9]
	v_and_b32_e32 v2, 0x2000, v30
	s_mov_b32 s13, exec_lo
	v_add_co_u32 v8, vcc_lo, v26, v8
	s_delay_alu instid0(VALU_DEP_3)
	v_add_co_ci_u32_e32 v9, vcc_lo, v27, v9, vcc_lo
	ds_store_b64 v0, v[8:9]
	v_cmpx_ne_u32_e32 0, v2
	s_cbranch_execz .LBB2_1556
; %bb.1555:                             ;   in Loop: Header=BB2_1530 Depth=2
	ds_load_b64 v[8:9], v0 offset:584
	s_waitcnt lgkmcnt(0)
	v_add_co_u32 v8, vcc_lo, v8, 1
	v_add_co_ci_u32_e32 v9, vcc_lo, 0, v9, vcc_lo
	ds_store_b64 v0, v[8:9] offset:584
.LBB2_1556:                             ;   in Loop: Header=BB2_1530 Depth=2
	s_or_b32 exec_lo, exec_lo, s13
	v_add_co_u32 v24, vcc_lo, v24, 2
	v_add_co_ci_u32_e32 v25, vcc_lo, 0, v25, vcc_lo
.LBB2_1557:                             ;   in Loop: Header=BB2_1530 Depth=2
	s_or_b32 exec_lo, exec_lo, s24
	s_and_saveexec_b32 s13, s3
	s_cbranch_execz .LBB2_1579
; %bb.1558:                             ;   in Loop: Header=BB2_1530 Depth=2
	s_and_saveexec_b32 s24, s4
	s_delay_alu instid0(SALU_CYCLE_1)
	s_xor_b32 s24, exec_lo, s24
	s_cbranch_execz .LBB2_1576
; %bb.1559:                             ;   in Loop: Header=BB2_1530 Depth=2
	s_and_saveexec_b32 s29, s1
	s_cbranch_execz .LBB2_1575
; %bb.1560:                             ;   in Loop: Header=BB2_1530 Depth=2
	s_mov_b32 s36, exec_lo
	s_mov_b32 s30, exec_lo
	v_mbcnt_lo_u32_b32 v2, s36, 0
	s_waitcnt lgkmcnt(0)
	s_waitcnt_vscnt null, 0x0
	buffer_gl1_inv
	buffer_gl0_inv
	v_cmpx_eq_u32_e32 0, v2
	s_cbranch_execz .LBB2_1562
; %bb.1561:                             ;   in Loop: Header=BB2_1530 Depth=2
	s_bcnt1_i32_b32 vcc_lo, s36
	s_delay_alu instid0(SALU_CYCLE_1)
	v_mov_b32_e32 v2, vcc_lo
	ds_add_u64 v0, v[2:3]
	s_cbranch_execnz .LBB2_2390
.LBB2_1562:                             ;   in Loop: Header=BB2_1530 Depth=2
	s_or_b32 exec_lo, exec_lo, s30
	s_cbranch_execnz .LBB2_2364
; %bb.1563:                             ;   in Loop: Header=BB2_1530 Depth=2
	ds_load_b64 v[8:9], v0
	v_add_co_u32 v32, vcc_lo, v32, v99
	v_add_co_ci_u32_e32 v33, vcc_lo, 0, v33, vcc_lo
	s_mov_b32 s30, exec_lo
	s_waitcnt lgkmcnt(0)
	s_delay_alu instid0(VALU_DEP_1)
	v_cmpx_lt_u64_e64 v[8:9], v[32:33]
	s_cbranch_execz .LBB2_1574
; %bb.1564:                             ;   in Loop: Header=BB2_1530 Depth=2
	s_mov_b32 s36, 0
	s_mov_b32 s39, 0
                                        ; implicit-def: $sgpr37
                                        ; implicit-def: $sgpr38
	s_branch .LBB2_1566
.LBB2_1565:                             ;   in Loop: Header=BB2_1566 Depth=3
	s_or_b32 exec_lo, exec_lo, s41
	s_delay_alu instid0(SALU_CYCLE_1) | instskip(NEXT) | instid1(SALU_CYCLE_1)
	s_and_b32 vcc_lo, exec_lo, vcc_lo
	s_or_b32 s36, vcc_lo, s36
	s_and_not1_b32 vcc_lo, s37, exec_lo
	s_and_b32 s37, s38, exec_lo
	s_delay_alu instid0(SALU_CYCLE_1)
	s_or_b32 s37, vcc_lo, s37
	s_and_not1_b32 exec_lo, exec_lo, s36
	s_cbranch_execz .LBB2_1572
.LBB2_1566:                             ;   Parent Loop BB2_51 Depth=1
                                        ;     Parent Loop BB2_1530 Depth=2
                                        ; =>    This Inner Loop Header: Depth=3
	s_add_i32 s39, s39, 1
                                        ; implicit-def: $sgpr41
	s_delay_alu instid0(SALU_CYCLE_1) | instskip(SKIP_1) | instid1(SALU_CYCLE_1)
	s_cmpk_lg_i32 s39, 0x2710
	s_cselect_b32 s40, -1, 0
	s_and_b32 vcc_lo, exec_lo, s40
	s_cbranch_vccz .LBB2_1570
.LBB2_1567:                             ;   in Loop: Header=BB2_1566 Depth=3
	s_and_not1_b32 s38, s38, exec_lo
	s_and_b32 s41, s41, exec_lo
	s_mov_b32 vcc_lo, -1
	s_or_b32 s38, s38, s41
	s_and_saveexec_b32 s41, s40
	s_cbranch_execz .LBB2_1565
; %bb.1568:                             ;   in Loop: Header=BB2_1566 Depth=3
	s_sleep 1
	s_cbranch_execnz .LBB2_2434
; %bb.1569:                             ;   in Loop: Header=BB2_1566 Depth=3
	ds_load_b64 v[8:9], v0
	s_and_not1_b32 s38, s38, exec_lo
	s_waitcnt lgkmcnt(0)
	v_cmp_ge_u64_e32 vcc_lo, v[8:9], v[32:33]
	s_or_not1_b32 vcc_lo, vcc_lo, exec_lo
	s_branch .LBB2_1565
.LBB2_1570:                             ;   in Loop: Header=BB2_1566 Depth=3
	s_cbranch_execnz .LBB2_2446
; %bb.1571:                             ;   in Loop: Header=BB2_1566 Depth=3
	ds_load_b64 v[8:9], v0
	s_and_not1_b32 s40, s40, exec_lo
	s_mov_b32 s39, 0
	s_mov_b32 s41, -1
	s_waitcnt lgkmcnt(0)
	flat_load_b32 v2, v[8:9] glc
	s_waitcnt vmcnt(0) lgkmcnt(0)
	buffer_gl1_inv
	buffer_gl0_inv
	v_cmp_eq_u32_e32 vcc_lo, 0, v2
	s_and_b32 vcc_lo, vcc_lo, exec_lo
	s_delay_alu instid0(SALU_CYCLE_1)
	s_or_b32 s40, s40, vcc_lo
	s_branch .LBB2_1567
.LBB2_1572:                             ;   in Loop: Header=BB2_1530 Depth=2
	s_or_b32 exec_lo, exec_lo, s36
	s_and_saveexec_b32 vcc_lo, s37
	s_delay_alu instid0(SALU_CYCLE_1)
	s_xor_b32 vcc_lo, exec_lo, vcc_lo
	s_cbranch_execz .LBB2_1574
; %bb.1573:                             ;   in Loop: Header=BB2_1530 Depth=2
	ds_store_b32 v0, v133
	s_cbranch_execnz .LBB2_2644
.LBB2_1574:                             ;   in Loop: Header=BB2_1530 Depth=2
	s_or_b32 exec_lo, exec_lo, s30
	;;#ASMSTART
	s_wakeup
	;;#ASMEND
.LBB2_1575:                             ;   in Loop: Header=BB2_1530 Depth=2
	s_or_b32 exec_lo, exec_lo, s29
.LBB2_1576:                             ;   in Loop: Header=BB2_1530 Depth=2
	s_and_not1_saveexec_b32 s24, s24
	s_cbranch_execz .LBB2_1578
; %bb.1577:                             ;   in Loop: Header=BB2_1530 Depth=2
	s_waitcnt lgkmcnt(0)
	s_waitcnt_vscnt null, 0x0
	buffer_gl1_inv
	buffer_gl0_inv
	s_barrier
.LBB2_1578:                             ;   in Loop: Header=BB2_1530 Depth=2
	s_or_b32 exec_lo, exec_lo, s24
.LBB2_1579:                             ;   in Loop: Header=BB2_1530 Depth=2
	s_delay_alu instid0(SALU_CYCLE_1) | instskip(SKIP_1) | instid1(SALU_CYCLE_1)
	s_or_b32 exec_lo, exec_lo, s13
                                        ; implicit-def: $vgpr2
	s_and_saveexec_b32 s13, s7
	s_xor_b32 s24, exec_lo, s13
	s_cbranch_execz .LBB2_1584
; %bb.1580:                             ;   in Loop: Header=BB2_1530 Depth=2
	s_cbranch_execnz .LBB2_2288
; %bb.1581:                             ;   in Loop: Header=BB2_1530 Depth=2
	ds_load_b32 v2, v0
	v_cmp_lt_i32_e32 vcc_lo, 0, v64
	s_waitcnt lgkmcnt(0)
	v_readfirstlane_b32 s13, v2
	v_and_b32_e32 v2, 16, v30
	s_delay_alu instid0(VALU_DEP_2) | instskip(NEXT) | instid1(VALU_DEP_1)
	s_cmp_eq_u32 s13, 0
	v_cmp_ne_u32_e64 s13, 0, v2
	s_cselect_b32 s29, -1, 0
	v_and_b32_e32 v2, 16, v30
	s_and_b32 s29, vcc_lo, s29
	s_delay_alu instid0(VALU_DEP_2) | instid1(SALU_CYCLE_1)
	s_and_b32 s29, s13, s29
	s_delay_alu instid0(SALU_CYCLE_1)
	s_and_saveexec_b32 s13, s29
	s_cbranch_execz .LBB2_1583
; %bb.1582:                             ;   in Loop: Header=BB2_1530 Depth=2
	v_mov_b32_e32 v2, 1
	s_waitcnt_vscnt null, 0x0
	buffer_gl1_inv
	buffer_gl0_inv
.LBB2_1583:                             ;   in Loop: Header=BB2_1530 Depth=2
	s_or_b32 exec_lo, exec_lo, s13
.LBB2_1584:                             ;   in Loop: Header=BB2_1530 Depth=2
	s_and_not1_saveexec_b32 s13, s24
	s_cbranch_execz .LBB2_1606
; %bb.1585:                             ;   in Loop: Header=BB2_1530 Depth=2
	s_and_saveexec_b32 s24, s4
	s_delay_alu instid0(SALU_CYCLE_1)
	s_xor_b32 s24, exec_lo, s24
	s_cbranch_execz .LBB2_1603
; %bb.1586:                             ;   in Loop: Header=BB2_1530 Depth=2
	s_and_saveexec_b32 s29, s1
	s_cbranch_execz .LBB2_1602
; %bb.1587:                             ;   in Loop: Header=BB2_1530 Depth=2
	s_mov_b32 s36, exec_lo
	s_mov_b32 s30, exec_lo
	v_mbcnt_lo_u32_b32 v2, s36, 0
	;;#ASMSTART
	s_waitcnt lgkmcnt(0) vmcnt(0)
	;;#ASMEND
	s_delay_alu instid0(VALU_DEP_1)
	v_cmpx_eq_u32_e32 0, v2
	s_cbranch_execz .LBB2_1589
; %bb.1588:                             ;   in Loop: Header=BB2_1530 Depth=2
	s_bcnt1_i32_b32 vcc_lo, s36
	s_delay_alu instid0(SALU_CYCLE_1)
	v_mov_b32_e32 v2, vcc_lo
	ds_add_u64 v0, v[2:3]
	s_cbranch_execnz .LBB2_2400
.LBB2_1589:                             ;   in Loop: Header=BB2_1530 Depth=2
	s_or_b32 exec_lo, exec_lo, s30
	s_cbranch_execnz .LBB2_2388
; %bb.1590:                             ;   in Loop: Header=BB2_1530 Depth=2
	ds_load_b64 v[8:9], v0
	v_add_co_u32 v32, vcc_lo, v32, v99
	v_add_co_ci_u32_e32 v33, vcc_lo, 0, v33, vcc_lo
	s_mov_b32 s30, exec_lo
	s_waitcnt lgkmcnt(0)
	s_delay_alu instid0(VALU_DEP_1)
	v_cmpx_lt_u64_e64 v[8:9], v[32:33]
	s_cbranch_execz .LBB2_1601
; %bb.1591:                             ;   in Loop: Header=BB2_1530 Depth=2
	s_mov_b32 s36, 0
	s_mov_b32 s39, 0
                                        ; implicit-def: $sgpr37
                                        ; implicit-def: $sgpr38
	s_branch .LBB2_1593
.LBB2_1592:                             ;   in Loop: Header=BB2_1593 Depth=3
	s_or_b32 exec_lo, exec_lo, s41
	s_delay_alu instid0(SALU_CYCLE_1) | instskip(NEXT) | instid1(SALU_CYCLE_1)
	s_and_b32 vcc_lo, exec_lo, vcc_lo
	s_or_b32 s36, vcc_lo, s36
	s_and_not1_b32 vcc_lo, s37, exec_lo
	s_and_b32 s37, s38, exec_lo
	s_delay_alu instid0(SALU_CYCLE_1)
	s_or_b32 s37, vcc_lo, s37
	s_and_not1_b32 exec_lo, exec_lo, s36
	s_cbranch_execz .LBB2_1599
.LBB2_1593:                             ;   Parent Loop BB2_51 Depth=1
                                        ;     Parent Loop BB2_1530 Depth=2
                                        ; =>    This Inner Loop Header: Depth=3
	s_add_i32 s39, s39, 1
                                        ; implicit-def: $sgpr41
	s_delay_alu instid0(SALU_CYCLE_1) | instskip(SKIP_1) | instid1(SALU_CYCLE_1)
	s_cmpk_lg_i32 s39, 0x2710
	s_cselect_b32 s40, -1, 0
	s_and_b32 vcc_lo, exec_lo, s40
	s_cbranch_vccz .LBB2_1597
.LBB2_1594:                             ;   in Loop: Header=BB2_1593 Depth=3
	s_and_not1_b32 s38, s38, exec_lo
	s_and_b32 s41, s41, exec_lo
	s_mov_b32 vcc_lo, -1
	s_or_b32 s38, s38, s41
	s_and_saveexec_b32 s41, s40
	s_cbranch_execz .LBB2_1592
; %bb.1595:                             ;   in Loop: Header=BB2_1593 Depth=3
	s_sleep 1
	s_cbranch_execnz .LBB2_2456
; %bb.1596:                             ;   in Loop: Header=BB2_1593 Depth=3
	ds_load_b64 v[8:9], v0
	s_and_not1_b32 s38, s38, exec_lo
	s_waitcnt lgkmcnt(0)
	v_cmp_ge_u64_e32 vcc_lo, v[8:9], v[32:33]
	s_or_not1_b32 vcc_lo, vcc_lo, exec_lo
	s_branch .LBB2_1592
.LBB2_1597:                             ;   in Loop: Header=BB2_1593 Depth=3
	s_cbranch_execnz .LBB2_2468
; %bb.1598:                             ;   in Loop: Header=BB2_1593 Depth=3
	ds_load_b64 v[8:9], v0
	s_and_not1_b32 s40, s40, exec_lo
	s_mov_b32 s39, 0
	s_mov_b32 s41, -1
	s_waitcnt lgkmcnt(0)
	s_waitcnt_vscnt null, 0x0
	flat_load_b32 v2, v[8:9] glc
	s_waitcnt vmcnt(0) lgkmcnt(0)
	buffer_gl1_inv
	buffer_gl0_inv
	v_cmp_eq_u32_e32 vcc_lo, 0, v2
	s_and_b32 vcc_lo, vcc_lo, exec_lo
	s_delay_alu instid0(SALU_CYCLE_1)
	s_or_b32 s40, s40, vcc_lo
	s_branch .LBB2_1594
.LBB2_1599:                             ;   in Loop: Header=BB2_1530 Depth=2
	s_or_b32 exec_lo, exec_lo, s36
	s_and_saveexec_b32 vcc_lo, s37
	s_delay_alu instid0(SALU_CYCLE_1)
	s_xor_b32 vcc_lo, exec_lo, vcc_lo
	s_cbranch_execz .LBB2_1601
; %bb.1600:                             ;   in Loop: Header=BB2_1530 Depth=2
	ds_store_b32 v0, v133
	s_cbranch_execnz .LBB2_2656
.LBB2_1601:                             ;   in Loop: Header=BB2_1530 Depth=2
	s_or_b32 exec_lo, exec_lo, s30
	;;#ASMSTART
	s_wakeup
	;;#ASMEND
.LBB2_1602:                             ;   in Loop: Header=BB2_1530 Depth=2
	s_or_b32 exec_lo, exec_lo, s29
.LBB2_1603:                             ;   in Loop: Header=BB2_1530 Depth=2
	s_and_not1_saveexec_b32 s24, s24
	s_cbranch_execz .LBB2_1605
; %bb.1604:                             ;   in Loop: Header=BB2_1530 Depth=2
	;;#ASMSTART
	s_waitcnt lgkmcnt(0) vmcnt(0)
	;;#ASMEND
	s_waitcnt lgkmcnt(0)
	s_waitcnt_vscnt null, 0x0
	s_barrier
.LBB2_1605:                             ;   in Loop: Header=BB2_1530 Depth=2
	s_or_b32 exec_lo, exec_lo, s24
	v_and_b32_e32 v2, 16, v30
.LBB2_1606:                             ;   in Loop: Header=BB2_1530 Depth=2
	s_or_b32 exec_lo, exec_lo, s13
	s_delay_alu instid0(VALU_DEP_1) | instskip(SKIP_1) | instid1(SALU_CYCLE_1)
	v_cmp_ne_u32_e32 vcc_lo, 0, v2
	s_xor_b32 s13, s10, -1
	s_and_b32 s24, vcc_lo, s13
	s_delay_alu instid0(SALU_CYCLE_1)
	s_and_saveexec_b32 s13, s24
	s_cbranch_execz .LBB2_1608
; %bb.1607:                             ;   in Loop: Header=BB2_1530 Depth=2
	s_waitcnt lgkmcnt(0)
	s_waitcnt_vscnt null, 0x0
	flat_store_b32 v[28:29], v133
.LBB2_1608:                             ;   in Loop: Header=BB2_1530 Depth=2
	s_or_b32 exec_lo, exec_lo, s13
	v_and_b32_e32 v2, 48, v30
	s_mov_b32 s13, exec_lo
	s_delay_alu instid0(VALU_DEP_1)
	v_cmpx_ne_u32_e32 0, v2
	s_cbranch_execz .LBB2_1610
; %bb.1609:                             ;   in Loop: Header=BB2_1530 Depth=2
	v_add_co_u32 v24, vcc_lo, v24, 2
	v_add_co_ci_u32_e32 v25, vcc_lo, 0, v25, vcc_lo
	s_waitcnt lgkmcnt(0)
	s_waitcnt_vscnt null, 0x0
	flat_store_b64 v[22:23], v[24:25]
.LBB2_1610:                             ;   in Loop: Header=BB2_1530 Depth=2
	s_or_b32 exec_lo, exec_lo, s13
	v_add_nc_u32_e32 v66, v64, v66
	s_mov_b32 s13, 0
	s_and_not1_b32 exec_lo, exec_lo, s17
	s_cbranch_execnz .LBB2_1530
; %bb.1611:                             ;   in Loop: Header=BB2_51 Depth=1
	s_or_b32 exec_lo, exec_lo, s17
	s_mov_b32 s29, s6
.LBB2_1612:                             ;   in Loop: Header=BB2_51 Depth=1
	v_writelane_b32 v42, s31, 6
	v_writelane_b32 v42, s34, 7
	;; [unrolled: 1-line block ×3, first 2 shown]
	s_or_b32 exec_lo, exec_lo, s15
	s_mov_b32 s17, s14
	s_and_not1_b32 vcc_lo, exec_lo, s29
	s_cbranch_vccnz .LBB2_1911
; %bb.1613:                             ;   in Loop: Header=BB2_51 Depth=1
	s_mov_b32 s30, 1
.LBB2_1614:                             ;   Parent Loop BB2_51 Depth=1
                                        ; =>  This Loop Header: Depth=2
                                        ;       Child Loop BB2_1616 Depth 3
                                        ;         Child Loop BB2_1625 Depth 4
                                        ;         Child Loop BB2_1655 Depth 4
	;; [unrolled: 1-line block ×4, first 2 shown]
                                        ;           Child Loop BB2_1704 Depth 5
                                        ;         Child Loop BB2_1711 Depth 4
                                        ;           Child Loop BB2_1712 Depth 5
                                        ;         Child Loop BB2_1723 Depth 4
                                        ;         Child Loop BB2_1729 Depth 4
                                        ;           Child Loop BB2_1730 Depth 5
                                        ;         Child Loop BB2_1744 Depth 4
                                        ;         Child Loop BB2_1750 Depth 4
                                        ;         Child Loop BB2_1760 Depth 4
                                        ;         Child Loop BB2_1766 Depth 4
                                        ;         Child Loop BB2_1778 Depth 4
                                        ;         Child Loop BB2_1804 Depth 4
                                        ;       Child Loop BB2_1825 Depth 3
                                        ;         Child Loop BB2_1831 Depth 4
                                        ;         Child Loop BB2_1863 Depth 4
	;; [unrolled: 1-line block ×3, first 2 shown]
	s_delay_alu instid0(SALU_CYCLE_1) | instskip(SKIP_4) | instid1(SALU_CYCLE_1)
	s_sub_i32 s6, s25, s30
	v_mov_b32_e32 v14, 0
	s_cmp_le_i32 s19, s6
	s_mov_b32 s34, 0
	s_cselect_b32 s13, s19, 0
	s_sub_i32 s6, s6, s13
	s_delay_alu instid0(SALU_CYCLE_1) | instskip(SKIP_3) | instid1(VALU_DEP_1)
	s_ashr_i32 s13, s6, 31
	v_mul_lo_u32 v2, v51, s6
	v_mad_u64_u32 v[8:9], null, v50, s6, 0
	v_mul_lo_u32 v10, v50, s13
	v_add3_u32 v9, v9, v10, v2
	s_delay_alu instid0(VALU_DEP_3) | instskip(NEXT) | instid1(VALU_DEP_2)
	v_sub_co_u32 v10, vcc_lo, v52, v8
	v_sub_co_ci_u32_e32 v11, vcc_lo, v53, v9, vcc_lo
	s_delay_alu instid0(VALU_DEP_1) | instskip(SKIP_1) | instid1(VALU_DEP_1)
	v_cmp_lt_i64_e32 vcc_lo, v[50:51], v[10:11]
	v_cndmask_b32_e32 v10, v10, v50, vcc_lo
	v_max_i32_e32 v68, 0, v10
	v_cmp_lt_i32_e32 vcc_lo, 0, v10
	s_delay_alu instid0(VALU_DEP_2) | instskip(SKIP_1) | instid1(VALU_DEP_1)
	v_add_nc_u32_e32 v2, 31, v68
	s_and_b32 s6, s16, vcc_lo
	v_lshrrev_b32_e32 v2, 1, v2
	s_delay_alu instid0(VALU_DEP_1) | instskip(NEXT) | instid1(VALU_DEP_1)
	v_dual_mov_b32 v2, 0 :: v_dual_and_b32 v11, 0x3ffffff0, v2
	v_max_i32_e32 v12, s28, v11
	s_and_saveexec_b32 s31, s6
	s_cbranch_execz .LBB2_1823
; %bb.1615:                             ;   in Loop: Header=BB2_1614 Depth=2
	v_add_co_u32 v8, vcc_lo, v8, v54
	v_add_co_ci_u32_e32 v9, vcc_lo, v9, v55, vcc_lo
	v_mov_b32_e32 v14, 0
	s_mov_b32 s36, 1
	s_mov_b32 s35, -1
	s_delay_alu instid0(VALU_DEP_2)
	v_lshlrev_b64 v[64:65], 1, v[8:9]
.LBB2_1616:                             ;   Parent Loop BB2_51 Depth=1
                                        ;     Parent Loop BB2_1614 Depth=2
                                        ; =>    This Loop Header: Depth=3
                                        ;         Child Loop BB2_1625 Depth 4
                                        ;         Child Loop BB2_1655 Depth 4
	;; [unrolled: 1-line block ×4, first 2 shown]
                                        ;           Child Loop BB2_1704 Depth 5
                                        ;         Child Loop BB2_1711 Depth 4
                                        ;           Child Loop BB2_1712 Depth 5
                                        ;         Child Loop BB2_1723 Depth 4
                                        ;         Child Loop BB2_1729 Depth 4
                                        ;           Child Loop BB2_1730 Depth 5
                                        ;         Child Loop BB2_1744 Depth 4
                                        ;         Child Loop BB2_1750 Depth 4
	;; [unrolled: 1-line block ×6, first 2 shown]
	s_and_saveexec_b32 s6, s0
	s_cbranch_execz .LBB2_1619
; %bb.1617:                             ;   in Loop: Header=BB2_1616 Depth=3
	s_cbranch_execnz .LBB2_2312
; %bb.1618:                             ;   in Loop: Header=BB2_1616 Depth=3
	ds_load_b128 v[8:11], v0
	v_ashrrev_i32_e32 v15, 31, v14
	s_delay_alu instid0(VALU_DEP_1)
	v_lshlrev_b64 v[66:67], 1, v[14:15]
	s_waitcnt lgkmcnt(0)
	v_add_co_u32 v2, vcc_lo, v10, v64
	v_add_co_ci_u32_e32 v13, vcc_lo, v11, v65, vcc_lo
	v_add_co_u32 v8, vcc_lo, v8, v64
	v_add_co_ci_u32_e32 v9, vcc_lo, v9, v65, vcc_lo
	s_delay_alu instid0(VALU_DEP_4) | instskip(NEXT) | instid1(VALU_DEP_4)
	v_add_co_u32 v2, vcc_lo, v2, v66
	v_add_co_ci_u32_e32 v13, vcc_lo, v13, v67, vcc_lo
	v_cmp_ne_u64_e32 vcc_lo, 0, v[10:11]
	v_add_co_u32 v8, s13, v8, v66
	s_delay_alu instid0(VALU_DEP_1) | instskip(NEXT) | instid1(VALU_DEP_4)
	v_add_co_ci_u32_e64 v9, s13, v9, v67, s13
	v_dual_cndmask_b32 v11, 0, v13 :: v_dual_cndmask_b32 v10, 0, v2
	ds_store_b64 v0, v[8:9]
	ds_store_b64 v0, v[10:11]
.LBB2_1619:                             ;   in Loop: Header=BB2_1616 Depth=3
	s_or_b32 exec_lo, exec_lo, s6
	v_and_b32_e32 v2, 12, v30
	s_mov_b32 s13, -1
	s_mov_b32 s6, exec_lo
	s_delay_alu instid0(VALU_DEP_1)
	v_cmpx_ne_u32_e32 0, v2
	s_cbranch_execz .LBB2_1633
; %bb.1620:                             ;   in Loop: Header=BB2_1616 Depth=3
	v_and_b32_e32 v2, 8, v30
	s_delay_alu instid0(VALU_DEP_1) | instskip(SKIP_3) | instid1(VALU_DEP_1)
	v_add_co_u32 v10, vcc_lo, v34, v2
	v_add_co_ci_u32_e32 v11, vcc_lo, 0, v35, vcc_lo
	v_add_co_u32 v8, vcc_lo, v24, 2
	v_add_co_ci_u32_e32 v9, vcc_lo, 0, v25, vcc_lo
	v_cmp_lt_u64_e32 vcc_lo, v[10:11], v[8:9]
	v_mov_b32_e32 v10, 1
	s_and_saveexec_b32 s13, vcc_lo
	s_cbranch_execz .LBB2_1632
; %bb.1621:                             ;   in Loop: Header=BB2_1616 Depth=3
	v_mov_b32_e32 v10, 0
	s_mov_b32 s14, 0
                                        ; implicit-def: $sgpr15
	s_branch .LBB2_1625
.LBB2_1622:                             ;   in Loop: Header=BB2_1625 Depth=4
	s_or_b32 exec_lo, exec_lo, s39
	v_mov_b32_e32 v11, 0
	s_or_not1_b32 s38, s38, exec_lo
.LBB2_1623:                             ;   in Loop: Header=BB2_1625 Depth=4
	s_or_b32 exec_lo, exec_lo, s37
	s_delay_alu instid0(VALU_DEP_1) | instskip(SKIP_2) | instid1(SALU_CYCLE_1)
	v_mov_b32_e32 v10, v11
	s_and_not1_b32 s15, s15, exec_lo
	s_and_b32 vcc_lo, s38, exec_lo
	s_or_b32 s15, s15, vcc_lo
.LBB2_1624:                             ;   in Loop: Header=BB2_1625 Depth=4
	s_or_b32 exec_lo, exec_lo, s24
	s_waitcnt vmcnt(0) lgkmcnt(0)
	v_add_co_u32 v66, vcc_lo, v34, v2
	v_add_co_ci_u32_e32 v67, vcc_lo, 0, v35, vcc_lo
	s_xor_b32 s24, s15, -1
	s_delay_alu instid0(VALU_DEP_1) | instskip(SKIP_1) | instid1(SALU_CYCLE_1)
	v_cmp_ge_u64_e32 vcc_lo, v[66:67], v[8:9]
	s_or_b32 s24, s24, vcc_lo
	s_and_b32 s24, exec_lo, s24
	s_delay_alu instid0(SALU_CYCLE_1) | instskip(NEXT) | instid1(SALU_CYCLE_1)
	s_or_b32 s14, s24, s14
	s_and_not1_b32 exec_lo, exec_lo, s14
	s_cbranch_execz .LBB2_1631
.LBB2_1625:                             ;   Parent Loop BB2_51 Depth=1
                                        ;     Parent Loop BB2_1614 Depth=2
                                        ;       Parent Loop BB2_1616 Depth=3
                                        ; =>      This Inner Loop Header: Depth=4
	s_sleep 1
	flat_load_b64 v[34:35], v[22:23] glc
	v_and_b32_e32 v11, 64, v30
	s_and_not1_b32 s15, s15, exec_lo
	s_mov_b32 s24, exec_lo
	s_delay_alu instid0(VALU_DEP_1)
	v_cmpx_eq_u32_e32 0, v11
	s_cbranch_execz .LBB2_1624
; %bb.1626:                             ;   in Loop: Header=BB2_1625 Depth=4
	v_add_nc_u32_e32 v11, 1, v10
	s_mov_b32 s38, -1
	s_mov_b32 s37, exec_lo
	v_cmpx_lt_i32_e32 0x270e, v10
	s_cbranch_execz .LBB2_1623
; %bb.1627:                             ;   in Loop: Header=BB2_1625 Depth=4
	s_cbranch_execnz .LBB2_2354
; %bb.1628:                             ;   in Loop: Header=BB2_1625 Depth=4
	ds_load_b64 v[10:11], v0
	s_mov_b32 s39, exec_lo
	s_waitcnt vmcnt(0) lgkmcnt(0)
	s_waitcnt_vscnt null, 0x0
	flat_load_b32 v10, v[10:11] glc
	s_waitcnt vmcnt(0) lgkmcnt(0)
	buffer_gl1_inv
	buffer_gl0_inv
	v_cmpx_ne_u32_e32 0, v10
	s_cbranch_execz .LBB2_1622
; %bb.1629:                             ;   in Loop: Header=BB2_1625 Depth=4
	ds_store_b32 v0, v10
	s_cbranch_execnz .LBB2_2432
; %bb.1630:                             ;   in Loop: Header=BB2_1625 Depth=4
	v_or_b32_e32 v30, 64, v30
	s_xor_b32 s38, exec_lo, -1
	s_branch .LBB2_1622
.LBB2_1631:                             ;   in Loop: Header=BB2_1616 Depth=3
	s_or_b32 exec_lo, exec_lo, s14
	v_and_b32_e32 v10, 12, v30
.LBB2_1632:                             ;   in Loop: Header=BB2_1616 Depth=3
	s_or_b32 exec_lo, exec_lo, s13
	s_delay_alu instid0(VALU_DEP_1)
	v_cmp_eq_u32_e32 vcc_lo, 0, v10
	;;#ASMSTART
	s_wakeup
	;;#ASMEND
	s_or_not1_b32 s13, vcc_lo, exec_lo
.LBB2_1633:                             ;   in Loop: Header=BB2_1616 Depth=3
	s_or_b32 exec_lo, exec_lo, s6
	v_sub_nc_u32_e32 v2, v68, v14
	s_xor_b32 s13, s13, -1
	s_delay_alu instid0(VALU_DEP_1)
	v_min_i32_e32 v12, v12, v2
	s_and_saveexec_b32 s6, s13
	s_cbranch_execz .LBB2_1646
; %bb.1634:                             ;   in Loop: Header=BB2_1616 Depth=3
	v_and_b32_e32 v2, 0x108, v30
	s_delay_alu instid0(VALU_DEP_1) | instskip(SKIP_2) | instid1(SALU_CYCLE_1)
	v_cmp_ne_u32_e32 vcc_lo, 0x108, v2
	v_and_b32_e32 v2, 7, v24
	s_and_saveexec_b32 s13, vcc_lo
	s_xor_b32 s13, exec_lo, s13
	s_delay_alu instid0(SALU_CYCLE_1)
	s_and_not1_saveexec_b32 s13, s13
	s_cbranch_execz .LBB2_1636
; %bb.1635:                             ;   in Loop: Header=BB2_1616 Depth=3
	v_ashrrev_i32_e32 v13, 31, v12
	v_mad_u64_u32 v[8:9], null, v2, 24, v[6:7]
	s_delay_alu instid0(VALU_DEP_2)
	v_lshlrev_b64 v[10:11], 1, v[12:13]
	flat_store_b64 v[8:9], v[10:11] offset:8
.LBB2_1636:                             ;   in Loop: Header=BB2_1616 Depth=3
	s_or_b32 exec_lo, exec_lo, s13
	v_and_b32_e32 v8, 0x100, v30
	s_mov_b32 s13, -1
	s_delay_alu instid0(VALU_DEP_1)
	v_cmp_ne_u32_e32 vcc_lo, 0, v8
                                        ; implicit-def: $vgpr8_vgpr9
	s_and_saveexec_b32 s14, vcc_lo
	s_cbranch_execnz .LBB2_1639
; %bb.1637:                             ;   in Loop: Header=BB2_1616 Depth=3
	s_or_b32 exec_lo, exec_lo, s14
	s_and_saveexec_b32 s14, s13
	s_cbranch_execnz .LBB2_1642
.LBB2_1638:                             ;   in Loop: Header=BB2_1616 Depth=3
	s_or_b32 exec_lo, exec_lo, s14
	s_cbranch_execnz .LBB2_2344
	s_branch .LBB2_1643
.LBB2_1639:                             ;   in Loop: Header=BB2_1616 Depth=3
	v_mad_u64_u32 v[10:11], null, v2, 24, v[6:7]
	s_delay_alu instid0(VALU_DEP_1) | instskip(NEXT) | instid1(VALU_DEP_1)
	v_mov_b32_e32 v8, v11
	v_mad_u64_u32 v[66:67], null, v3, 24, v[8:9]
	s_delay_alu instid0(VALU_DEP_1) | instskip(SKIP_4) | instid1(VALU_DEP_1)
	v_mov_b32_e32 v11, v66
	flat_load_b32 v8, v[10:11]
	s_waitcnt vmcnt(0) lgkmcnt(0)
	v_cmp_ne_u32_e32 vcc_lo, 1, v8
	v_cmp_eq_u32_e64 s13, 1, v8
                                        ; implicit-def: $vgpr8_vgpr9
	s_and_saveexec_b32 s15, s13
	s_cbranch_execz .LBB2_1641
; %bb.1640:                             ;   in Loop: Header=BB2_1616 Depth=3
	flat_load_b32 v8, v[10:11] offset:4 glc
	s_waitcnt vmcnt(0) lgkmcnt(0)
	v_ashrrev_i32_e32 v9, 31, v8
	s_delay_alu instid0(VALU_DEP_1)
	v_lshrrev_b64 v[8:9], 1, v[8:9]
.LBB2_1641:                             ;   in Loop: Header=BB2_1616 Depth=3
	s_or_b32 exec_lo, exec_lo, s15
	s_delay_alu instid0(SALU_CYCLE_1)
	s_or_not1_b32 s13, vcc_lo, exec_lo
	s_or_b32 exec_lo, exec_lo, s14
	s_and_saveexec_b32 s14, s13
	s_cbranch_execz .LBB2_1638
.LBB2_1642:                             ;   in Loop: Header=BB2_1616 Depth=3
	v_mul_lo_u32 v10, v3, v87
	v_mul_lo_u32 v11, v2, v96
	v_mad_u64_u32 v[8:9], null, v2, v87, 0
	s_delay_alu instid0(VALU_DEP_1)
	v_add3_u32 v9, v9, v11, v10
	s_or_b32 exec_lo, exec_lo, s14
	s_cbranch_execnz .LBB2_2344
.LBB2_1643:                             ;   in Loop: Header=BB2_1616 Depth=3
	s_delay_alu instid0(VALU_DEP_1) | instskip(SKIP_2) | instid1(VALU_DEP_2)
	v_lshlrev_b64 v[8:9], 1, v[8:9]
	v_and_b32_e32 v2, 0x2000, v30
	s_mov_b32 s13, exec_lo
	v_add_co_u32 v8, vcc_lo, v26, v8
	s_delay_alu instid0(VALU_DEP_3)
	v_add_co_ci_u32_e32 v9, vcc_lo, v27, v9, vcc_lo
	ds_store_b64 v0, v[8:9]
	v_cmpx_ne_u32_e32 0, v2
	s_cbranch_execz .LBB2_1645
; %bb.1644:                             ;   in Loop: Header=BB2_1616 Depth=3
	ds_load_b64 v[8:9], v0 offset:584
	s_waitcnt lgkmcnt(0)
	v_add_co_u32 v8, vcc_lo, v8, 1
	v_add_co_ci_u32_e32 v9, vcc_lo, 0, v9, vcc_lo
	ds_store_b64 v0, v[8:9] offset:584
.LBB2_1645:                             ;   in Loop: Header=BB2_1616 Depth=3
	s_or_b32 exec_lo, exec_lo, s13
	v_add_co_u32 v24, vcc_lo, v24, 2
	v_add_co_ci_u32_e32 v25, vcc_lo, 0, v25, vcc_lo
.LBB2_1646:                             ;   in Loop: Header=BB2_1616 Depth=3
	s_or_b32 exec_lo, exec_lo, s6
	s_and_saveexec_b32 s13, s3
	s_cbranch_execz .LBB2_1668
; %bb.1647:                             ;   in Loop: Header=BB2_1616 Depth=3
	s_and_saveexec_b32 s6, s4
	s_delay_alu instid0(SALU_CYCLE_1)
	s_xor_b32 s6, exec_lo, s6
	s_cbranch_execz .LBB2_1665
; %bb.1648:                             ;   in Loop: Header=BB2_1616 Depth=3
	s_and_saveexec_b32 s14, s1
	s_cbranch_execz .LBB2_1664
; %bb.1649:                             ;   in Loop: Header=BB2_1616 Depth=3
	s_mov_b32 s24, exec_lo
	s_mov_b32 s15, exec_lo
	v_mbcnt_lo_u32_b32 v2, s24, 0
	s_waitcnt lgkmcnt(0)
	s_waitcnt_vscnt null, 0x0
	buffer_gl1_inv
	buffer_gl0_inv
	v_cmpx_eq_u32_e32 0, v2
	s_cbranch_execz .LBB2_1651
; %bb.1650:                             ;   in Loop: Header=BB2_1616 Depth=3
	s_bcnt1_i32_b32 s24, s24
	s_delay_alu instid0(SALU_CYCLE_1)
	v_mov_b32_e32 v2, s24
	ds_add_u64 v0, v[2:3]
	s_cbranch_execnz .LBB2_2488
.LBB2_1651:                             ;   in Loop: Header=BB2_1616 Depth=3
	s_or_b32 exec_lo, exec_lo, s15
	s_cbranch_execnz .LBB2_2458
; %bb.1652:                             ;   in Loop: Header=BB2_1616 Depth=3
	ds_load_b64 v[8:9], v0
	v_add_co_u32 v32, vcc_lo, v32, v99
	v_add_co_ci_u32_e32 v33, vcc_lo, 0, v33, vcc_lo
	s_mov_b32 s15, exec_lo
	s_waitcnt lgkmcnt(0)
	s_delay_alu instid0(VALU_DEP_1)
	v_cmpx_lt_u64_e64 v[8:9], v[32:33]
	s_cbranch_execz .LBB2_1663
; %bb.1653:                             ;   in Loop: Header=BB2_1616 Depth=3
	s_mov_b32 s24, 0
	s_mov_b32 s39, 0
                                        ; implicit-def: $sgpr37
                                        ; implicit-def: $sgpr38
	s_branch .LBB2_1655
.LBB2_1654:                             ;   in Loop: Header=BB2_1655 Depth=4
	s_or_b32 exec_lo, exec_lo, s41
	s_delay_alu instid0(SALU_CYCLE_1) | instskip(NEXT) | instid1(SALU_CYCLE_1)
	s_and_b32 vcc_lo, exec_lo, vcc_lo
	s_or_b32 s24, vcc_lo, s24
	s_and_not1_b32 vcc_lo, s37, exec_lo
	s_and_b32 s37, s38, exec_lo
	s_delay_alu instid0(SALU_CYCLE_1)
	s_or_b32 s37, vcc_lo, s37
	s_and_not1_b32 exec_lo, exec_lo, s24
	s_cbranch_execz .LBB2_1661
.LBB2_1655:                             ;   Parent Loop BB2_51 Depth=1
                                        ;     Parent Loop BB2_1614 Depth=2
                                        ;       Parent Loop BB2_1616 Depth=3
                                        ; =>      This Inner Loop Header: Depth=4
	s_add_i32 s39, s39, 1
                                        ; implicit-def: $sgpr41
	s_delay_alu instid0(SALU_CYCLE_1) | instskip(SKIP_1) | instid1(SALU_CYCLE_1)
	s_cmpk_lg_i32 s39, 0x2710
	s_cselect_b32 s40, -1, 0
	s_and_b32 vcc_lo, exec_lo, s40
	s_cbranch_vccz .LBB2_1659
.LBB2_1656:                             ;   in Loop: Header=BB2_1655 Depth=4
	s_and_not1_b32 s38, s38, exec_lo
	s_and_b32 s41, s41, exec_lo
	s_mov_b32 vcc_lo, -1
	s_or_b32 s38, s38, s41
	s_and_saveexec_b32 s41, s40
	s_cbranch_execz .LBB2_1654
; %bb.1657:                             ;   in Loop: Header=BB2_1655 Depth=4
	s_sleep 1
	s_cbranch_execnz .LBB2_2538
; %bb.1658:                             ;   in Loop: Header=BB2_1655 Depth=4
	ds_load_b64 v[8:9], v0
	s_and_not1_b32 s38, s38, exec_lo
	s_waitcnt lgkmcnt(0)
	v_cmp_ge_u64_e32 vcc_lo, v[8:9], v[32:33]
	s_or_not1_b32 vcc_lo, vcc_lo, exec_lo
	s_branch .LBB2_1654
.LBB2_1659:                             ;   in Loop: Header=BB2_1655 Depth=4
	s_cbranch_execnz .LBB2_2560
; %bb.1660:                             ;   in Loop: Header=BB2_1655 Depth=4
	ds_load_b64 v[8:9], v0
	s_and_not1_b32 s40, s40, exec_lo
	s_mov_b32 s39, 0
	s_mov_b32 s41, -1
	s_waitcnt lgkmcnt(0)
	flat_load_b32 v2, v[8:9] glc
	s_waitcnt vmcnt(0) lgkmcnt(0)
	buffer_gl1_inv
	buffer_gl0_inv
	v_cmp_eq_u32_e32 vcc_lo, 0, v2
	s_and_b32 vcc_lo, vcc_lo, exec_lo
	s_delay_alu instid0(SALU_CYCLE_1)
	s_or_b32 s40, s40, vcc_lo
	s_branch .LBB2_1656
.LBB2_1661:                             ;   in Loop: Header=BB2_1616 Depth=3
	s_or_b32 exec_lo, exec_lo, s24
	s_and_saveexec_b32 s24, s37
	s_delay_alu instid0(SALU_CYCLE_1)
	s_xor_b32 s24, exec_lo, s24
	s_cbranch_execz .LBB2_1663
; %bb.1662:                             ;   in Loop: Header=BB2_1616 Depth=3
	ds_store_b32 v0, v133
	s_cbranch_execnz .LBB2_2674
.LBB2_1663:                             ;   in Loop: Header=BB2_1616 Depth=3
	s_or_b32 exec_lo, exec_lo, s15
	;;#ASMSTART
	s_wakeup
	;;#ASMEND
.LBB2_1664:                             ;   in Loop: Header=BB2_1616 Depth=3
	s_or_b32 exec_lo, exec_lo, s14
.LBB2_1665:                             ;   in Loop: Header=BB2_1616 Depth=3
	s_and_not1_saveexec_b32 s6, s6
	s_cbranch_execz .LBB2_1667
; %bb.1666:                             ;   in Loop: Header=BB2_1616 Depth=3
	s_waitcnt lgkmcnt(0)
	s_waitcnt_vscnt null, 0x0
	buffer_gl1_inv
	buffer_gl0_inv
	s_barrier
.LBB2_1667:                             ;   in Loop: Header=BB2_1616 Depth=3
	s_or_b32 exec_lo, exec_lo, s6
.LBB2_1668:                             ;   in Loop: Header=BB2_1616 Depth=3
	s_delay_alu instid0(SALU_CYCLE_1)
	s_or_b32 exec_lo, exec_lo, s13
	s_cbranch_execnz .LBB2_2326
; %bb.1669:                             ;   in Loop: Header=BB2_1616 Depth=3
	ds_load_b32 v8, v0
	v_and_b32_e32 v2, 0x4000, v30
	s_xor_b32 s6, s2, -1
	s_delay_alu instid0(VALU_DEP_1) | instskip(SKIP_1) | instid1(SALU_CYCLE_1)
	v_cmp_ne_u32_e32 vcc_lo, 0, v2
	s_and_b32 s6, s6, vcc_lo
	s_and_saveexec_b32 s13, s6
	s_cbranch_execz .LBB2_1691
; %bb.1670:                             ;   in Loop: Header=BB2_1616 Depth=3
	s_and_saveexec_b32 s6, s4
	s_delay_alu instid0(SALU_CYCLE_1)
	s_xor_b32 s6, exec_lo, s6
	s_cbranch_execz .LBB2_1688
; %bb.1671:                             ;   in Loop: Header=BB2_1616 Depth=3
	s_and_saveexec_b32 s14, s1
	s_cbranch_execz .LBB2_1687
; %bb.1672:                             ;   in Loop: Header=BB2_1616 Depth=3
	s_mov_b32 s24, exec_lo
	s_mov_b32 s15, exec_lo
	v_mbcnt_lo_u32_b32 v2, s24, 0
	s_waitcnt lgkmcnt(0)
	s_waitcnt_vscnt null, 0x0
	buffer_gl1_inv
	buffer_gl0_inv
	v_cmpx_eq_u32_e32 0, v2
	s_cbranch_execz .LBB2_1674
; %bb.1673:                             ;   in Loop: Header=BB2_1616 Depth=3
	s_bcnt1_i32_b32 s24, s24
	s_delay_alu instid0(SALU_CYCLE_1)
	v_mov_b32_e32 v2, s24
	ds_add_u64 v0, v[2:3]
	s_cbranch_execnz .LBB2_2526
.LBB2_1674:                             ;   in Loop: Header=BB2_1616 Depth=3
	s_or_b32 exec_lo, exec_lo, s15
	s_cbranch_execnz .LBB2_2508
; %bb.1675:                             ;   in Loop: Header=BB2_1616 Depth=3
	ds_load_b64 v[9:10], v0
	v_add_co_u32 v32, vcc_lo, v32, v99
	v_add_co_ci_u32_e32 v33, vcc_lo, 0, v33, vcc_lo
	s_mov_b32 s15, exec_lo
	s_waitcnt lgkmcnt(0)
	s_delay_alu instid0(VALU_DEP_1)
	v_cmpx_lt_u64_e64 v[9:10], v[32:33]
	s_cbranch_execz .LBB2_1686
; %bb.1676:                             ;   in Loop: Header=BB2_1616 Depth=3
	s_mov_b32 s24, 0
	s_mov_b32 s39, 0
                                        ; implicit-def: $sgpr37
                                        ; implicit-def: $sgpr38
	s_branch .LBB2_1678
.LBB2_1677:                             ;   in Loop: Header=BB2_1678 Depth=4
	s_or_b32 exec_lo, exec_lo, s41
	s_delay_alu instid0(SALU_CYCLE_1) | instskip(NEXT) | instid1(SALU_CYCLE_1)
	s_and_b32 vcc_lo, exec_lo, vcc_lo
	s_or_b32 s24, vcc_lo, s24
	s_and_not1_b32 vcc_lo, s37, exec_lo
	s_and_b32 s37, s38, exec_lo
	s_delay_alu instid0(SALU_CYCLE_1)
	s_or_b32 s37, vcc_lo, s37
	s_and_not1_b32 exec_lo, exec_lo, s24
	s_cbranch_execz .LBB2_1684
.LBB2_1678:                             ;   Parent Loop BB2_51 Depth=1
                                        ;     Parent Loop BB2_1614 Depth=2
                                        ;       Parent Loop BB2_1616 Depth=3
                                        ; =>      This Inner Loop Header: Depth=4
	s_add_i32 s39, s39, 1
                                        ; implicit-def: $sgpr41
	s_delay_alu instid0(SALU_CYCLE_1) | instskip(SKIP_1) | instid1(SALU_CYCLE_1)
	s_cmpk_lg_i32 s39, 0x2710
	s_cselect_b32 s40, -1, 0
	s_and_b32 vcc_lo, exec_lo, s40
	s_cbranch_vccz .LBB2_1682
.LBB2_1679:                             ;   in Loop: Header=BB2_1678 Depth=4
	s_and_not1_b32 s38, s38, exec_lo
	s_and_b32 s41, s41, exec_lo
	s_mov_b32 vcc_lo, -1
	s_or_b32 s38, s38, s41
	s_and_saveexec_b32 s41, s40
	s_cbranch_execz .LBB2_1677
; %bb.1680:                             ;   in Loop: Header=BB2_1678 Depth=4
	s_sleep 1
	s_cbranch_execnz .LBB2_2596
; %bb.1681:                             ;   in Loop: Header=BB2_1678 Depth=4
	ds_load_b64 v[9:10], v0
	s_and_not1_b32 s38, s38, exec_lo
	s_waitcnt lgkmcnt(0)
	v_cmp_ge_u64_e32 vcc_lo, v[9:10], v[32:33]
	s_or_not1_b32 vcc_lo, vcc_lo, exec_lo
	s_branch .LBB2_1677
.LBB2_1682:                             ;   in Loop: Header=BB2_1678 Depth=4
	s_cbranch_execnz .LBB2_2604
; %bb.1683:                             ;   in Loop: Header=BB2_1678 Depth=4
	ds_load_b64 v[9:10], v0
	s_and_not1_b32 s40, s40, exec_lo
	s_mov_b32 s39, 0
	s_mov_b32 s41, -1
	s_waitcnt lgkmcnt(0)
	flat_load_b32 v2, v[9:10] glc
	s_waitcnt vmcnt(0) lgkmcnt(0)
	buffer_gl1_inv
	buffer_gl0_inv
	v_cmp_eq_u32_e32 vcc_lo, 0, v2
	s_and_b32 vcc_lo, vcc_lo, exec_lo
	s_delay_alu instid0(SALU_CYCLE_1)
	s_or_b32 s40, s40, vcc_lo
	s_branch .LBB2_1679
.LBB2_1684:                             ;   in Loop: Header=BB2_1616 Depth=3
	s_or_b32 exec_lo, exec_lo, s24
	s_and_saveexec_b32 s24, s37
	s_delay_alu instid0(SALU_CYCLE_1)
	s_xor_b32 s24, exec_lo, s24
	s_cbranch_execz .LBB2_1686
; %bb.1685:                             ;   in Loop: Header=BB2_1616 Depth=3
	ds_store_b32 v0, v133
	s_cbranch_execnz .LBB2_2690
.LBB2_1686:                             ;   in Loop: Header=BB2_1616 Depth=3
	s_or_b32 exec_lo, exec_lo, s15
	;;#ASMSTART
	s_wakeup
	;;#ASMEND
.LBB2_1687:                             ;   in Loop: Header=BB2_1616 Depth=3
	s_or_b32 exec_lo, exec_lo, s14
.LBB2_1688:                             ;   in Loop: Header=BB2_1616 Depth=3
	s_and_not1_saveexec_b32 s6, s6
	s_cbranch_execz .LBB2_1690
; %bb.1689:                             ;   in Loop: Header=BB2_1616 Depth=3
	s_waitcnt lgkmcnt(0)
	s_waitcnt_vscnt null, 0x0
	buffer_gl1_inv
	buffer_gl0_inv
	s_barrier
.LBB2_1690:                             ;   in Loop: Header=BB2_1616 Depth=3
	s_or_b32 exec_lo, exec_lo, s6
.LBB2_1691:                             ;   in Loop: Header=BB2_1616 Depth=3
	s_delay_alu instid0(SALU_CYCLE_1)
	s_or_b32 exec_lo, exec_lo, s13
	s_cbranch_execnz .LBB2_2384
; %bb.1692:                             ;   in Loop: Header=BB2_1616 Depth=3
	ds_load_b64 v[9:10], v0
	v_mov_b32_e32 v13, 0
	s_waitcnt lgkmcnt(0)
	v_cmp_eq_u64_e32 vcc_lo, 0, v[9:10]
	s_or_b32 s6, vcc_lo, vcc_lo
	s_delay_alu instid0(SALU_CYCLE_1)
	s_and_b32 vcc_lo, exec_lo, s6
	s_cbranch_vccnz .LBB2_1769
; %bb.1693:                             ;   in Loop: Header=BB2_1616 Depth=3
	v_cmp_eq_u32_e32 vcc_lo, 0, v8
	s_cbranch_execnz .LBB2_2450
; %bb.1694:                             ;   in Loop: Header=BB2_1616 Depth=3
	ds_load_b64 v[8:9], v0
	v_cndmask_b32_e32 v13, 0, v12, vcc_lo
	s_mov_b32 s6, -1
	s_delay_alu instid0(VALU_DEP_1)
	v_lshlrev_b32_e32 v2, 1, v13
	s_waitcnt lgkmcnt(0)
	v_cmp_ne_u64_e32 vcc_lo, 0, v[8:9]
	s_cbranch_vccz .LBB2_1734
; %bb.1695:                             ;   in Loop: Header=BB2_1616 Depth=3
	s_and_saveexec_b32 s13, vcc_hi
	s_cbranch_execz .LBB2_1697
; %bb.1696:                             ;   in Loop: Header=BB2_1616 Depth=3
	ds_load_b32 v8, v0 offset:720
	s_waitcnt lgkmcnt(0)
	v_and_b32_e32 v8, 15, v8
	s_delay_alu instid0(VALU_DEP_1)
	v_cmp_eq_u32_e32 vcc_lo, 0, v8
	s_or_not1_b32 s6, vcc_lo, exec_lo
.LBB2_1697:                             ;   in Loop: Header=BB2_1616 Depth=3
	s_or_b32 exec_lo, exec_lo, s13
	s_and_saveexec_b32 s13, s12
	s_cbranch_execz .LBB2_1699
; %bb.1698:                             ;   in Loop: Header=BB2_1616 Depth=3
	ds_load_b32 v8, v0 offset:784
	s_waitcnt lgkmcnt(0)
	v_and_b32_e32 v8, 15, v8
	s_delay_alu instid0(VALU_DEP_1) | instskip(SKIP_3) | instid1(SALU_CYCLE_1)
	v_cmp_eq_u32_e32 vcc_lo, 0, v8
	s_and_b32 s14, s6, vcc_lo
	s_and_not1_b32 s6, s6, exec_lo
	s_and_b32 s14, s14, exec_lo
	s_or_b32 s6, s6, s14
.LBB2_1699:                             ;   in Loop: Header=BB2_1616 Depth=3
	s_or_b32 exec_lo, exec_lo, s13
	s_xor_b32 s6, s6, -1
	v_dual_mov_b32 v15, 0 :: v_dual_mov_b32 v70, v0
	v_cndmask_b32_e64 v8, 0, 1, s6
	;;#ASMSTART
	;;#ASMEND
	s_delay_alu instid0(VALU_DEP_1)
	v_cmp_ne_u32_e32 vcc_lo, 0, v8
	v_dual_mov_b32 v69, v2 :: v_dual_mov_b32 v8, v97
	s_mov_b32 s6, -1
	s_cbranch_vccnz .LBB2_1719
; %bb.1700:                             ;   in Loop: Header=BB2_1616 Depth=3
	v_ashrrev_i32_e32 v8, 31, v2
	v_sub_nc_u32_e32 v15, v2, v130
	s_mov_b32 s6, exec_lo
	s_delay_alu instid0(VALU_DEP_2) | instskip(NEXT) | instid1(VALU_DEP_1)
	v_lshrrev_b32_e32 v8, 23, v8
	v_add_nc_u32_e32 v8, v2, v8
	s_delay_alu instid0(VALU_DEP_1) | instskip(SKIP_1) | instid1(VALU_DEP_2)
	v_and_b32_e32 v71, 0xfffffe00, v8
	v_ashrrev_i32_e32 v8, 9, v8
	v_sub_nc_u32_e32 v81, v2, v71
	s_delay_alu instid0(VALU_DEP_1) | instskip(NEXT) | instid1(VALU_DEP_1)
	v_cmp_lt_i32_e64 s13, 15, v81
	v_add_co_ci_u32_e64 v82, vcc_lo, v8, v131, s13
	v_cmpx_lt_i32_e32 15, v15
	s_cbranch_execz .LBB2_1707
; %bb.1701:                             ;   in Loop: Header=BB2_1616 Depth=3
	s_cbranch_execnz .LBB2_2620
; %bb.1702:                             ;   in Loop: Header=BB2_1616 Depth=3
	ds_load_b64 v[66:67], v0
	ds_load_b128 v[8:11], v0
	s_mov_b32 s24, 0
	s_waitcnt lgkmcnt(1)
	v_add_co_u32 v66, vcc_lo, v66, v130
	v_add_co_ci_u32_e32 v67, vcc_lo, v67, v132, vcc_lo
	s_waitcnt lgkmcnt(0)
	v_add_co_u32 v69, vcc_lo, v8, v130
	v_add_co_ci_u32_e32 v70, vcc_lo, v9, v132, vcc_lo
	v_add_co_u32 v80, vcc_lo, v10, v130
	v_add_co_ci_u32_e32 v83, vcc_lo, v11, v132, vcc_lo
.LBB2_1703:                             ;   Parent Loop BB2_51 Depth=1
                                        ;     Parent Loop BB2_1614 Depth=2
                                        ;       Parent Loop BB2_1616 Depth=3
                                        ; =>      This Loop Header: Depth=4
                                        ;           Child Loop BB2_1704 Depth 5
	global_load_b128 v[8:11], v[66:67], off slc dlc
	s_mov_b64 s[14:15], 0
	s_mov_b32 s37, -1
.LBB2_1704:                             ;   Parent Loop BB2_51 Depth=1
                                        ;     Parent Loop BB2_1614 Depth=2
                                        ;       Parent Loop BB2_1616 Depth=3
                                        ;         Parent Loop BB2_1703 Depth=4
                                        ; =>        This Inner Loop Header: Depth=5
	s_cmp_eq_u32 s14, 0
	v_cndmask_b32_e64 v134, 0, 1, s37
	s_cselect_b32 vcc_lo, -1, 0
	s_cmp_eq_u32 s14, 1
	s_mov_b32 s37, 0
	s_cselect_b32 s14, -1, 0
	s_delay_alu instid0(SALU_CYCLE_1) | instskip(SKIP_1) | instid1(VALU_DEP_2)
	v_cndmask_b32_e64 v84, v69, v80, s14
	v_cndmask_b32_e64 v85, v70, v83, s14
	v_add_co_u32 v135, s15, 0x200, v84
	s_delay_alu instid0(VALU_DEP_1) | instskip(SKIP_1) | instid1(VALU_DEP_3)
	v_add_co_ci_u32_e64 v144, s15, 0, v85, s15
	v_cmp_ne_u32_e64 s15, 1, v134
	v_cndmask_b32_e64 v80, v80, v135, s14
	v_cndmask_b32_e32 v69, v69, v135, vcc_lo
	s_delay_alu instid0(VALU_DEP_4)
	v_cndmask_b32_e64 v83, v83, v144, s14
	v_cndmask_b32_e32 v70, v70, v144, vcc_lo
	s_and_b32 vcc_lo, exec_lo, s15
	s_mov_b64 s[14:15], 1
	s_waitcnt vmcnt(0)
	global_store_b128 v[84:85], v[8:11], off glc slc dlc
	s_cbranch_vccz .LBB2_1704
; %bb.1705:                             ;   in Loop: Header=BB2_1703 Depth=4
	v_add_co_u32 v69, vcc_lo, v69, v101
	v_sub_nc_u32_e32 v15, v15, v100
	v_add_co_ci_u32_e32 v70, vcc_lo, v70, v112, vcc_lo
	v_add_co_u32 v80, vcc_lo, v80, v101
	v_add_co_ci_u32_e32 v83, vcc_lo, v83, v112, vcc_lo
	s_delay_alu instid0(VALU_DEP_4) | instskip(SKIP_1) | instid1(VALU_DEP_1)
	v_cmp_gt_i32_e32 vcc_lo, 16, v15
	v_add_co_u32 v66, s14, v114, v66
	v_add_co_ci_u32_e64 v67, s14, v115, v67, s14
	v_sub_nc_u32_e32 v82, v82, v99
	s_or_b32 s24, vcc_lo, s24
	s_delay_alu instid0(SALU_CYCLE_1)
	s_and_not1_b32 exec_lo, exec_lo, s24
	s_cbranch_execnz .LBB2_1703
; %bb.1706:                             ;   in Loop: Header=BB2_1616 Depth=3
	s_or_b32 exec_lo, exec_lo, s24
.LBB2_1707:                             ;   in Loop: Header=BB2_1616 Depth=3
	s_delay_alu instid0(SALU_CYCLE_1) | instskip(SKIP_4) | instid1(VALU_DEP_2)
	s_or_b32 exec_lo, exec_lo, s6
	v_and_b32_e32 v9, 14, v2
	v_mov_b32_e32 v15, 0
	s_mov_b32 s6, 0
	s_mov_b32 s37, exec_lo
                                        ; implicit-def: $vgpr69
                                        ; implicit-def: $vgpr70
                                        ; implicit-def: $vgpr8
	v_cndmask_b32_e64 v80, v81, v9, s13
	s_delay_alu instid0(VALU_DEP_1)
	v_cmpx_ne_u32_e32 0, v80
	s_cbranch_execz .LBB2_1718
; %bb.1708:                             ;   in Loop: Header=BB2_1616 Depth=3
	v_cmp_lt_i32_e32 vcc_lo, 0, v82
	v_ashrrev_i32_e32 v11, 31, v80
	v_sub_nc_u32_e32 v9, v81, v9
	s_mov_b32 s6, exec_lo
	v_cndmask_b32_e32 v8, 0, v99, vcc_lo
	s_delay_alu instid0(VALU_DEP_3) | instskip(NEXT) | instid1(VALU_DEP_3)
	v_lshrrev_b32_e32 v11, 23, v11
	v_cndmask_b32_e64 v9, 0, v9, s13
	s_delay_alu instid0(VALU_DEP_3) | instskip(NEXT) | instid1(VALU_DEP_3)
	v_sub_nc_u32_e32 v8, v8, v82
	v_add_nc_u32_e32 v11, v80, v11
	s_delay_alu instid0(VALU_DEP_3) | instskip(NEXT) | instid1(VALU_DEP_3)
	v_add_nc_u32_e32 v71, v9, v71
	v_lshl_add_u32 v8, v8, 5, v98
	s_delay_alu instid0(VALU_DEP_3) | instskip(SKIP_1) | instid1(VALU_DEP_3)
	v_and_b32_e32 v82, 0xfffffe00, v11
	v_ashrrev_i32_e32 v11, 9, v11
	v_ashrrev_i32_e32 v10, 31, v8
	s_delay_alu instid0(VALU_DEP_3) | instskip(NEXT) | instid1(VALU_DEP_2)
	v_sub_nc_u32_e32 v81, v80, v82
	v_lshrrev_b32_e32 v10, 27, v10
	s_delay_alu instid0(VALU_DEP_2) | instskip(NEXT) | instid1(VALU_DEP_2)
	v_cmp_lt_i32_e64 s13, 15, v81
	v_add_nc_u32_e32 v10, v8, v10
	s_delay_alu instid0(VALU_DEP_2) | instskip(NEXT) | instid1(VALU_DEP_2)
	v_add_co_ci_u32_e64 v11, vcc_lo, 0, v11, s13
	v_and_b32_e32 v15, 0xffffffe0, v10
	v_ashrrev_i32_e32 v10, 5, v10
	s_delay_alu instid0(VALU_DEP_2) | instskip(NEXT) | instid1(VALU_DEP_2)
	v_sub_nc_u32_e32 v83, v8, v15
	v_sub_nc_u32_e32 v84, v11, v10
	s_delay_alu instid0(VALU_DEP_2) | instskip(NEXT) | instid1(VALU_DEP_1)
	v_lshlrev_b32_e32 v8, 4, v83
	v_lshl_add_u32 v8, v10, 9, v8
	s_delay_alu instid0(VALU_DEP_1) | instskip(NEXT) | instid1(VALU_DEP_1)
	v_sub_nc_u32_e32 v15, v80, v8
	v_cmpx_lt_i32_e32 15, v15
	s_cbranch_execz .LBB2_1715
; %bb.1709:                             ;   in Loop: Header=BB2_1616 Depth=3
	s_cbranch_execnz .LBB2_2658
; %bb.1710:                             ;   in Loop: Header=BB2_1616 Depth=3
	ds_load_b64 v[9:10], v0
	ds_load_b128 v[144:147], v0
	v_add_nc_u32_e32 v8, v8, v71
	s_mov_b32 s24, 0
	s_delay_alu instid0(VALU_DEP_1) | instskip(SKIP_2) | instid1(VALU_DEP_2)
	v_ashrrev_i32_e32 v11, 31, v8
	s_waitcnt lgkmcnt(1)
	v_add_co_u32 v66, vcc_lo, v9, v8
	v_add_co_ci_u32_e32 v67, vcc_lo, v10, v11, vcc_lo
	s_waitcnt lgkmcnt(0)
	v_add_co_u32 v69, vcc_lo, v144, v8
	v_add_co_ci_u32_e32 v70, vcc_lo, v145, v11, vcc_lo
	v_add_co_u32 v85, vcc_lo, v146, v8
	v_add_co_ci_u32_e32 v134, vcc_lo, v147, v11, vcc_lo
.LBB2_1711:                             ;   Parent Loop BB2_51 Depth=1
                                        ;     Parent Loop BB2_1614 Depth=2
                                        ;       Parent Loop BB2_1616 Depth=3
                                        ; =>      This Loop Header: Depth=4
                                        ;           Child Loop BB2_1712 Depth 5
	global_load_b128 v[8:11], v[66:67], off slc dlc
	s_mov_b64 s[14:15], 0
	s_mov_b32 s38, -1
.LBB2_1712:                             ;   Parent Loop BB2_51 Depth=1
                                        ;     Parent Loop BB2_1614 Depth=2
                                        ;       Parent Loop BB2_1616 Depth=3
                                        ;         Parent Loop BB2_1711 Depth=4
                                        ; =>        This Inner Loop Header: Depth=5
	s_cmp_eq_u32 s14, 0
	v_cndmask_b32_e64 v135, 0, 1, s38
	s_cselect_b32 vcc_lo, -1, 0
	s_cmp_eq_u32 s14, 1
	s_mov_b32 s38, 0
	s_cselect_b32 s14, -1, 0
	s_delay_alu instid0(SALU_CYCLE_1) | instskip(SKIP_1) | instid1(VALU_DEP_2)
	v_cndmask_b32_e64 v144, v69, v85, s14
	v_cndmask_b32_e64 v145, v70, v134, s14
	v_add_co_u32 v146, s15, 0x200, v144
	s_delay_alu instid0(VALU_DEP_1) | instskip(SKIP_1) | instid1(VALU_DEP_3)
	v_add_co_ci_u32_e64 v147, s15, 0, v145, s15
	v_cmp_ne_u32_e64 s15, 1, v135
	v_cndmask_b32_e64 v85, v85, v146, s14
	v_cndmask_b32_e32 v69, v69, v146, vcc_lo
	s_delay_alu instid0(VALU_DEP_4)
	v_cndmask_b32_e64 v134, v134, v147, s14
	v_cndmask_b32_e32 v70, v70, v147, vcc_lo
	s_and_b32 vcc_lo, exec_lo, s15
	s_mov_b64 s[14:15], 1
	s_waitcnt vmcnt(0)
	global_store_b128 v[144:145], v[8:11], off glc slc dlc
	s_cbranch_vccz .LBB2_1712
; %bb.1713:                             ;   in Loop: Header=BB2_1711 Depth=4
	v_add_co_u32 v69, vcc_lo, v69, v101
	v_sub_nc_u32_e32 v15, v15, v100
	v_add_co_ci_u32_e32 v70, vcc_lo, v70, v112, vcc_lo
	v_add_co_u32 v85, vcc_lo, v85, v101
	v_add_co_ci_u32_e32 v134, vcc_lo, v134, v112, vcc_lo
	s_delay_alu instid0(VALU_DEP_4) | instskip(SKIP_1) | instid1(VALU_DEP_1)
	v_cmp_gt_i32_e32 vcc_lo, 16, v15
	v_add_co_u32 v66, s14, v114, v66
	v_add_co_ci_u32_e64 v67, s14, v115, v67, s14
	v_sub_nc_u32_e32 v84, v84, v99
	s_or_b32 s24, vcc_lo, s24
	s_delay_alu instid0(SALU_CYCLE_1)
	s_and_not1_b32 exec_lo, exec_lo, s24
	s_cbranch_execnz .LBB2_1711
; %bb.1714:                             ;   in Loop: Header=BB2_1616 Depth=3
	s_or_b32 exec_lo, exec_lo, s24
.LBB2_1715:                             ;   in Loop: Header=BB2_1616 Depth=3
	s_delay_alu instid0(SALU_CYCLE_1) | instskip(SKIP_4) | instid1(VALU_DEP_2)
	s_or_b32 exec_lo, exec_lo, s6
	v_and_b32_e32 v9, 14, v80
	v_mov_b32_e32 v15, 0
	s_mov_b32 s6, 0
	s_mov_b32 s14, exec_lo
                                        ; implicit-def: $vgpr70
                                        ; implicit-def: $vgpr8
	v_cndmask_b32_e64 v69, v81, v9, s13
	s_delay_alu instid0(VALU_DEP_1)
	v_cmpx_ne_u32_e32 0, v69
	s_cbranch_execz .LBB2_1717
; %bb.1716:                             ;   in Loop: Header=BB2_1616 Depth=3
	v_cmp_lt_i32_e32 vcc_lo, 0, v84
	v_sub_nc_u32_e32 v9, v81, v9
	s_mov_b32 s6, exec_lo
	v_cndmask_b32_e32 v8, 0, v99, vcc_lo
	s_delay_alu instid0(VALU_DEP_2) | instskip(NEXT) | instid1(VALU_DEP_2)
	v_cndmask_b32_e64 v9, 0, v9, s13
	v_sub_nc_u32_e32 v8, v8, v84
	s_delay_alu instid0(VALU_DEP_2) | instskip(NEXT) | instid1(VALU_DEP_2)
	v_add3_u32 v15, v82, v71, v9
	v_lshl_add_u32 v70, v8, 5, v83
	s_delay_alu instid0(VALU_DEP_1) | instskip(NEXT) | instid1(VALU_DEP_1)
	v_ashrrev_i32_e32 v8, 31, v70
	v_lshrrev_b32_e32 v8, 27, v8
	s_delay_alu instid0(VALU_DEP_1) | instskip(NEXT) | instid1(VALU_DEP_1)
	v_add_nc_u32_e32 v8, v70, v8
	v_ashrrev_i32_e32 v8, 5, v8
.LBB2_1717:                             ;   in Loop: Header=BB2_1616 Depth=3
	s_or_b32 exec_lo, exec_lo, s14
	s_delay_alu instid0(SALU_CYCLE_1)
	s_and_b32 s6, s6, exec_lo
.LBB2_1718:                             ;   in Loop: Header=BB2_1616 Depth=3
	s_or_b32 exec_lo, exec_lo, s37
.LBB2_1719:                             ;   in Loop: Header=BB2_1616 Depth=3
	s_and_saveexec_b32 s37, s6
	s_cbranch_execz .LBB2_1733
; %bb.1720:                             ;   in Loop: Header=BB2_1616 Depth=3
	v_ashrrev_i32_e32 v9, 31, v69
	s_mov_b32 s6, exec_lo
	s_delay_alu instid0(VALU_DEP_1) | instskip(NEXT) | instid1(VALU_DEP_1)
	v_lshrrev_b32_e32 v9, 24, v9
	v_add_nc_u32_e32 v9, v69, v9
	s_delay_alu instid0(VALU_DEP_1) | instskip(NEXT) | instid1(VALU_DEP_1)
	v_ashrrev_i32_e32 v80, 8, v9
	v_sub_nc_u32_e32 v71, v80, v8
	s_delay_alu instid0(VALU_DEP_1)
	v_cmpx_lt_i32_e32 0, v71
	s_cbranch_execz .LBB2_1725
; %bb.1721:                             ;   in Loop: Header=BB2_1616 Depth=3
	s_cbranch_execnz .LBB2_2616
; %bb.1722:                             ;   in Loop: Header=BB2_1616 Depth=3
	v_ashrrev_i32_e32 v9, 31, v70
	v_lshlrev_b32_e32 v8, 8, v8
	s_mov_b32 s14, 0
	ds_load_b128 v[81:84], v0
	v_lshrrev_b32_e32 v9, 27, v9
	s_delay_alu instid0(VALU_DEP_1) | instskip(NEXT) | instid1(VALU_DEP_1)
	v_add_nc_u32_e32 v9, v70, v9
	v_and_b32_e32 v11, 0x7fffffe0, v9
	ds_load_b64 v[9:10], v0
	v_sub_nc_u32_e32 v11, v70, v11
	s_delay_alu instid0(VALU_DEP_1) | instskip(NEXT) | instid1(VALU_DEP_1)
	v_lshlrev_b32_e32 v11, 1, v11
	v_add3_u32 v66, v11, v15, v8
	s_delay_alu instid0(VALU_DEP_1) | instskip(SKIP_2) | instid1(VALU_DEP_2)
	v_ashrrev_i32_e32 v67, 31, v66
	s_waitcnt lgkmcnt(0)
	v_add_co_u32 v8, vcc_lo, v9, v66
	v_add_co_ci_u32_e32 v9, vcc_lo, v10, v67, vcc_lo
	v_add_co_u32 v10, vcc_lo, v81, v66
	v_add_co_ci_u32_e32 v11, vcc_lo, v82, v67, vcc_lo
	;; [unrolled: 2-line block ×3, first 2 shown]
	s_set_inst_prefetch_distance 0x1
.LBB2_1723:                             ;   Parent Loop BB2_51 Depth=1
                                        ;     Parent Loop BB2_1614 Depth=2
                                        ;       Parent Loop BB2_1616 Depth=3
                                        ; =>      This Inner Loop Header: Depth=4
	s_clause 0x3
	flat_load_u16 v81, v[8:9] slc dlc
	flat_load_u16 v82, v[8:9] offset:64 slc dlc
	flat_load_u16 v83, v[8:9] offset:128 slc dlc
	;; [unrolled: 1-line block ×3, first 2 shown]
	v_sub_nc_u32_e32 v71, v71, v99
	v_add_co_u32 v8, vcc_lo, v8, v117
	v_add_co_ci_u32_e32 v9, vcc_lo, v9, v118, vcc_lo
	s_delay_alu instid0(VALU_DEP_3)
	v_cmp_gt_i32_e32 vcc_lo, 1, v71
	s_waitcnt vmcnt(3) lgkmcnt(3)
	flat_store_b16 v[10:11], v81 glc slc dlc
	s_waitcnt vmcnt(2) lgkmcnt(3)
	flat_store_b16 v[10:11], v82 offset:64 glc slc dlc
	s_waitcnt vmcnt(1) lgkmcnt(3)
	flat_store_b16 v[10:11], v83 offset:128 glc slc dlc
	;; [unrolled: 2-line block ×3, first 2 shown]
	s_clause 0x3
	flat_store_b16 v[66:67], v81 glc slc dlc
	flat_store_b16 v[66:67], v82 offset:64 glc slc dlc
	flat_store_b16 v[66:67], v83 offset:128 glc slc dlc
	;; [unrolled: 1-line block ×3, first 2 shown]
	v_add_co_u32 v10, s13, v10, v117
	s_delay_alu instid0(VALU_DEP_1) | instskip(SKIP_1) | instid1(VALU_DEP_1)
	v_add_co_ci_u32_e64 v11, s13, v11, v118, s13
	v_add_co_u32 v66, s13, v66, v117
	v_add_co_ci_u32_e64 v67, s13, v67, v118, s13
	s_or_b32 s14, vcc_lo, s14
	s_delay_alu instid0(SALU_CYCLE_1)
	s_and_not1_b32 exec_lo, exec_lo, s14
	s_cbranch_execnz .LBB2_1723
; %bb.1724:                             ;   in Loop: Header=BB2_1616 Depth=3
	s_set_inst_prefetch_distance 0x2
	s_or_b32 exec_lo, exec_lo, s14
.LBB2_1725:                             ;   in Loop: Header=BB2_1616 Depth=3
	s_delay_alu instid0(SALU_CYCLE_1) | instskip(SKIP_2) | instid1(VALU_DEP_1)
	s_or_b32 exec_lo, exec_lo, s6
	v_lshlrev_b32_e32 v8, 8, v80
	s_mov_b32 s6, exec_lo
	v_cmpx_ne_u32_e64 v69, v8
	s_cbranch_execz .LBB2_1732
; %bb.1726:                             ;   in Loop: Header=BB2_1616 Depth=3
	v_ashrrev_i32_e32 v9, 31, v70
	v_lshlrev_b32_e32 v10, 5, v71
	s_delay_alu instid0(VALU_DEP_2) | instskip(NEXT) | instid1(VALU_DEP_1)
	v_lshrrev_b32_e32 v9, 27, v9
	v_add_nc_u32_e32 v9, v70, v9
	s_delay_alu instid0(VALU_DEP_1) | instskip(NEXT) | instid1(VALU_DEP_1)
	v_and_b32_e32 v9, 0xffffffe0, v9
	v_sub_nc_u32_e32 v9, v70, v9
	s_delay_alu instid0(VALU_DEP_1) | instskip(NEXT) | instid1(VALU_DEP_1)
	v_sub_nc_u32_e32 v9, v9, v10
	v_ashrrev_i32_e32 v10, 31, v9
	s_delay_alu instid0(VALU_DEP_1) | instskip(NEXT) | instid1(VALU_DEP_1)
	v_lshrrev_b32_e32 v10, 27, v10
	v_add_nc_u32_e32 v10, v9, v10
	s_delay_alu instid0(VALU_DEP_1) | instskip(SKIP_1) | instid1(VALU_DEP_2)
	v_and_b32_e32 v11, 0x7fffffe0, v10
	v_lshlrev_b32_e32 v10, 1, v10
	v_sub_nc_u32_e32 v9, v9, v11
	s_delay_alu instid0(VALU_DEP_2) | instskip(NEXT) | instid1(VALU_DEP_2)
	v_and_b32_e32 v10, 0xffffffc0, v10
	v_lshlrev_b32_e32 v9, 1, v9
	s_delay_alu instid0(VALU_DEP_1) | instskip(NEXT) | instid1(VALU_DEP_1)
	v_add3_u32 v8, v10, v9, v8
	v_sub_nc_u32_e32 v10, v69, v8
	s_delay_alu instid0(VALU_DEP_1)
	v_cmp_lt_i32_e32 vcc_lo, 1, v10
	s_and_b32 exec_lo, exec_lo, vcc_lo
	s_cbranch_execz .LBB2_1732
; %bb.1727:                             ;   in Loop: Header=BB2_1616 Depth=3
	s_cbranch_execnz .LBB2_2652
; %bb.1728:                             ;   in Loop: Header=BB2_1616 Depth=3
	ds_load_b64 v[66:67], v0
	ds_load_b128 v[80:83], v0
	v_add_nc_u32_e32 v69, v8, v15
	s_mov_b32 s24, 0
	s_delay_alu instid0(VALU_DEP_1) | instskip(SKIP_2) | instid1(VALU_DEP_2)
	v_ashrrev_i32_e32 v70, 31, v69
	s_waitcnt lgkmcnt(1)
	v_add_co_u32 v8, vcc_lo, v66, v69
	v_add_co_ci_u32_e32 v9, vcc_lo, v67, v70, vcc_lo
	s_waitcnt lgkmcnt(0)
	v_add_co_u32 v11, vcc_lo, v80, v69
	v_add_co_ci_u32_e32 v15, vcc_lo, v81, v70, vcc_lo
	v_add_co_u32 v66, vcc_lo, v82, v69
	v_add_co_ci_u32_e32 v67, vcc_lo, v83, v70, vcc_lo
	s_set_inst_prefetch_distance 0x1
.LBB2_1729:                             ;   Parent Loop BB2_51 Depth=1
                                        ;     Parent Loop BB2_1614 Depth=2
                                        ;       Parent Loop BB2_1616 Depth=3
                                        ; =>      This Loop Header: Depth=4
                                        ;           Child Loop BB2_1730 Depth 5
	flat_load_u16 v69, v[8:9] slc dlc
	s_mov_b64 s[14:15], 0
	s_mov_b32 s13, -1
.LBB2_1730:                             ;   Parent Loop BB2_51 Depth=1
                                        ;     Parent Loop BB2_1614 Depth=2
                                        ;       Parent Loop BB2_1616 Depth=3
                                        ;         Parent Loop BB2_1729 Depth=4
                                        ; =>        This Inner Loop Header: Depth=5
	s_cmp_eq_u32 s14, 0
	v_cndmask_b32_e64 v80, 0, 1, s13
	s_cselect_b32 vcc_lo, -1, 0
	s_cmp_eq_u32 s14, 1
	s_cselect_b32 s13, -1, 0
	s_delay_alu instid0(SALU_CYCLE_1) | instskip(SKIP_1) | instid1(VALU_DEP_2)
	v_cndmask_b32_e64 v70, v11, v66, s13
	v_cndmask_b32_e64 v71, v15, v67, s13
	v_add_co_u32 v81, s14, v70, 64
	s_delay_alu instid0(VALU_DEP_1) | instskip(SKIP_1) | instid1(VALU_DEP_3)
	v_add_co_ci_u32_e64 v82, s14, 0, v71, s14
	v_cmp_ne_u32_e64 s14, 1, v80
	v_cndmask_b32_e64 v66, v66, v81, s13
	v_cndmask_b32_e32 v11, v11, v81, vcc_lo
	s_delay_alu instid0(VALU_DEP_4)
	v_cndmask_b32_e64 v67, v67, v82, s13
	v_cndmask_b32_e32 v15, v15, v82, vcc_lo
	s_mov_b32 s13, 0
	s_and_b32 vcc_lo, exec_lo, s14
	s_mov_b64 s[14:15], 1
	s_waitcnt vmcnt(0) lgkmcnt(0)
	flat_store_b16 v[70:71], v69 glc slc dlc
	s_cbranch_vccz .LBB2_1730
; %bb.1731:                             ;   in Loop: Header=BB2_1729 Depth=4
	v_add_co_u32 v11, vcc_lo, v11, v116
	v_sub_nc_u32_e32 v10, v10, v113
	v_add_co_ci_u32_e32 v15, vcc_lo, v15, v119, vcc_lo
	v_add_co_u32 v66, vcc_lo, v66, v116
	v_add_co_ci_u32_e32 v67, vcc_lo, v67, v119, vcc_lo
	s_delay_alu instid0(VALU_DEP_4) | instskip(SKIP_1) | instid1(VALU_DEP_1)
	v_cmp_gt_i32_e32 vcc_lo, 2, v10
	v_add_co_u32 v8, s13, v128, v8
	v_add_co_ci_u32_e64 v9, s13, v129, v9, s13
	s_or_b32 s24, vcc_lo, s24
	s_delay_alu instid0(SALU_CYCLE_1)
	s_and_not1_b32 exec_lo, exec_lo, s24
	s_cbranch_execnz .LBB2_1729
.LBB2_1732:                             ;   in Loop: Header=BB2_1616 Depth=3
	s_set_inst_prefetch_distance 0x2
	s_or_b32 exec_lo, exec_lo, s6
.LBB2_1733:                             ;   in Loop: Header=BB2_1616 Depth=3
	s_delay_alu instid0(SALU_CYCLE_1)
	s_or_b32 exec_lo, exec_lo, s37
	s_mov_b32 s6, 0
.LBB2_1734:                             ;   in Loop: Header=BB2_1616 Depth=3
	s_delay_alu instid0(SALU_CYCLE_1)
	s_and_b32 vcc_lo, exec_lo, s6
	s_cbranch_vccz .LBB2_1769
; %bb.1735:                             ;   in Loop: Header=BB2_1616 Depth=3
	s_mov_b32 s6, -1
	s_and_saveexec_b32 s13, vcc_hi
	s_cbranch_execz .LBB2_1737
; %bb.1736:                             ;   in Loop: Header=BB2_1616 Depth=3
	ds_load_b32 v8, v0 offset:720
	s_waitcnt lgkmcnt(0)
	v_and_b32_e32 v8, 15, v8
	s_delay_alu instid0(VALU_DEP_1)
	v_cmp_eq_u32_e32 vcc_lo, 0, v8
	s_or_not1_b32 s6, vcc_lo, exec_lo
.LBB2_1737:                             ;   in Loop: Header=BB2_1616 Depth=3
	s_or_b32 exec_lo, exec_lo, s13
	s_and_saveexec_b32 s13, s5
	s_cbranch_execz .LBB2_1739
; %bb.1738:                             ;   in Loop: Header=BB2_1616 Depth=3
	ds_load_b32 v8, v0 offset:784
	s_waitcnt lgkmcnt(0)
	v_and_b32_e32 v8, 15, v8
	s_delay_alu instid0(VALU_DEP_1) | instskip(SKIP_3) | instid1(SALU_CYCLE_1)
	v_cmp_eq_u32_e32 vcc_lo, 0, v8
	s_and_b32 s14, s6, vcc_lo
	s_and_not1_b32 s6, s6, exec_lo
	s_and_b32 s14, s14, exec_lo
	s_or_b32 s6, s6, s14
.LBB2_1739:                             ;   in Loop: Header=BB2_1616 Depth=3
	s_or_b32 exec_lo, exec_lo, s13
	s_xor_b32 s6, s6, -1
	v_mov_b32_e32 v15, 0
	v_cndmask_b32_e64 v8, 0, 1, s6
	;;#ASMSTART
	;;#ASMEND
	s_delay_alu instid0(VALU_DEP_1)
	v_cmp_ne_u32_e32 vcc_lo, 0, v8
	s_mov_b32 s13, -1
	s_cbranch_vccz .LBB2_1741
; %bb.1740:                             ;   in Loop: Header=BB2_1616 Depth=3
	v_mov_b32_e32 v66, v0
	v_mov_b32_e32 v70, v97
	s_branch .LBB2_1756
.LBB2_1741:                             ;   in Loop: Header=BB2_1616 Depth=3
	v_ashrrev_i32_e32 v8, 31, v2
	s_mov_b32 s6, exec_lo
	s_delay_alu instid0(VALU_DEP_1) | instskip(NEXT) | instid1(VALU_DEP_1)
	v_lshrrev_b32_e32 v8, 22, v8
	v_add_nc_u32_e32 v8, v2, v8
	s_delay_alu instid0(VALU_DEP_1) | instskip(NEXT) | instid1(VALU_DEP_1)
	v_ashrrev_i32_e32 v15, 10, v8
	v_sub_nc_u32_e32 v67, v15, v97
	s_delay_alu instid0(VALU_DEP_1)
	v_cmpx_lt_i32_e32 0, v67
	s_cbranch_execz .LBB2_1746
; %bb.1742:                             ;   in Loop: Header=BB2_1616 Depth=3
	s_cbranch_execnz .LBB2_2636
; %bb.1743:                             ;   in Loop: Header=BB2_1616 Depth=3
	ds_load_b64 v[8:9], v0
	v_dual_mov_b32 v10, v38 :: v_dual_mov_b32 v11, v39
	s_mov_b32 s14, 0
.LBB2_1744:                             ;   Parent Loop BB2_51 Depth=1
                                        ;     Parent Loop BB2_1614 Depth=2
                                        ;       Parent Loop BB2_1616 Depth=3
                                        ; =>      This Inner Loop Header: Depth=4
	s_waitcnt lgkmcnt(0)
	s_delay_alu instid0(VALU_DEP_1) | instskip(NEXT) | instid1(VALU_DEP_2)
	v_add_co_u32 v69, vcc_lo, v8, v10
	v_add_co_ci_u32_e32 v70, vcc_lo, v9, v11, vcc_lo
	v_sub_nc_u32_e32 v67, v67, v99
	v_add_co_u32 v10, s13, v10, v102
	s_clause 0x1
	global_load_b128 v[80:83], v[69:70], off slc dlc
	global_load_b128 v[144:147], v[69:70], off offset:512 slc dlc
	v_add_co_ci_u32_e64 v11, s13, v11, v103, s13
	v_cmp_gt_i32_e32 vcc_lo, 1, v67
	s_waitcnt vmcnt(1)
	global_store_b128 v[69:70], v[80:83], off glc slc dlc
	s_waitcnt vmcnt(0)
	global_store_b128 v[69:70], v[144:147], off offset:512 glc slc dlc
	s_or_b32 s14, vcc_lo, s14
	s_delay_alu instid0(SALU_CYCLE_1)
	s_and_not1_b32 exec_lo, exec_lo, s14
	s_cbranch_execnz .LBB2_1744
; %bb.1745:                             ;   in Loop: Header=BB2_1616 Depth=3
	s_or_b32 exec_lo, exec_lo, s14
.LBB2_1746:                             ;   in Loop: Header=BB2_1616 Depth=3
	s_delay_alu instid0(SALU_CYCLE_1) | instskip(SKIP_3) | instid1(VALU_DEP_1)
	s_or_b32 exec_lo, exec_lo, s6
	v_dual_mov_b32 v15, 0 :: v_dual_lshlrev_b32 v10, 10, v15
	s_mov_b32 s13, 0
	s_mov_b32 s6, exec_lo
                                        ; implicit-def: $vgpr66
                                        ; implicit-def: $vgpr70
	v_cmpx_ne_u32_e64 v2, v10
	s_cbranch_execz .LBB2_1755
; %bb.1747:                             ;   in Loop: Header=BB2_1616 Depth=3
	v_lshlrev_b32_e32 v8, 5, v67
	v_sub_nc_u32_e32 v15, v2, v10
	s_mov_b32 s15, exec_lo
	s_delay_alu instid0(VALU_DEP_2) | instskip(NEXT) | instid1(VALU_DEP_2)
	v_sub_nc_u32_e32 v8, v98, v8
	v_ashrrev_i32_e32 v11, 31, v15
	s_delay_alu instid0(VALU_DEP_2) | instskip(NEXT) | instid1(VALU_DEP_2)
	v_ashrrev_i32_e32 v9, 31, v8
	v_lshrrev_b32_e32 v11, 23, v11
	s_delay_alu instid0(VALU_DEP_2) | instskip(NEXT) | instid1(VALU_DEP_2)
	v_lshrrev_b32_e32 v9, 27, v9
	v_add_nc_u32_e32 v70, v15, v11
	s_delay_alu instid0(VALU_DEP_2) | instskip(NEXT) | instid1(VALU_DEP_2)
	v_add_nc_u32_e32 v9, v8, v9
	v_and_b32_e32 v11, 0xfffffe00, v70
	v_ashrrev_i32_e32 v70, 9, v70
	s_delay_alu instid0(VALU_DEP_3) | instskip(NEXT) | instid1(VALU_DEP_3)
	v_and_b32_e32 v66, 0xffffffe0, v9
	v_sub_nc_u32_e32 v69, v15, v11
	s_delay_alu instid0(VALU_DEP_2) | instskip(SKIP_1) | instid1(VALU_DEP_3)
	v_sub_nc_u32_e32 v67, v8, v66
	v_ashrrev_i32_e32 v8, 5, v9
	v_cmp_lt_i32_e32 vcc_lo, 15, v69
	s_delay_alu instid0(VALU_DEP_3) | instskip(NEXT) | instid1(VALU_DEP_1)
	v_lshlrev_b32_e32 v9, 4, v67
	v_lshl_add_u32 v66, v8, 9, v9
	v_add_co_ci_u32_e64 v9, s13, 0, v70, vcc_lo
	s_delay_alu instid0(VALU_DEP_2) | instskip(NEXT) | instid1(VALU_DEP_2)
	v_sub_nc_u32_e32 v15, v15, v66
	v_sub_nc_u32_e32 v71, v9, v8
	s_delay_alu instid0(VALU_DEP_2)
	v_cmpx_lt_i32_e32 15, v15
	s_cbranch_execz .LBB2_1752
; %bb.1748:                             ;   in Loop: Header=BB2_1616 Depth=3
	s_cbranch_execnz .LBB2_2666
; %bb.1749:                             ;   in Loop: Header=BB2_1616 Depth=3
	ds_load_b64 v[8:9], v0
	v_add_nc_u32_e32 v66, v66, v10
	s_mov_b32 s24, 0
	s_delay_alu instid0(VALU_DEP_1)
	v_ashrrev_i32_e32 v70, 31, v66
.LBB2_1750:                             ;   Parent Loop BB2_51 Depth=1
                                        ;     Parent Loop BB2_1614 Depth=2
                                        ;       Parent Loop BB2_1616 Depth=3
                                        ; =>      This Inner Loop Header: Depth=4
	s_waitcnt lgkmcnt(0)
	v_add_co_u32 v84, s13, v8, v66
	s_delay_alu instid0(VALU_DEP_1)
	v_add_co_ci_u32_e64 v85, s13, v9, v70, s13
	v_sub_nc_u32_e32 v15, v15, v100
	v_add_co_u32 v66, s14, v66, v114
	global_load_b128 v[80:83], v[84:85], off slc dlc
	v_sub_nc_u32_e32 v71, v71, v99
	v_cmp_gt_i32_e64 s13, 16, v15
	v_add_co_ci_u32_e64 v70, s14, v70, v115, s14
	s_delay_alu instid0(VALU_DEP_2)
	s_or_b32 s24, s13, s24
	s_waitcnt vmcnt(0)
	global_store_b128 v[84:85], v[80:83], off glc slc dlc
	s_and_not1_b32 exec_lo, exec_lo, s24
	s_cbranch_execnz .LBB2_1750
; %bb.1751:                             ;   in Loop: Header=BB2_1616 Depth=3
	s_or_b32 exec_lo, exec_lo, s24
.LBB2_1752:                             ;   in Loop: Header=BB2_1616 Depth=3
	s_delay_alu instid0(SALU_CYCLE_1) | instskip(SKIP_3) | instid1(VALU_DEP_1)
	s_or_b32 exec_lo, exec_lo, s15
	v_dual_mov_b32 v15, 0 :: v_dual_and_b32 v8, 14, v2
	s_mov_b32 s14, 0
	s_mov_b32 s15, exec_lo
                                        ; implicit-def: $vgpr66
                                        ; implicit-def: $vgpr70
	v_cndmask_b32_e32 v2, v69, v8, vcc_lo
	s_delay_alu instid0(VALU_DEP_1)
	v_cmpx_ne_u32_e32 0, v2
; %bb.1753:                             ;   in Loop: Header=BB2_1616 Depth=3
	v_cmp_lt_i32_e64 s13, 0, v71
	v_sub_nc_u32_e32 v8, v69, v8
	s_mov_b32 s14, exec_lo
	s_delay_alu instid0(VALU_DEP_2) | instskip(NEXT) | instid1(VALU_DEP_1)
	v_cndmask_b32_e64 v9, 0, v99, s13
	v_sub_nc_u32_e32 v9, v9, v71
	s_delay_alu instid0(VALU_DEP_1) | instskip(NEXT) | instid1(VALU_DEP_1)
	v_lshl_add_u32 v66, v9, 5, v67
	v_ashrrev_i32_e32 v9, 31, v66
	s_delay_alu instid0(VALU_DEP_1) | instskip(NEXT) | instid1(VALU_DEP_1)
	v_lshrrev_b32_e32 v9, 27, v9
	v_dual_cndmask_b32 v8, 0, v8 :: v_dual_add_nc_u32 v9, v66, v9
	s_delay_alu instid0(VALU_DEP_1) | instskip(NEXT) | instid1(VALU_DEP_2)
	v_add3_u32 v15, v11, v10, v8
	v_ashrrev_i32_e32 v70, 5, v9
; %bb.1754:                             ;   in Loop: Header=BB2_1616 Depth=3
	s_or_b32 exec_lo, exec_lo, s15
	s_delay_alu instid0(SALU_CYCLE_1)
	s_and_b32 s13, s14, exec_lo
.LBB2_1755:                             ;   in Loop: Header=BB2_1616 Depth=3
	s_or_b32 exec_lo, exec_lo, s6
.LBB2_1756:                             ;   in Loop: Header=BB2_1616 Depth=3
	s_and_saveexec_b32 s14, s13
	s_cbranch_execz .LBB2_1768
; %bb.1757:                             ;   in Loop: Header=BB2_1616 Depth=3
	v_ashrrev_i32_e32 v8, 31, v2
	s_mov_b32 s6, exec_lo
	s_delay_alu instid0(VALU_DEP_1) | instskip(NEXT) | instid1(VALU_DEP_1)
	v_lshrrev_b32_e32 v8, 24, v8
	v_add_nc_u32_e32 v8, v2, v8
	s_delay_alu instid0(VALU_DEP_1) | instskip(NEXT) | instid1(VALU_DEP_1)
	v_ashrrev_i32_e32 v69, 8, v8
	v_sub_nc_u32_e32 v67, v69, v70
	s_delay_alu instid0(VALU_DEP_1)
	v_cmpx_lt_i32_e32 0, v67
	s_cbranch_execz .LBB2_1762
; %bb.1758:                             ;   in Loop: Header=BB2_1616 Depth=3
	s_cbranch_execnz .LBB2_2624
; %bb.1759:                             ;   in Loop: Header=BB2_1616 Depth=3
	v_ashrrev_i32_e32 v8, 31, v66
	s_mov_b32 s15, 0
	s_delay_alu instid0(VALU_DEP_1) | instskip(NEXT) | instid1(VALU_DEP_1)
	v_lshrrev_b32_e32 v8, 27, v8
	v_add_nc_u32_e32 v8, v66, v8
	s_delay_alu instid0(VALU_DEP_1) | instskip(SKIP_3) | instid1(VALU_DEP_1)
	v_and_b32_e32 v10, 0x7fffffe0, v8
	ds_load_b64 v[8:9], v0
	v_lshlrev_b32_e32 v11, 8, v70
	v_sub_nc_u32_e32 v10, v66, v10
	v_lshlrev_b32_e32 v10, 1, v10
	s_delay_alu instid0(VALU_DEP_1) | instskip(NEXT) | instid1(VALU_DEP_1)
	v_add3_u32 v70, v10, v15, v11
	v_ashrrev_i32_e32 v71, 31, v70
	s_waitcnt lgkmcnt(0)
	v_dual_mov_b32 v11, v9 :: v_dual_mov_b32 v10, v8
	s_set_inst_prefetch_distance 0x1
.LBB2_1760:                             ;   Parent Loop BB2_51 Depth=1
                                        ;     Parent Loop BB2_1614 Depth=2
                                        ;       Parent Loop BB2_1616 Depth=3
                                        ; =>      This Inner Loop Header: Depth=4
	s_delay_alu instid0(VALU_DEP_1) | instskip(NEXT) | instid1(VALU_DEP_2)
	v_add_co_u32 v80, vcc_lo, v70, v10
	v_add_co_ci_u32_e32 v81, vcc_lo, v71, v11, vcc_lo
	v_sub_nc_u32_e32 v67, v67, v99
	s_clause 0x3
	flat_load_u16 v82, v[80:81] slc dlc
	flat_load_u16 v83, v[80:81] offset:64 slc dlc
	flat_load_u16 v84, v[80:81] offset:128 slc dlc
	;; [unrolled: 1-line block ×3, first 2 shown]
	v_add_co_u32 v80, vcc_lo, v70, v8
	v_add_co_ci_u32_e32 v81, vcc_lo, v71, v9, vcc_lo
	v_add_co_u32 v10, vcc_lo, v10, v117
	v_add_co_ci_u32_e32 v11, vcc_lo, v11, v118, vcc_lo
	v_add_co_u32 v8, vcc_lo, v8, v117
	v_cmp_gt_i32_e64 s13, 1, v67
	v_add_co_ci_u32_e32 v9, vcc_lo, v9, v118, vcc_lo
	s_waitcnt vmcnt(3) lgkmcnt(3)
	flat_store_b16 v[80:81], v82 glc slc dlc
	s_waitcnt vmcnt(2) lgkmcnt(3)
	flat_store_b16 v[80:81], v83 offset:64 glc slc dlc
	s_waitcnt vmcnt(1) lgkmcnt(3)
	flat_store_b16 v[80:81], v84 offset:128 glc slc dlc
	;; [unrolled: 2-line block ×3, first 2 shown]
	s_or_b32 s15, s13, s15
	s_delay_alu instid0(SALU_CYCLE_1)
	s_and_not1_b32 exec_lo, exec_lo, s15
	s_cbranch_execnz .LBB2_1760
; %bb.1761:                             ;   in Loop: Header=BB2_1616 Depth=3
	s_set_inst_prefetch_distance 0x2
	s_or_b32 exec_lo, exec_lo, s15
.LBB2_1762:                             ;   in Loop: Header=BB2_1616 Depth=3
	s_delay_alu instid0(SALU_CYCLE_1) | instskip(SKIP_2) | instid1(VALU_DEP_1)
	s_or_b32 exec_lo, exec_lo, s6
	v_lshlrev_b32_e32 v8, 8, v69
	s_mov_b32 s6, exec_lo
	v_cmpx_ne_u32_e64 v2, v8
	s_cbranch_execz .LBB2_1767
; %bb.1763:                             ;   in Loop: Header=BB2_1616 Depth=3
	v_ashrrev_i32_e32 v9, 31, v66
	v_lshlrev_b32_e32 v10, 5, v67
	s_delay_alu instid0(VALU_DEP_2) | instskip(NEXT) | instid1(VALU_DEP_1)
	v_lshrrev_b32_e32 v9, 27, v9
	v_add_nc_u32_e32 v9, v66, v9
	s_delay_alu instid0(VALU_DEP_1) | instskip(NEXT) | instid1(VALU_DEP_1)
	v_and_b32_e32 v9, 0xffffffe0, v9
	v_sub_nc_u32_e32 v9, v66, v9
	s_delay_alu instid0(VALU_DEP_1) | instskip(NEXT) | instid1(VALU_DEP_1)
	v_sub_nc_u32_e32 v9, v9, v10
	v_ashrrev_i32_e32 v10, 31, v9
	s_delay_alu instid0(VALU_DEP_1) | instskip(NEXT) | instid1(VALU_DEP_1)
	v_lshrrev_b32_e32 v10, 27, v10
	v_add_nc_u32_e32 v10, v9, v10
	s_delay_alu instid0(VALU_DEP_1) | instskip(SKIP_1) | instid1(VALU_DEP_2)
	v_and_b32_e32 v11, 0x7fffffe0, v10
	v_lshlrev_b32_e32 v10, 1, v10
	v_sub_nc_u32_e32 v9, v9, v11
	s_delay_alu instid0(VALU_DEP_2) | instskip(NEXT) | instid1(VALU_DEP_2)
	v_and_b32_e32 v10, 0xffffffc0, v10
	v_lshlrev_b32_e32 v9, 1, v9
	s_delay_alu instid0(VALU_DEP_1) | instskip(NEXT) | instid1(VALU_DEP_1)
	v_add3_u32 v10, v10, v9, v8
	v_sub_nc_u32_e32 v2, v2, v10
	s_delay_alu instid0(VALU_DEP_1)
	v_cmp_lt_i32_e32 vcc_lo, 1, v2
	s_and_b32 exec_lo, exec_lo, vcc_lo
	s_cbranch_execz .LBB2_1767
; %bb.1764:                             ;   in Loop: Header=BB2_1616 Depth=3
	s_cbranch_execnz .LBB2_2662
; %bb.1765:                             ;   in Loop: Header=BB2_1616 Depth=3
	ds_load_b64 v[8:9], v0
	v_add_nc_u32_e32 v10, v10, v15
	s_mov_b32 s15, 0
	s_delay_alu instid0(VALU_DEP_1)
	v_ashrrev_i32_e32 v11, 31, v10
.LBB2_1766:                             ;   Parent Loop BB2_51 Depth=1
                                        ;     Parent Loop BB2_1614 Depth=2
                                        ;       Parent Loop BB2_1616 Depth=3
                                        ; =>      This Inner Loop Header: Depth=4
	s_waitcnt lgkmcnt(0)
	v_add_co_u32 v66, vcc_lo, v8, v10
	s_delay_alu instid0(VALU_DEP_2)
	v_add_co_ci_u32_e32 v67, vcc_lo, v9, v11, vcc_lo
	v_sub_nc_u32_e32 v2, v2, v113
	v_add_co_u32 v10, s13, v10, v128
	flat_load_u16 v15, v[66:67] slc dlc
	v_add_co_ci_u32_e64 v11, s13, v11, v129, s13
	v_cmp_gt_i32_e32 vcc_lo, 2, v2
	s_or_b32 s15, vcc_lo, s15
	s_waitcnt vmcnt(0) lgkmcnt(0)
	flat_store_b16 v[66:67], v15 glc slc dlc
	s_and_not1_b32 exec_lo, exec_lo, s15
	s_cbranch_execnz .LBB2_1766
.LBB2_1767:                             ;   in Loop: Header=BB2_1616 Depth=3
	s_or_b32 exec_lo, exec_lo, s6
.LBB2_1768:                             ;   in Loop: Header=BB2_1616 Depth=3
	s_delay_alu instid0(SALU_CYCLE_1)
	s_or_b32 exec_lo, exec_lo, s14
.LBB2_1769:                             ;   in Loop: Header=BB2_1616 Depth=3
	s_and_saveexec_b32 s13, s3
	s_cbranch_execz .LBB2_1791
; %bb.1770:                             ;   in Loop: Header=BB2_1616 Depth=3
	s_and_saveexec_b32 s6, s4
	s_delay_alu instid0(SALU_CYCLE_1)
	s_xor_b32 s6, exec_lo, s6
	s_cbranch_execz .LBB2_1788
; %bb.1771:                             ;   in Loop: Header=BB2_1616 Depth=3
	s_and_saveexec_b32 s14, s1
	s_cbranch_execz .LBB2_1787
; %bb.1772:                             ;   in Loop: Header=BB2_1616 Depth=3
	s_mov_b32 s24, exec_lo
	s_mov_b32 s15, exec_lo
	v_mbcnt_lo_u32_b32 v2, s24, 0
	s_waitcnt lgkmcnt(0)
	s_waitcnt_vscnt null, 0x0
	buffer_gl1_inv
	buffer_gl0_inv
	v_cmpx_eq_u32_e32 0, v2
	s_cbranch_execz .LBB2_1774
; %bb.1773:                             ;   in Loop: Header=BB2_1616 Depth=3
	s_bcnt1_i32_b32 s24, s24
	s_delay_alu instid0(SALU_CYCLE_1)
	v_mov_b32_e32 v2, s24
	ds_add_u64 v0, v[2:3]
	s_cbranch_execnz .LBB2_2610
.LBB2_1774:                             ;   in Loop: Header=BB2_1616 Depth=3
	s_or_b32 exec_lo, exec_lo, s15
	s_cbranch_execnz .LBB2_2588
; %bb.1775:                             ;   in Loop: Header=BB2_1616 Depth=3
	ds_load_b64 v[8:9], v0
	v_add_co_u32 v32, vcc_lo, v32, v99
	v_add_co_ci_u32_e32 v33, vcc_lo, 0, v33, vcc_lo
	s_mov_b32 s15, exec_lo
	s_waitcnt lgkmcnt(0)
	s_delay_alu instid0(VALU_DEP_1)
	v_cmpx_lt_u64_e64 v[8:9], v[32:33]
	s_cbranch_execz .LBB2_1786
; %bb.1776:                             ;   in Loop: Header=BB2_1616 Depth=3
	s_mov_b32 s24, 0
	s_mov_b32 s39, 0
                                        ; implicit-def: $sgpr37
                                        ; implicit-def: $sgpr38
	s_branch .LBB2_1778
.LBB2_1777:                             ;   in Loop: Header=BB2_1778 Depth=4
	s_or_b32 exec_lo, exec_lo, s41
	s_delay_alu instid0(SALU_CYCLE_1) | instskip(NEXT) | instid1(SALU_CYCLE_1)
	s_and_b32 vcc_lo, exec_lo, vcc_lo
	s_or_b32 s24, vcc_lo, s24
	s_and_not1_b32 vcc_lo, s37, exec_lo
	s_and_b32 s37, s38, exec_lo
	s_delay_alu instid0(SALU_CYCLE_1)
	s_or_b32 s37, vcc_lo, s37
	s_and_not1_b32 exec_lo, exec_lo, s24
	s_cbranch_execz .LBB2_1784
.LBB2_1778:                             ;   Parent Loop BB2_51 Depth=1
                                        ;     Parent Loop BB2_1614 Depth=2
                                        ;       Parent Loop BB2_1616 Depth=3
                                        ; =>      This Inner Loop Header: Depth=4
	s_add_i32 s39, s39, 1
                                        ; implicit-def: $sgpr41
	s_delay_alu instid0(SALU_CYCLE_1) | instskip(SKIP_1) | instid1(SALU_CYCLE_1)
	s_cmpk_lg_i32 s39, 0x2710
	s_cselect_b32 s40, -1, 0
	s_and_b32 vcc_lo, exec_lo, s40
	s_cbranch_vccnz .LBB2_1781
; %bb.1779:                             ;   in Loop: Header=BB2_1778 Depth=4
	s_cbranch_execnz .LBB2_2650
; %bb.1780:                             ;   in Loop: Header=BB2_1778 Depth=4
	ds_load_b64 v[8:9], v0
	s_and_not1_b32 s40, s40, exec_lo
	s_mov_b32 s39, 0
	s_mov_b32 s41, -1
	s_waitcnt lgkmcnt(0)
	flat_load_b32 v2, v[8:9] glc
	s_waitcnt vmcnt(0) lgkmcnt(0)
	buffer_gl1_inv
	buffer_gl0_inv
	v_cmp_eq_u32_e32 vcc_lo, 0, v2
	s_and_b32 vcc_lo, vcc_lo, exec_lo
	s_delay_alu instid0(SALU_CYCLE_1)
	s_or_b32 s40, s40, vcc_lo
.LBB2_1781:                             ;   in Loop: Header=BB2_1778 Depth=4
	s_and_not1_b32 s38, s38, exec_lo
	s_and_b32 s41, s41, exec_lo
	s_mov_b32 vcc_lo, -1
	s_or_b32 s38, s38, s41
	s_and_saveexec_b32 s41, s40
	s_cbranch_execz .LBB2_1777
; %bb.1782:                             ;   in Loop: Header=BB2_1778 Depth=4
	s_sleep 1
	s_cbranch_execnz .LBB2_2642
; %bb.1783:                             ;   in Loop: Header=BB2_1778 Depth=4
	ds_load_b64 v[8:9], v0
	s_and_not1_b32 s38, s38, exec_lo
	s_waitcnt lgkmcnt(0)
	v_cmp_ge_u64_e32 vcc_lo, v[8:9], v[32:33]
	s_or_not1_b32 vcc_lo, vcc_lo, exec_lo
	s_branch .LBB2_1777
.LBB2_1784:                             ;   in Loop: Header=BB2_1616 Depth=3
	s_or_b32 exec_lo, exec_lo, s24
	s_and_saveexec_b32 s24, s37
	s_delay_alu instid0(SALU_CYCLE_1)
	s_xor_b32 s24, exec_lo, s24
	s_cbranch_execz .LBB2_1786
; %bb.1785:                             ;   in Loop: Header=BB2_1616 Depth=3
	ds_store_b32 v0, v133
	s_cbranch_execnz .LBB2_2696
.LBB2_1786:                             ;   in Loop: Header=BB2_1616 Depth=3
	s_or_b32 exec_lo, exec_lo, s15
	;;#ASMSTART
	s_wakeup
	;;#ASMEND
.LBB2_1787:                             ;   in Loop: Header=BB2_1616 Depth=3
	s_or_b32 exec_lo, exec_lo, s14
.LBB2_1788:                             ;   in Loop: Header=BB2_1616 Depth=3
	s_and_not1_saveexec_b32 s6, s6
	s_cbranch_execz .LBB2_1790
; %bb.1789:                             ;   in Loop: Header=BB2_1616 Depth=3
	s_waitcnt lgkmcnt(0)
	s_waitcnt_vscnt null, 0x0
	buffer_gl1_inv
	buffer_gl0_inv
	s_barrier
.LBB2_1790:                             ;   in Loop: Header=BB2_1616 Depth=3
	s_or_b32 exec_lo, exec_lo, s6
.LBB2_1791:                             ;   in Loop: Header=BB2_1616 Depth=3
	s_delay_alu instid0(SALU_CYCLE_1) | instskip(SKIP_1) | instid1(SALU_CYCLE_1)
	s_or_b32 exec_lo, exec_lo, s13
                                        ; implicit-def: $vgpr2
	s_and_saveexec_b32 s6, s7
	s_xor_b32 s6, exec_lo, s6
	s_cbranch_execz .LBB2_1795
; %bb.1792:                             ;   in Loop: Header=BB2_1616 Depth=3
	v_and_b32_e32 v2, 16, v30
	v_cmp_lt_i32_e32 vcc_lo, 0, v13
	s_delay_alu instid0(VALU_DEP_2) | instskip(SKIP_1) | instid1(VALU_DEP_2)
	v_cmp_ne_u32_e64 s13, 0, v2
	v_and_b32_e32 v2, 16, v30
	s_and_b32 s14, s13, vcc_lo
	s_delay_alu instid0(SALU_CYCLE_1)
	s_and_saveexec_b32 s13, s14
	s_cbranch_execz .LBB2_1794
; %bb.1793:                             ;   in Loop: Header=BB2_1616 Depth=3
	v_mov_b32_e32 v2, 1
	s_waitcnt lgkmcnt(0)
	s_waitcnt_vscnt null, 0x0
	buffer_gl1_inv
	buffer_gl0_inv
.LBB2_1794:                             ;   in Loop: Header=BB2_1616 Depth=3
	s_or_b32 exec_lo, exec_lo, s13
.LBB2_1795:                             ;   in Loop: Header=BB2_1616 Depth=3
	s_and_not1_saveexec_b32 s13, s6
	s_cbranch_execz .LBB2_1817
; %bb.1796:                             ;   in Loop: Header=BB2_1616 Depth=3
	s_and_saveexec_b32 s6, s4
	s_delay_alu instid0(SALU_CYCLE_1)
	s_xor_b32 s6, exec_lo, s6
	s_cbranch_execz .LBB2_1814
; %bb.1797:                             ;   in Loop: Header=BB2_1616 Depth=3
	s_and_saveexec_b32 s14, s1
	s_cbranch_execz .LBB2_1813
; %bb.1798:                             ;   in Loop: Header=BB2_1616 Depth=3
	s_mov_b32 s24, exec_lo
	s_mov_b32 s15, exec_lo
	v_mbcnt_lo_u32_b32 v2, s24, 0
	;;#ASMSTART
	s_waitcnt lgkmcnt(0) vmcnt(0)
	;;#ASMEND
	s_delay_alu instid0(VALU_DEP_1)
	v_cmpx_eq_u32_e32 0, v2
	s_cbranch_execz .LBB2_1800
; %bb.1799:                             ;   in Loop: Header=BB2_1616 Depth=3
	s_bcnt1_i32_b32 s24, s24
	s_delay_alu instid0(SALU_CYCLE_1)
	v_mov_b32_e32 v2, s24
	ds_add_u64 v0, v[2:3]
	s_cbranch_execnz .LBB2_2612
.LBB2_1800:                             ;   in Loop: Header=BB2_1616 Depth=3
	s_or_b32 exec_lo, exec_lo, s15
	s_cbranch_execnz .LBB2_2592
; %bb.1801:                             ;   in Loop: Header=BB2_1616 Depth=3
	ds_load_b64 v[8:9], v0
	v_add_co_u32 v32, vcc_lo, v32, v99
	v_add_co_ci_u32_e32 v33, vcc_lo, 0, v33, vcc_lo
	s_mov_b32 s15, exec_lo
	s_waitcnt lgkmcnt(0)
	s_delay_alu instid0(VALU_DEP_1)
	v_cmpx_lt_u64_e64 v[8:9], v[32:33]
	s_cbranch_execz .LBB2_1812
; %bb.1802:                             ;   in Loop: Header=BB2_1616 Depth=3
	s_mov_b32 s24, 0
	s_mov_b32 s39, 0
                                        ; implicit-def: $sgpr37
                                        ; implicit-def: $sgpr38
	s_branch .LBB2_1804
.LBB2_1803:                             ;   in Loop: Header=BB2_1804 Depth=4
	s_or_b32 exec_lo, exec_lo, s41
	s_delay_alu instid0(SALU_CYCLE_1) | instskip(NEXT) | instid1(SALU_CYCLE_1)
	s_and_b32 vcc_lo, exec_lo, vcc_lo
	s_or_b32 s24, vcc_lo, s24
	s_and_not1_b32 vcc_lo, s37, exec_lo
	s_and_b32 s37, s38, exec_lo
	s_delay_alu instid0(SALU_CYCLE_1)
	s_or_b32 s37, vcc_lo, s37
	s_and_not1_b32 exec_lo, exec_lo, s24
	s_cbranch_execz .LBB2_1810
.LBB2_1804:                             ;   Parent Loop BB2_51 Depth=1
                                        ;     Parent Loop BB2_1614 Depth=2
                                        ;       Parent Loop BB2_1616 Depth=3
                                        ; =>      This Inner Loop Header: Depth=4
	s_add_i32 s39, s39, 1
                                        ; implicit-def: $sgpr41
	s_delay_alu instid0(SALU_CYCLE_1) | instskip(SKIP_1) | instid1(SALU_CYCLE_1)
	s_cmpk_lg_i32 s39, 0x2710
	s_cselect_b32 s40, -1, 0
	s_and_b32 vcc_lo, exec_lo, s40
	s_cbranch_vccz .LBB2_1808
.LBB2_1805:                             ;   in Loop: Header=BB2_1804 Depth=4
	s_and_not1_b32 s38, s38, exec_lo
	s_and_b32 s41, s41, exec_lo
	s_mov_b32 vcc_lo, -1
	s_or_b32 s38, s38, s41
	s_and_saveexec_b32 s41, s40
	s_cbranch_execz .LBB2_1803
; %bb.1806:                             ;   in Loop: Header=BB2_1804 Depth=4
	s_sleep 1
	s_cbranch_execnz .LBB2_2648
; %bb.1807:                             ;   in Loop: Header=BB2_1804 Depth=4
	ds_load_b64 v[8:9], v0
	s_and_not1_b32 s38, s38, exec_lo
	s_waitcnt lgkmcnt(0)
	v_cmp_ge_u64_e32 vcc_lo, v[8:9], v[32:33]
	s_or_not1_b32 vcc_lo, vcc_lo, exec_lo
	s_branch .LBB2_1803
.LBB2_1808:                             ;   in Loop: Header=BB2_1804 Depth=4
	s_cbranch_execnz .LBB2_2654
; %bb.1809:                             ;   in Loop: Header=BB2_1804 Depth=4
	ds_load_b64 v[8:9], v0
	s_and_not1_b32 s40, s40, exec_lo
	s_mov_b32 s39, 0
	s_mov_b32 s41, -1
	s_waitcnt lgkmcnt(0)
	s_waitcnt_vscnt null, 0x0
	flat_load_b32 v2, v[8:9] glc
	s_waitcnt vmcnt(0) lgkmcnt(0)
	buffer_gl1_inv
	buffer_gl0_inv
	v_cmp_eq_u32_e32 vcc_lo, 0, v2
	s_and_b32 vcc_lo, vcc_lo, exec_lo
	s_delay_alu instid0(SALU_CYCLE_1)
	s_or_b32 s40, s40, vcc_lo
	s_branch .LBB2_1805
.LBB2_1810:                             ;   in Loop: Header=BB2_1616 Depth=3
	s_or_b32 exec_lo, exec_lo, s24
	s_and_saveexec_b32 s24, s37
	s_delay_alu instid0(SALU_CYCLE_1)
	s_xor_b32 s24, exec_lo, s24
	s_cbranch_execz .LBB2_1812
; %bb.1811:                             ;   in Loop: Header=BB2_1616 Depth=3
	ds_store_b32 v0, v133
	s_cbranch_execnz .LBB2_2698
.LBB2_1812:                             ;   in Loop: Header=BB2_1616 Depth=3
	s_or_b32 exec_lo, exec_lo, s15
	;;#ASMSTART
	s_wakeup
	;;#ASMEND
.LBB2_1813:                             ;   in Loop: Header=BB2_1616 Depth=3
	s_or_b32 exec_lo, exec_lo, s14
.LBB2_1814:                             ;   in Loop: Header=BB2_1616 Depth=3
	s_and_not1_saveexec_b32 s6, s6
	s_cbranch_execz .LBB2_1816
; %bb.1815:                             ;   in Loop: Header=BB2_1616 Depth=3
	;;#ASMSTART
	s_waitcnt lgkmcnt(0) vmcnt(0)
	;;#ASMEND
	s_waitcnt lgkmcnt(0)
	s_waitcnt_vscnt null, 0x0
	s_barrier
.LBB2_1816:                             ;   in Loop: Header=BB2_1616 Depth=3
	s_or_b32 exec_lo, exec_lo, s6
	v_and_b32_e32 v2, 16, v30
.LBB2_1817:                             ;   in Loop: Header=BB2_1616 Depth=3
	s_or_b32 exec_lo, exec_lo, s13
	s_delay_alu instid0(VALU_DEP_1) | instskip(SKIP_1) | instid1(SALU_CYCLE_1)
	v_cmp_ne_u32_e32 vcc_lo, 0, v2
	s_xor_b32 s6, s10, -1
	s_and_b32 s13, vcc_lo, s6
	s_delay_alu instid0(SALU_CYCLE_1)
	s_and_saveexec_b32 s6, s13
	s_cbranch_execz .LBB2_1819
; %bb.1818:                             ;   in Loop: Header=BB2_1616 Depth=3
	s_waitcnt lgkmcnt(0)
	s_waitcnt_vscnt null, 0x0
	flat_store_b32 v[28:29], v133
.LBB2_1819:                             ;   in Loop: Header=BB2_1616 Depth=3
	s_or_b32 exec_lo, exec_lo, s6
	v_and_b32_e32 v2, 48, v30
	s_mov_b32 s6, exec_lo
	s_delay_alu instid0(VALU_DEP_1)
	v_cmpx_ne_u32_e32 0, v2
	s_cbranch_execz .LBB2_1821
; %bb.1820:                             ;   in Loop: Header=BB2_1616 Depth=3
	v_add_co_u32 v24, vcc_lo, v24, 2
	v_add_co_ci_u32_e32 v25, vcc_lo, 0, v25, vcc_lo
	s_waitcnt lgkmcnt(0)
	s_waitcnt_vscnt null, 0x0
	flat_store_b64 v[22:23], v[24:25]
.LBB2_1821:                             ;   in Loop: Header=BB2_1616 Depth=3
	s_or_b32 exec_lo, exec_lo, s6
	v_add_nc_u32_e32 v14, v12, v14
	s_xor_b32 s6, s35, -1
	v_mov_b32_e32 v2, s36
	s_mov_b32 s35, 0
	s_mov_b32 s36, 2
	v_cmp_ge_i32_e32 vcc_lo, v14, v68
	s_or_b32 s6, s6, vcc_lo
	s_delay_alu instid0(SALU_CYCLE_1) | instskip(NEXT) | instid1(SALU_CYCLE_1)
	s_and_b32 s6, exec_lo, s6
	s_or_b32 s34, s6, s34
	s_delay_alu instid0(SALU_CYCLE_1)
	s_and_not1_b32 exec_lo, exec_lo, s34
	s_cbranch_execnz .LBB2_1616
; %bb.1822:                             ;   in Loop: Header=BB2_1614 Depth=2
	s_or_b32 exec_lo, exec_lo, s34
.LBB2_1823:                             ;   in Loop: Header=BB2_1614 Depth=2
	s_delay_alu instid0(SALU_CYCLE_1) | instskip(NEXT) | instid1(SALU_CYCLE_1)
	s_or_b32 exec_lo, exec_lo, s31
	s_mov_b32 s14, exec_lo
	v_cmpx_gt_i32_e32 2, v2
	s_cbranch_execz .LBB2_1909
; %bb.1824:                             ;   in Loop: Header=BB2_1614 Depth=2
	v_cmp_eq_u32_e64 s13, 0, v2
	s_mov_b32 s15, 0
.LBB2_1825:                             ;   Parent Loop BB2_51 Depth=1
                                        ;     Parent Loop BB2_1614 Depth=2
                                        ; =>    This Loop Header: Depth=3
                                        ;         Child Loop BB2_1831 Depth 4
                                        ;         Child Loop BB2_1863 Depth 4
	;; [unrolled: 1-line block ×3, first 2 shown]
	v_and_b32_e32 v2, 12, v30
	s_mov_b32 s24, -1
	s_mov_b32 s6, exec_lo
	s_delay_alu instid0(VALU_DEP_1)
	v_cmpx_ne_u32_e32 0, v2
	s_cbranch_execz .LBB2_1839
; %bb.1826:                             ;   in Loop: Header=BB2_1825 Depth=3
	v_and_b32_e32 v2, 8, v30
	s_delay_alu instid0(VALU_DEP_1) | instskip(SKIP_3) | instid1(VALU_DEP_1)
	v_add_co_u32 v10, vcc_lo, v34, v2
	v_add_co_ci_u32_e32 v11, vcc_lo, 0, v35, vcc_lo
	v_add_co_u32 v8, vcc_lo, v24, 2
	v_add_co_ci_u32_e32 v9, vcc_lo, 0, v25, vcc_lo
	v_cmp_lt_u64_e32 vcc_lo, v[10:11], v[8:9]
	v_mov_b32_e32 v10, 1
	s_and_saveexec_b32 s24, vcc_lo
	s_cbranch_execz .LBB2_1838
; %bb.1827:                             ;   in Loop: Header=BB2_1825 Depth=3
	v_mov_b32_e32 v10, 0
	s_mov_b32 s31, 0
                                        ; implicit-def: $sgpr34
	s_branch .LBB2_1831
.LBB2_1828:                             ;   in Loop: Header=BB2_1831 Depth=4
	s_or_b32 exec_lo, exec_lo, s38
	v_mov_b32_e32 v11, 0
	s_or_not1_b32 s37, s37, exec_lo
.LBB2_1829:                             ;   in Loop: Header=BB2_1831 Depth=4
	s_or_b32 exec_lo, exec_lo, s36
	s_delay_alu instid0(VALU_DEP_1) | instskip(SKIP_2) | instid1(SALU_CYCLE_1)
	v_mov_b32_e32 v10, v11
	s_and_not1_b32 vcc_lo, s34, exec_lo
	s_and_b32 s34, s37, exec_lo
	s_or_b32 s34, vcc_lo, s34
.LBB2_1830:                             ;   in Loop: Header=BB2_1831 Depth=4
	s_or_b32 exec_lo, exec_lo, s35
	s_waitcnt vmcnt(0) lgkmcnt(0)
	v_add_co_u32 v64, vcc_lo, v34, v2
	v_add_co_ci_u32_e32 v65, vcc_lo, 0, v35, vcc_lo
	s_xor_b32 s35, s34, -1
	s_delay_alu instid0(VALU_DEP_1) | instskip(SKIP_1) | instid1(SALU_CYCLE_1)
	v_cmp_ge_u64_e32 vcc_lo, v[64:65], v[8:9]
	s_or_b32 vcc_lo, s35, vcc_lo
	s_and_b32 vcc_lo, exec_lo, vcc_lo
	s_delay_alu instid0(SALU_CYCLE_1) | instskip(NEXT) | instid1(SALU_CYCLE_1)
	s_or_b32 s31, vcc_lo, s31
	s_and_not1_b32 exec_lo, exec_lo, s31
	s_cbranch_execz .LBB2_1837
.LBB2_1831:                             ;   Parent Loop BB2_51 Depth=1
                                        ;     Parent Loop BB2_1614 Depth=2
                                        ;       Parent Loop BB2_1825 Depth=3
                                        ; =>      This Inner Loop Header: Depth=4
	s_sleep 1
	flat_load_b64 v[34:35], v[22:23] glc
	v_and_b32_e32 v11, 64, v30
	s_and_not1_b32 s34, s34, exec_lo
	s_mov_b32 s35, exec_lo
	s_delay_alu instid0(VALU_DEP_1)
	v_cmpx_eq_u32_e32 0, v11
	s_cbranch_execz .LBB2_1830
; %bb.1832:                             ;   in Loop: Header=BB2_1831 Depth=4
	v_add_nc_u32_e32 v11, 1, v10
	s_mov_b32 s37, -1
	s_mov_b32 s36, exec_lo
	v_cmpx_lt_i32_e32 0x270e, v10
	s_cbranch_execz .LBB2_1829
; %bb.1833:                             ;   in Loop: Header=BB2_1831 Depth=4
	s_cbranch_execnz .LBB2_2356
; %bb.1834:                             ;   in Loop: Header=BB2_1831 Depth=4
	ds_load_b64 v[10:11], v0
	s_mov_b32 s38, exec_lo
	s_waitcnt vmcnt(0) lgkmcnt(0)
	s_waitcnt_vscnt null, 0x0
	flat_load_b32 v10, v[10:11] glc
	s_waitcnt vmcnt(0) lgkmcnt(0)
	buffer_gl1_inv
	buffer_gl0_inv
	v_cmpx_ne_u32_e32 0, v10
	s_cbranch_execz .LBB2_1828
; %bb.1835:                             ;   in Loop: Header=BB2_1831 Depth=4
	ds_store_b32 v0, v10
	s_cbranch_execnz .LBB2_2436
; %bb.1836:                             ;   in Loop: Header=BB2_1831 Depth=4
	v_or_b32_e32 v30, 64, v30
	s_xor_b32 s37, exec_lo, -1
	s_branch .LBB2_1828
.LBB2_1837:                             ;   in Loop: Header=BB2_1825 Depth=3
	s_or_b32 exec_lo, exec_lo, s31
	v_and_b32_e32 v10, 12, v30
.LBB2_1838:                             ;   in Loop: Header=BB2_1825 Depth=3
	s_or_b32 exec_lo, exec_lo, s24
	s_delay_alu instid0(VALU_DEP_1)
	v_cmp_eq_u32_e32 vcc_lo, 0, v10
	;;#ASMSTART
	s_wakeup
	;;#ASMEND
	s_or_not1_b32 s24, vcc_lo, exec_lo
.LBB2_1839:                             ;   in Loop: Header=BB2_1825 Depth=3
	s_or_b32 exec_lo, exec_lo, s6
	v_sub_nc_u32_e32 v2, v68, v14
	s_xor_b32 s6, s13, -1
	s_delay_alu instid0(SALU_CYCLE_1) | instskip(NEXT) | instid1(SALU_CYCLE_1)
	s_and_b32 s6, exec_lo, s6
	s_or_b32 s15, s6, s15
	s_delay_alu instid0(VALU_DEP_1) | instskip(SKIP_1) | instid1(SALU_CYCLE_1)
	v_min_i32_e32 v12, v12, v2
	s_xor_b32 s13, s24, -1
	s_and_saveexec_b32 s6, s13
	s_cbranch_execz .LBB2_1854
; %bb.1840:                             ;   in Loop: Header=BB2_1825 Depth=3
	v_and_b32_e32 v2, 0x108, v30
	s_mov_b32 s13, exec_lo
	s_delay_alu instid0(VALU_DEP_1)
	v_cmpx_ne_u32_e32 0x108, v2
	s_xor_b32 s13, exec_lo, s13
                                        ; implicit-def: $vgpr8_vgpr9
; %bb.1841:                             ;   in Loop: Header=BB2_1825 Depth=3
	v_and_b32_e32 v8, 7, v24
; %bb.1842:                             ;   in Loop: Header=BB2_1825 Depth=3
	s_and_not1_saveexec_b32 s13, s13
	s_cbranch_execz .LBB2_1844
; %bb.1843:                             ;   in Loop: Header=BB2_1825 Depth=3
	v_and_b32_e32 v8, 7, v24
	v_ashrrev_i32_e32 v13, 31, v12
	s_delay_alu instid0(VALU_DEP_2) | instskip(NEXT) | instid1(VALU_DEP_2)
	v_mad_u64_u32 v[9:10], null, v8, 24, v[6:7]
	v_lshlrev_b64 v[64:65], 1, v[12:13]
	flat_store_b64 v[9:10], v[64:65] offset:8
.LBB2_1844:                             ;   in Loop: Header=BB2_1825 Depth=3
	s_or_b32 exec_lo, exec_lo, s13
	v_and_b32_e32 v2, 0x100, v30
	s_mov_b32 s13, -1
	s_mov_b32 s24, exec_lo
                                        ; implicit-def: $vgpr9_vgpr10
	s_delay_alu instid0(VALU_DEP_1)
	v_cmpx_ne_u32_e32 0, v2
	s_cbranch_execnz .LBB2_1847
; %bb.1845:                             ;   in Loop: Header=BB2_1825 Depth=3
	s_or_b32 exec_lo, exec_lo, s24
	s_and_saveexec_b32 s24, s13
	s_cbranch_execnz .LBB2_1850
.LBB2_1846:                             ;   in Loop: Header=BB2_1825 Depth=3
	s_or_b32 exec_lo, exec_lo, s24
	s_cbranch_execnz .LBB2_2346
	s_branch .LBB2_1851
.LBB2_1847:                             ;   in Loop: Header=BB2_1825 Depth=3
	v_mad_u64_u32 v[64:65], null, v8, 24, v[6:7]
	s_mov_b32 s31, exec_lo
	s_delay_alu instid0(VALU_DEP_1) | instskip(NEXT) | instid1(VALU_DEP_1)
	v_mov_b32_e32 v2, v65
	v_mad_u64_u32 v[9:10], null, v3, 24, v[2:3]
	s_delay_alu instid0(VALU_DEP_1)
	v_mov_b32_e32 v65, v9
                                        ; implicit-def: $vgpr9_vgpr10
	flat_load_b32 v2, v[64:65]
	s_waitcnt vmcnt(0) lgkmcnt(0)
	v_cmp_ne_u32_e32 vcc_lo, 1, v2
	v_cmpx_eq_u32_e32 1, v2
	s_cbranch_execz .LBB2_1849
; %bb.1848:                             ;   in Loop: Header=BB2_1825 Depth=3
	flat_load_b32 v9, v[64:65] offset:4 glc
	s_waitcnt vmcnt(0) lgkmcnt(0)
	v_ashrrev_i32_e32 v10, 31, v9
	s_delay_alu instid0(VALU_DEP_1)
	v_lshrrev_b64 v[9:10], 1, v[9:10]
.LBB2_1849:                             ;   in Loop: Header=BB2_1825 Depth=3
	s_or_b32 exec_lo, exec_lo, s31
	s_delay_alu instid0(SALU_CYCLE_1)
	s_or_not1_b32 s13, vcc_lo, exec_lo
	s_or_b32 exec_lo, exec_lo, s24
	s_and_saveexec_b32 s24, s13
	s_cbranch_execz .LBB2_1846
.LBB2_1850:                             ;   in Loop: Header=BB2_1825 Depth=3
	v_mul_lo_u32 v2, v3, v87
	v_mul_lo_u32 v11, v8, v96
	v_mad_u64_u32 v[9:10], null, v8, v87, 0
	s_delay_alu instid0(VALU_DEP_1)
	v_add3_u32 v10, v10, v11, v2
	s_or_b32 exec_lo, exec_lo, s24
	s_cbranch_execnz .LBB2_2346
.LBB2_1851:                             ;   in Loop: Header=BB2_1825 Depth=3
	s_delay_alu instid0(VALU_DEP_1) | instskip(SKIP_2) | instid1(VALU_DEP_2)
	v_lshlrev_b64 v[8:9], 1, v[9:10]
	v_and_b32_e32 v2, 0x2000, v30
	s_mov_b32 s13, exec_lo
	v_add_co_u32 v8, vcc_lo, v26, v8
	s_delay_alu instid0(VALU_DEP_3)
	v_add_co_ci_u32_e32 v9, vcc_lo, v27, v9, vcc_lo
	ds_store_b64 v0, v[8:9]
	v_cmpx_ne_u32_e32 0, v2
	s_cbranch_execz .LBB2_1853
; %bb.1852:                             ;   in Loop: Header=BB2_1825 Depth=3
	ds_load_b64 v[8:9], v0 offset:584
	s_waitcnt lgkmcnt(0)
	v_add_co_u32 v8, vcc_lo, v8, 1
	v_add_co_ci_u32_e32 v9, vcc_lo, 0, v9, vcc_lo
	ds_store_b64 v0, v[8:9] offset:584
.LBB2_1853:                             ;   in Loop: Header=BB2_1825 Depth=3
	s_or_b32 exec_lo, exec_lo, s13
	v_add_co_u32 v24, vcc_lo, v24, 2
	v_add_co_ci_u32_e32 v25, vcc_lo, 0, v25, vcc_lo
.LBB2_1854:                             ;   in Loop: Header=BB2_1825 Depth=3
	s_or_b32 exec_lo, exec_lo, s6
	s_and_saveexec_b32 s13, s3
	s_cbranch_execz .LBB2_1876
; %bb.1855:                             ;   in Loop: Header=BB2_1825 Depth=3
	s_and_saveexec_b32 s6, s4
	s_delay_alu instid0(SALU_CYCLE_1)
	s_xor_b32 s6, exec_lo, s6
	s_cbranch_execz .LBB2_1873
; %bb.1856:                             ;   in Loop: Header=BB2_1825 Depth=3
	s_and_saveexec_b32 s24, s1
	s_cbranch_execz .LBB2_1872
; %bb.1857:                             ;   in Loop: Header=BB2_1825 Depth=3
	s_mov_b32 s34, exec_lo
	s_mov_b32 s31, exec_lo
	v_mbcnt_lo_u32_b32 v2, s34, 0
	s_waitcnt lgkmcnt(0)
	s_waitcnt_vscnt null, 0x0
	buffer_gl1_inv
	buffer_gl0_inv
	v_cmpx_eq_u32_e32 0, v2
	s_cbranch_execz .LBB2_1859
; %bb.1858:                             ;   in Loop: Header=BB2_1825 Depth=3
	s_bcnt1_i32_b32 vcc_lo, s34
	s_delay_alu instid0(SALU_CYCLE_1)
	v_mov_b32_e32 v2, vcc_lo
	ds_add_u64 v0, v[2:3]
	s_cbranch_execnz .LBB2_2492
.LBB2_1859:                             ;   in Loop: Header=BB2_1825 Depth=3
	s_or_b32 exec_lo, exec_lo, s31
	s_cbranch_execnz .LBB2_2460
; %bb.1860:                             ;   in Loop: Header=BB2_1825 Depth=3
	ds_load_b64 v[8:9], v0
	v_add_co_u32 v32, vcc_lo, v32, v99
	v_add_co_ci_u32_e32 v33, vcc_lo, 0, v33, vcc_lo
	s_mov_b32 s31, exec_lo
	s_waitcnt lgkmcnt(0)
	s_delay_alu instid0(VALU_DEP_1)
	v_cmpx_lt_u64_e64 v[8:9], v[32:33]
	s_cbranch_execz .LBB2_1871
; %bb.1861:                             ;   in Loop: Header=BB2_1825 Depth=3
	s_mov_b32 s34, 0
	s_mov_b32 s37, 0
                                        ; implicit-def: $sgpr35
                                        ; implicit-def: $sgpr36
	s_branch .LBB2_1863
.LBB2_1862:                             ;   in Loop: Header=BB2_1863 Depth=4
	s_or_b32 exec_lo, exec_lo, s39
	s_delay_alu instid0(SALU_CYCLE_1) | instskip(NEXT) | instid1(SALU_CYCLE_1)
	s_and_b32 vcc_lo, exec_lo, vcc_lo
	s_or_b32 s34, vcc_lo, s34
	s_and_not1_b32 vcc_lo, s35, exec_lo
	s_and_b32 s35, s36, exec_lo
	s_delay_alu instid0(SALU_CYCLE_1)
	s_or_b32 s35, vcc_lo, s35
	s_and_not1_b32 exec_lo, exec_lo, s34
	s_cbranch_execz .LBB2_1869
.LBB2_1863:                             ;   Parent Loop BB2_51 Depth=1
                                        ;     Parent Loop BB2_1614 Depth=2
                                        ;       Parent Loop BB2_1825 Depth=3
                                        ; =>      This Inner Loop Header: Depth=4
	s_add_i32 s37, s37, 1
                                        ; implicit-def: $sgpr39
	s_delay_alu instid0(SALU_CYCLE_1) | instskip(SKIP_1) | instid1(SALU_CYCLE_1)
	s_cmpk_lg_i32 s37, 0x2710
	s_cselect_b32 s38, -1, 0
	s_and_b32 vcc_lo, exec_lo, s38
	s_cbranch_vccz .LBB2_1867
.LBB2_1864:                             ;   in Loop: Header=BB2_1863 Depth=4
	s_and_not1_b32 s36, s36, exec_lo
	s_and_b32 s39, s39, exec_lo
	s_mov_b32 vcc_lo, -1
	s_or_b32 s36, s36, s39
	s_and_saveexec_b32 s39, s38
	s_cbranch_execz .LBB2_1862
; %bb.1865:                             ;   in Loop: Header=BB2_1863 Depth=4
	s_sleep 1
	s_cbranch_execnz .LBB2_2540
; %bb.1866:                             ;   in Loop: Header=BB2_1863 Depth=4
	ds_load_b64 v[8:9], v0
	s_and_not1_b32 s36, s36, exec_lo
	s_waitcnt lgkmcnt(0)
	v_cmp_ge_u64_e32 vcc_lo, v[8:9], v[32:33]
	s_or_not1_b32 vcc_lo, vcc_lo, exec_lo
	s_branch .LBB2_1862
.LBB2_1867:                             ;   in Loop: Header=BB2_1863 Depth=4
	s_cbranch_execnz .LBB2_2562
; %bb.1868:                             ;   in Loop: Header=BB2_1863 Depth=4
	ds_load_b64 v[8:9], v0
	s_and_not1_b32 s38, s38, exec_lo
	s_mov_b32 s37, 0
	s_mov_b32 s39, -1
	s_waitcnt lgkmcnt(0)
	flat_load_b32 v2, v[8:9] glc
	s_waitcnt vmcnt(0) lgkmcnt(0)
	buffer_gl1_inv
	buffer_gl0_inv
	v_cmp_eq_u32_e32 vcc_lo, 0, v2
	s_and_b32 vcc_lo, vcc_lo, exec_lo
	s_delay_alu instid0(SALU_CYCLE_1)
	s_or_b32 s38, s38, vcc_lo
	s_branch .LBB2_1864
.LBB2_1869:                             ;   in Loop: Header=BB2_1825 Depth=3
	s_or_b32 exec_lo, exec_lo, s34
	s_and_saveexec_b32 vcc_lo, s35
	s_delay_alu instid0(SALU_CYCLE_1)
	s_xor_b32 vcc_lo, exec_lo, vcc_lo
	s_cbranch_execz .LBB2_1871
; %bb.1870:                             ;   in Loop: Header=BB2_1825 Depth=3
	ds_store_b32 v0, v133
	s_cbranch_execnz .LBB2_2676
.LBB2_1871:                             ;   in Loop: Header=BB2_1825 Depth=3
	s_or_b32 exec_lo, exec_lo, s31
	;;#ASMSTART
	s_wakeup
	;;#ASMEND
.LBB2_1872:                             ;   in Loop: Header=BB2_1825 Depth=3
	s_or_b32 exec_lo, exec_lo, s24
.LBB2_1873:                             ;   in Loop: Header=BB2_1825 Depth=3
	s_and_not1_saveexec_b32 s6, s6
	s_cbranch_execz .LBB2_1875
; %bb.1874:                             ;   in Loop: Header=BB2_1825 Depth=3
	s_waitcnt lgkmcnt(0)
	s_waitcnt_vscnt null, 0x0
	buffer_gl1_inv
	buffer_gl0_inv
	s_barrier
.LBB2_1875:                             ;   in Loop: Header=BB2_1825 Depth=3
	s_or_b32 exec_lo, exec_lo, s6
.LBB2_1876:                             ;   in Loop: Header=BB2_1825 Depth=3
	s_delay_alu instid0(SALU_CYCLE_1) | instskip(SKIP_1) | instid1(SALU_CYCLE_1)
	s_or_b32 exec_lo, exec_lo, s13
                                        ; implicit-def: $vgpr2
	s_and_saveexec_b32 s6, s7
	s_xor_b32 s6, exec_lo, s6
	s_cbranch_execz .LBB2_1881
; %bb.1877:                             ;   in Loop: Header=BB2_1825 Depth=3
	s_cbranch_execnz .LBB2_2378
; %bb.1878:                             ;   in Loop: Header=BB2_1825 Depth=3
	ds_load_b32 v2, v0
	v_cmp_lt_i32_e32 vcc_lo, 0, v12
	s_waitcnt lgkmcnt(0)
	v_readfirstlane_b32 s13, v2
	v_and_b32_e32 v2, 16, v30
	s_delay_alu instid0(VALU_DEP_2) | instskip(NEXT) | instid1(VALU_DEP_1)
	s_cmp_eq_u32 s13, 0
	v_cmp_ne_u32_e64 s13, 0, v2
	s_cselect_b32 s24, -1, 0
	v_and_b32_e32 v2, 16, v30
	s_and_b32 s24, vcc_lo, s24
	s_delay_alu instid0(VALU_DEP_2) | instid1(SALU_CYCLE_1)
	s_and_b32 s24, s13, s24
	s_delay_alu instid0(SALU_CYCLE_1)
	s_and_saveexec_b32 s13, s24
	s_cbranch_execz .LBB2_1880
; %bb.1879:                             ;   in Loop: Header=BB2_1825 Depth=3
	v_mov_b32_e32 v2, 1
	s_waitcnt_vscnt null, 0x0
	buffer_gl1_inv
	buffer_gl0_inv
.LBB2_1880:                             ;   in Loop: Header=BB2_1825 Depth=3
	s_or_b32 exec_lo, exec_lo, s13
.LBB2_1881:                             ;   in Loop: Header=BB2_1825 Depth=3
	s_and_not1_saveexec_b32 s13, s6
	s_cbranch_execz .LBB2_1903
; %bb.1882:                             ;   in Loop: Header=BB2_1825 Depth=3
	s_and_saveexec_b32 s6, s4
	s_delay_alu instid0(SALU_CYCLE_1)
	s_xor_b32 s6, exec_lo, s6
	s_cbranch_execz .LBB2_1900
; %bb.1883:                             ;   in Loop: Header=BB2_1825 Depth=3
	s_and_saveexec_b32 s24, s1
	s_cbranch_execz .LBB2_1899
; %bb.1884:                             ;   in Loop: Header=BB2_1825 Depth=3
	s_mov_b32 s34, exec_lo
	s_mov_b32 s31, exec_lo
	v_mbcnt_lo_u32_b32 v2, s34, 0
	;;#ASMSTART
	s_waitcnt lgkmcnt(0) vmcnt(0)
	;;#ASMEND
	s_delay_alu instid0(VALU_DEP_1)
	v_cmpx_eq_u32_e32 0, v2
	s_cbranch_execz .LBB2_1886
; %bb.1885:                             ;   in Loop: Header=BB2_1825 Depth=3
	s_bcnt1_i32_b32 vcc_lo, s34
	s_delay_alu instid0(SALU_CYCLE_1)
	v_mov_b32_e32 v2, vcc_lo
	ds_add_u64 v0, v[2:3]
	s_cbranch_execnz .LBB2_2512
.LBB2_1886:                             ;   in Loop: Header=BB2_1825 Depth=3
	s_or_b32 exec_lo, exec_lo, s31
	s_cbranch_execnz .LBB2_2490
; %bb.1887:                             ;   in Loop: Header=BB2_1825 Depth=3
	ds_load_b64 v[8:9], v0
	v_add_co_u32 v32, vcc_lo, v32, v99
	v_add_co_ci_u32_e32 v33, vcc_lo, 0, v33, vcc_lo
	s_mov_b32 s31, exec_lo
	s_waitcnt lgkmcnt(0)
	s_delay_alu instid0(VALU_DEP_1)
	v_cmpx_lt_u64_e64 v[8:9], v[32:33]
	s_cbranch_execz .LBB2_1898
; %bb.1888:                             ;   in Loop: Header=BB2_1825 Depth=3
	s_mov_b32 s34, 0
	s_mov_b32 s37, 0
                                        ; implicit-def: $sgpr35
                                        ; implicit-def: $sgpr36
	s_branch .LBB2_1890
.LBB2_1889:                             ;   in Loop: Header=BB2_1890 Depth=4
	s_or_b32 exec_lo, exec_lo, s39
	s_delay_alu instid0(SALU_CYCLE_1) | instskip(NEXT) | instid1(SALU_CYCLE_1)
	s_and_b32 vcc_lo, exec_lo, vcc_lo
	s_or_b32 s34, vcc_lo, s34
	s_and_not1_b32 vcc_lo, s35, exec_lo
	s_and_b32 s35, s36, exec_lo
	s_delay_alu instid0(SALU_CYCLE_1)
	s_or_b32 s35, vcc_lo, s35
	s_and_not1_b32 exec_lo, exec_lo, s34
	s_cbranch_execz .LBB2_1896
.LBB2_1890:                             ;   Parent Loop BB2_51 Depth=1
                                        ;     Parent Loop BB2_1614 Depth=2
                                        ;       Parent Loop BB2_1825 Depth=3
                                        ; =>      This Inner Loop Header: Depth=4
	s_add_i32 s37, s37, 1
                                        ; implicit-def: $sgpr39
	s_delay_alu instid0(SALU_CYCLE_1) | instskip(SKIP_1) | instid1(SALU_CYCLE_1)
	s_cmpk_lg_i32 s37, 0x2710
	s_cselect_b32 s38, -1, 0
	s_and_b32 vcc_lo, exec_lo, s38
	s_cbranch_vccz .LBB2_1894
.LBB2_1891:                             ;   in Loop: Header=BB2_1890 Depth=4
	s_and_not1_b32 s36, s36, exec_lo
	s_and_b32 s39, s39, exec_lo
	s_mov_b32 vcc_lo, -1
	s_or_b32 s36, s36, s39
	s_and_saveexec_b32 s39, s38
	s_cbranch_execz .LBB2_1889
; %bb.1892:                             ;   in Loop: Header=BB2_1890 Depth=4
	s_sleep 1
	s_cbranch_execnz .LBB2_2572
; %bb.1893:                             ;   in Loop: Header=BB2_1890 Depth=4
	ds_load_b64 v[8:9], v0
	s_and_not1_b32 s36, s36, exec_lo
	s_waitcnt lgkmcnt(0)
	v_cmp_ge_u64_e32 vcc_lo, v[8:9], v[32:33]
	s_or_not1_b32 vcc_lo, vcc_lo, exec_lo
	s_branch .LBB2_1889
.LBB2_1894:                             ;   in Loop: Header=BB2_1890 Depth=4
	s_cbranch_execnz .LBB2_2586
; %bb.1895:                             ;   in Loop: Header=BB2_1890 Depth=4
	ds_load_b64 v[8:9], v0
	s_and_not1_b32 s38, s38, exec_lo
	s_mov_b32 s37, 0
	s_mov_b32 s39, -1
	s_waitcnt lgkmcnt(0)
	s_waitcnt_vscnt null, 0x0
	flat_load_b32 v2, v[8:9] glc
	s_waitcnt vmcnt(0) lgkmcnt(0)
	buffer_gl1_inv
	buffer_gl0_inv
	v_cmp_eq_u32_e32 vcc_lo, 0, v2
	s_and_b32 vcc_lo, vcc_lo, exec_lo
	s_delay_alu instid0(SALU_CYCLE_1)
	s_or_b32 s38, s38, vcc_lo
	s_branch .LBB2_1891
.LBB2_1896:                             ;   in Loop: Header=BB2_1825 Depth=3
	s_or_b32 exec_lo, exec_lo, s34
	s_and_saveexec_b32 vcc_lo, s35
	s_delay_alu instid0(SALU_CYCLE_1)
	s_xor_b32 vcc_lo, exec_lo, vcc_lo
	s_cbranch_execz .LBB2_1898
; %bb.1897:                             ;   in Loop: Header=BB2_1825 Depth=3
	ds_store_b32 v0, v133
	s_cbranch_execnz .LBB2_2686
.LBB2_1898:                             ;   in Loop: Header=BB2_1825 Depth=3
	s_or_b32 exec_lo, exec_lo, s31
	;;#ASMSTART
	s_wakeup
	;;#ASMEND
.LBB2_1899:                             ;   in Loop: Header=BB2_1825 Depth=3
	s_or_b32 exec_lo, exec_lo, s24
.LBB2_1900:                             ;   in Loop: Header=BB2_1825 Depth=3
	s_and_not1_saveexec_b32 s6, s6
	s_cbranch_execz .LBB2_1902
; %bb.1901:                             ;   in Loop: Header=BB2_1825 Depth=3
	;;#ASMSTART
	s_waitcnt lgkmcnt(0) vmcnt(0)
	;;#ASMEND
	s_waitcnt lgkmcnt(0)
	s_waitcnt_vscnt null, 0x0
	s_barrier
.LBB2_1902:                             ;   in Loop: Header=BB2_1825 Depth=3
	s_or_b32 exec_lo, exec_lo, s6
	v_and_b32_e32 v2, 16, v30
.LBB2_1903:                             ;   in Loop: Header=BB2_1825 Depth=3
	s_or_b32 exec_lo, exec_lo, s13
	s_delay_alu instid0(VALU_DEP_1) | instskip(SKIP_1) | instid1(SALU_CYCLE_1)
	v_cmp_ne_u32_e32 vcc_lo, 0, v2
	s_xor_b32 s6, s10, -1
	s_and_b32 s13, vcc_lo, s6
	s_delay_alu instid0(SALU_CYCLE_1)
	s_and_saveexec_b32 s6, s13
	s_cbranch_execz .LBB2_1905
; %bb.1904:                             ;   in Loop: Header=BB2_1825 Depth=3
	s_waitcnt lgkmcnt(0)
	s_waitcnt_vscnt null, 0x0
	flat_store_b32 v[28:29], v133
.LBB2_1905:                             ;   in Loop: Header=BB2_1825 Depth=3
	s_or_b32 exec_lo, exec_lo, s6
	v_and_b32_e32 v2, 48, v30
	s_mov_b32 s6, exec_lo
	s_delay_alu instid0(VALU_DEP_1)
	v_cmpx_ne_u32_e32 0, v2
	s_cbranch_execz .LBB2_1907
; %bb.1906:                             ;   in Loop: Header=BB2_1825 Depth=3
	v_add_co_u32 v24, vcc_lo, v24, 2
	v_add_co_ci_u32_e32 v25, vcc_lo, 0, v25, vcc_lo
	s_waitcnt lgkmcnt(0)
	s_waitcnt_vscnt null, 0x0
	flat_store_b64 v[22:23], v[24:25]
.LBB2_1907:                             ;   in Loop: Header=BB2_1825 Depth=3
	s_or_b32 exec_lo, exec_lo, s6
	v_add_nc_u32_e32 v14, v12, v14
	s_mov_b32 s13, 0
	s_and_not1_b32 exec_lo, exec_lo, s15
	s_cbranch_execnz .LBB2_1825
; %bb.1908:                             ;   in Loop: Header=BB2_1614 Depth=2
	s_or_b32 exec_lo, exec_lo, s15
.LBB2_1909:                             ;   in Loop: Header=BB2_1614 Depth=2
	s_delay_alu instid0(SALU_CYCLE_1) | instskip(SKIP_2) | instid1(VALU_DEP_1)
	s_or_b32 exec_lo, exec_lo, s14
	v_readlane_b32 s13, v42, 7
	s_add_i32 s6, s30, 1
	s_cmp_eq_u32 s30, s13
	s_cbranch_scc1 .LBB2_1911
; %bb.1910:                             ;   in Loop: Header=BB2_1614 Depth=2
	s_mov_b32 s30, s6
	s_branch .LBB2_1614
.LBB2_1911:                             ;   in Loop: Header=BB2_51 Depth=1
	v_readlane_b32 s6, v42, 6
	s_mov_b32 s13, s17
	s_mov_b32 s30, 0
	v_mul_lo_u32 v2, v51, s13
	v_mad_u64_u32 v[9:10], null, v50, s13, 0
	v_mul_lo_u32 v8, v50, s6
	s_delay_alu instid0(VALU_DEP_2) | instskip(NEXT) | instid1(VALU_DEP_2)
	v_sub_co_u32 v11, vcc_lo, v52, v9
	v_add3_u32 v10, v10, v8, v2
	s_delay_alu instid0(VALU_DEP_1) | instskip(NEXT) | instid1(VALU_DEP_1)
	v_sub_co_ci_u32_e32 v12, vcc_lo, v53, v10, vcc_lo
	v_cmp_lt_i64_e32 vcc_lo, v[50:51], v[11:12]
	v_cndmask_b32_e32 v8, v11, v50, vcc_lo
	s_delay_alu instid0(VALU_DEP_1) | instskip(SKIP_2) | instid1(VALU_DEP_3)
	v_max_i32_e32 v52, 0, v8
	v_cmp_lt_i32_e32 vcc_lo, 0, v8
	v_mov_b32_e32 v8, 0
	v_add_nc_u32_e32 v2, 31, v52
	s_and_b32 s6, s16, vcc_lo
	s_delay_alu instid0(VALU_DEP_1) | instskip(NEXT) | instid1(VALU_DEP_1)
	v_lshrrev_b32_e32 v2, 1, v2
	v_dual_mov_b32 v2, 0 :: v_dual_and_b32 v11, 0x3ffffff0, v2
	s_delay_alu instid0(VALU_DEP_1)
	v_max_i32_e32 v53, s28, v11
	s_and_saveexec_b32 s15, s6
	s_cbranch_execz .LBB2_2073
; %bb.1912:                             ;   in Loop: Header=BB2_51 Depth=1
	v_add_co_u32 v8, vcc_lo, v9, v54
	v_add_co_ci_u32_e32 v9, vcc_lo, v10, v55, vcc_lo
	s_mov_b32 s34, 1
	s_mov_b32 s31, -1
	s_delay_alu instid0(VALU_DEP_1)
	v_lshlrev_b64 v[10:11], 1, v[8:9]
	v_mov_b32_e32 v8, 0
.LBB2_1913:                             ;   Parent Loop BB2_51 Depth=1
                                        ; =>  This Loop Header: Depth=2
                                        ;       Child Loop BB2_1922 Depth 3
                                        ;       Child Loop BB2_1949 Depth 3
	;; [unrolled: 1-line block ×9, first 2 shown]
	s_and_saveexec_b32 s6, s0
	s_cbranch_execz .LBB2_1916
; %bb.1914:                             ;   in Loop: Header=BB2_1913 Depth=2
	s_cbranch_execnz .LBB2_2328
; %bb.1915:                             ;   in Loop: Header=BB2_1913 Depth=2
	ds_load_b128 v[12:15], v0
	v_ashrrev_i32_e32 v9, 31, v8
	s_delay_alu instid0(VALU_DEP_1)
	v_lshlrev_b64 v[54:55], 1, v[8:9]
	s_waitcnt lgkmcnt(0)
	v_add_co_u32 v2, vcc_lo, v14, v10
	v_add_co_ci_u32_e32 v9, vcc_lo, v15, v11, vcc_lo
	v_add_co_u32 v12, vcc_lo, v12, v10
	v_add_co_ci_u32_e32 v13, vcc_lo, v13, v11, vcc_lo
	s_delay_alu instid0(VALU_DEP_4) | instskip(NEXT) | instid1(VALU_DEP_4)
	v_add_co_u32 v2, vcc_lo, v2, v54
	v_add_co_ci_u32_e32 v9, vcc_lo, v9, v55, vcc_lo
	v_cmp_ne_u64_e32 vcc_lo, 0, v[14:15]
	v_add_co_u32 v12, s13, v12, v54
	s_delay_alu instid0(VALU_DEP_1) | instskip(NEXT) | instid1(VALU_DEP_4)
	v_add_co_ci_u32_e64 v13, s13, v13, v55, s13
	v_dual_cndmask_b32 v15, 0, v9 :: v_dual_cndmask_b32 v14, 0, v2
	ds_store_b64 v0, v[12:13]
	ds_store_b64 v0, v[14:15]
.LBB2_1916:                             ;   in Loop: Header=BB2_1913 Depth=2
	s_or_b32 exec_lo, exec_lo, s6
	v_and_b32_e32 v2, 4, v30
	s_mov_b32 s13, -1
	s_mov_b32 s6, exec_lo
	s_delay_alu instid0(VALU_DEP_1)
	v_cmpx_ne_u32_e32 0, v2
	s_cbranch_execz .LBB2_1930
; %bb.1917:                             ;   in Loop: Header=BB2_1913 Depth=2
	v_add_co_u32 v12, vcc_lo, v24, 2
	v_add_co_ci_u32_e32 v13, vcc_lo, 0, v25, vcc_lo
	v_mov_b32_e32 v2, 1
	s_mov_b32 s13, exec_lo
	s_delay_alu instid0(VALU_DEP_2)
	v_cmpx_lt_u64_e64 v[34:35], v[12:13]
	s_cbranch_execz .LBB2_1929
; %bb.1918:                             ;   in Loop: Header=BB2_1913 Depth=2
	v_mov_b32_e32 v2, 0
	s_mov_b32 s14, 0
                                        ; implicit-def: $sgpr24
	s_branch .LBB2_1922
.LBB2_1919:                             ;   in Loop: Header=BB2_1922 Depth=3
	s_or_b32 exec_lo, exec_lo, s38
	v_mov_b32_e32 v9, 0
	s_or_not1_b32 s37, s37, exec_lo
.LBB2_1920:                             ;   in Loop: Header=BB2_1922 Depth=3
	s_or_b32 exec_lo, exec_lo, s36
	s_delay_alu instid0(VALU_DEP_1) | instskip(SKIP_2) | instid1(SALU_CYCLE_1)
	v_mov_b32_e32 v2, v9
	s_and_not1_b32 s24, s24, exec_lo
	s_and_b32 vcc_lo, s37, exec_lo
	s_or_b32 s24, s24, vcc_lo
.LBB2_1921:                             ;   in Loop: Header=BB2_1922 Depth=3
	s_or_b32 exec_lo, exec_lo, s35
	s_waitcnt vmcnt(0) lgkmcnt(0)
	v_cmp_ge_u64_e32 vcc_lo, v[34:35], v[12:13]
	s_xor_b32 s35, s24, -1
	s_delay_alu instid0(SALU_CYCLE_1) | instskip(NEXT) | instid1(SALU_CYCLE_1)
	s_or_b32 vcc_lo, s35, vcc_lo
	s_and_b32 vcc_lo, exec_lo, vcc_lo
	s_delay_alu instid0(SALU_CYCLE_1) | instskip(NEXT) | instid1(SALU_CYCLE_1)
	s_or_b32 s14, vcc_lo, s14
	s_and_not1_b32 exec_lo, exec_lo, s14
	s_cbranch_execz .LBB2_1928
.LBB2_1922:                             ;   Parent Loop BB2_51 Depth=1
                                        ;     Parent Loop BB2_1913 Depth=2
                                        ; =>    This Inner Loop Header: Depth=3
	s_sleep 1
	flat_load_b64 v[34:35], v[22:23] glc
	v_and_b32_e32 v9, 64, v30
	s_and_not1_b32 s24, s24, exec_lo
	s_mov_b32 s35, exec_lo
	s_delay_alu instid0(VALU_DEP_1)
	v_cmpx_eq_u32_e32 0, v9
	s_cbranch_execz .LBB2_1921
; %bb.1923:                             ;   in Loop: Header=BB2_1922 Depth=3
	v_add_nc_u32_e32 v9, 1, v2
	s_mov_b32 s37, -1
	s_mov_b32 s36, exec_lo
	v_cmpx_lt_i32_e32 0x270e, v2
	s_cbranch_execz .LBB2_1920
; %bb.1924:                             ;   in Loop: Header=BB2_1922 Depth=3
	s_cbranch_execnz .LBB2_2374
; %bb.1925:                             ;   in Loop: Header=BB2_1922 Depth=3
	ds_load_b64 v[14:15], v0
	s_mov_b32 s38, exec_lo
	s_waitcnt vmcnt(0) lgkmcnt(0)
	s_waitcnt_vscnt null, 0x0
	flat_load_b32 v2, v[14:15] glc
	s_waitcnt vmcnt(0) lgkmcnt(0)
	buffer_gl1_inv
	buffer_gl0_inv
	v_cmpx_ne_u32_e32 0, v2
	s_cbranch_execz .LBB2_1919
; %bb.1926:                             ;   in Loop: Header=BB2_1922 Depth=3
	ds_store_b32 v0, v2
	s_cbranch_execnz .LBB2_2444
; %bb.1927:                             ;   in Loop: Header=BB2_1922 Depth=3
	v_or_b32_e32 v30, 64, v30
	s_xor_b32 s37, exec_lo, -1
	s_branch .LBB2_1919
.LBB2_1928:                             ;   in Loop: Header=BB2_1913 Depth=2
	s_or_b32 exec_lo, exec_lo, s14
	v_and_b32_e32 v2, 4, v30
.LBB2_1929:                             ;   in Loop: Header=BB2_1913 Depth=2
	s_or_b32 exec_lo, exec_lo, s13
	s_delay_alu instid0(VALU_DEP_1)
	v_cmp_eq_u32_e32 vcc_lo, 0, v2
	;;#ASMSTART
	s_wakeup
	;;#ASMEND
	s_or_not1_b32 s13, vcc_lo, exec_lo
.LBB2_1930:                             ;   in Loop: Header=BB2_1913 Depth=2
	s_or_b32 exec_lo, exec_lo, s6
	s_xor_b32 s13, s13, -1
	s_delay_alu instid0(SALU_CYCLE_1)
	s_and_saveexec_b32 s6, s13
	s_cbranch_execz .LBB2_1940
; %bb.1931:                             ;   in Loop: Header=BB2_1913 Depth=2
	v_and_b32_e32 v2, 0x100, v30
	s_mov_b32 s13, -1
                                        ; implicit-def: $vgpr12_vgpr13
	s_delay_alu instid0(VALU_DEP_1)
	v_cmp_ne_u32_e32 vcc_lo, 0, v2
	v_and_b32_e32 v2, 7, v24
	s_and_saveexec_b32 s14, vcc_lo
	s_cbranch_execz .LBB2_1935
; %bb.1932:                             ;   in Loop: Header=BB2_1913 Depth=2
	s_delay_alu instid0(VALU_DEP_1)
	v_mad_u64_u32 v[14:15], null, v2, 24, v[6:7]
	s_mov_b32 s24, exec_lo
                                        ; implicit-def: $vgpr12_vgpr13
	flat_load_b32 v9, v[14:15]
	s_waitcnt vmcnt(0) lgkmcnt(0)
	v_cmp_ne_u32_e32 vcc_lo, 1, v9
	v_cmpx_eq_u32_e32 1, v9
	s_cbranch_execz .LBB2_1934
; %bb.1933:                             ;   in Loop: Header=BB2_1913 Depth=2
	flat_load_b32 v12, v[14:15] offset:4 glc
	s_waitcnt vmcnt(0) lgkmcnt(0)
	v_ashrrev_i32_e32 v13, 31, v12
	s_delay_alu instid0(VALU_DEP_1)
	v_lshrrev_b64 v[12:13], 1, v[12:13]
.LBB2_1934:                             ;   in Loop: Header=BB2_1913 Depth=2
	s_or_b32 exec_lo, exec_lo, s24
	s_delay_alu instid0(SALU_CYCLE_1)
	s_or_not1_b32 s13, vcc_lo, exec_lo
.LBB2_1935:                             ;   in Loop: Header=BB2_1913 Depth=2
	s_or_b32 exec_lo, exec_lo, s14
	s_and_saveexec_b32 s14, s13
; %bb.1936:                             ;   in Loop: Header=BB2_1913 Depth=2
	v_mad_i64_i32 v[12:13], null, v2, v87, 0
; %bb.1937:                             ;   in Loop: Header=BB2_1913 Depth=2
	s_or_b32 exec_lo, exec_lo, s14
	s_delay_alu instid0(VALU_DEP_1) | instskip(SKIP_2) | instid1(VALU_DEP_2)
	v_lshlrev_b64 v[12:13], 1, v[12:13]
	v_and_b32_e32 v2, 0x2000, v30
	s_mov_b32 s13, exec_lo
	v_add_co_u32 v12, vcc_lo, v26, v12
	s_delay_alu instid0(VALU_DEP_3)
	v_add_co_ci_u32_e32 v13, vcc_lo, v27, v13, vcc_lo
	ds_store_b64 v0, v[12:13] offset:720
	v_cmpx_ne_u32_e32 0, v2
	s_cbranch_execz .LBB2_1939
; %bb.1938:                             ;   in Loop: Header=BB2_1913 Depth=2
	ds_load_b64 v[12:13], v0 offset:584
	s_waitcnt lgkmcnt(0)
	v_add_co_u32 v12, vcc_lo, v12, 1
	v_add_co_ci_u32_e32 v13, vcc_lo, 0, v13, vcc_lo
	ds_store_b64 v0, v[12:13] offset:584
.LBB2_1939:                             ;   in Loop: Header=BB2_1913 Depth=2
	s_or_b32 exec_lo, exec_lo, s13
	v_add_co_u32 v24, vcc_lo, v24, 2
	v_add_co_ci_u32_e32 v25, vcc_lo, 0, v25, vcc_lo
.LBB2_1940:                             ;   in Loop: Header=BB2_1913 Depth=2
	s_or_b32 exec_lo, exec_lo, s6
	s_and_saveexec_b32 s13, s3
	s_cbranch_execz .LBB2_1962
; %bb.1941:                             ;   in Loop: Header=BB2_1913 Depth=2
	s_and_saveexec_b32 s6, s4
	s_delay_alu instid0(SALU_CYCLE_1)
	s_xor_b32 s6, exec_lo, s6
	s_cbranch_execz .LBB2_1959
; %bb.1942:                             ;   in Loop: Header=BB2_1913 Depth=2
	s_and_saveexec_b32 s14, s1
	s_cbranch_execz .LBB2_1958
; %bb.1943:                             ;   in Loop: Header=BB2_1913 Depth=2
	s_mov_b32 s35, exec_lo
	s_mov_b32 s24, exec_lo
	v_mbcnt_lo_u32_b32 v2, s35, 0
	s_waitcnt lgkmcnt(0)
	s_waitcnt_vscnt null, 0x0
	buffer_gl1_inv
	buffer_gl0_inv
	v_cmpx_eq_u32_e32 0, v2
	s_cbranch_execz .LBB2_1945
; %bb.1944:                             ;   in Loop: Header=BB2_1913 Depth=2
	s_bcnt1_i32_b32 vcc_lo, s35
	s_delay_alu instid0(SALU_CYCLE_1)
	v_mov_b32_e32 v2, vcc_lo
	ds_add_u64 v0, v[2:3]
	s_cbranch_execnz .LBB2_2486
.LBB2_1945:                             ;   in Loop: Header=BB2_1913 Depth=2
	s_or_b32 exec_lo, exec_lo, s24
	s_cbranch_execnz .LBB2_2454
; %bb.1946:                             ;   in Loop: Header=BB2_1913 Depth=2
	ds_load_b64 v[12:13], v0
	v_add_co_u32 v32, vcc_lo, v32, v99
	v_add_co_ci_u32_e32 v33, vcc_lo, 0, v33, vcc_lo
	s_mov_b32 s24, exec_lo
	s_waitcnt lgkmcnt(0)
	s_delay_alu instid0(VALU_DEP_1)
	v_cmpx_lt_u64_e64 v[12:13], v[32:33]
	s_cbranch_execz .LBB2_1957
; %bb.1947:                             ;   in Loop: Header=BB2_1913 Depth=2
	s_mov_b32 s35, 0
	s_mov_b32 s38, 0
                                        ; implicit-def: $sgpr36
                                        ; implicit-def: $sgpr37
	s_branch .LBB2_1949
.LBB2_1948:                             ;   in Loop: Header=BB2_1949 Depth=3
	s_or_b32 exec_lo, exec_lo, s40
	s_delay_alu instid0(SALU_CYCLE_1) | instskip(NEXT) | instid1(SALU_CYCLE_1)
	s_and_b32 vcc_lo, exec_lo, vcc_lo
	s_or_b32 s35, vcc_lo, s35
	s_and_not1_b32 vcc_lo, s36, exec_lo
	s_and_b32 s36, s37, exec_lo
	s_delay_alu instid0(SALU_CYCLE_1)
	s_or_b32 s36, vcc_lo, s36
	s_and_not1_b32 exec_lo, exec_lo, s35
	s_cbranch_execz .LBB2_1955
.LBB2_1949:                             ;   Parent Loop BB2_51 Depth=1
                                        ;     Parent Loop BB2_1913 Depth=2
                                        ; =>    This Inner Loop Header: Depth=3
	s_add_i32 s38, s38, 1
                                        ; implicit-def: $sgpr40
	s_delay_alu instid0(SALU_CYCLE_1) | instskip(SKIP_1) | instid1(SALU_CYCLE_1)
	s_cmpk_lg_i32 s38, 0x2710
	s_cselect_b32 s39, -1, 0
	s_and_b32 vcc_lo, exec_lo, s39
	s_cbranch_vccz .LBB2_1953
.LBB2_1950:                             ;   in Loop: Header=BB2_1949 Depth=3
	s_and_not1_b32 s37, s37, exec_lo
	s_and_b32 s40, s40, exec_lo
	s_mov_b32 vcc_lo, -1
	s_or_b32 s37, s37, s40
	s_and_saveexec_b32 s40, s39
	s_cbranch_execz .LBB2_1948
; %bb.1951:                             ;   in Loop: Header=BB2_1949 Depth=3
	s_sleep 1
	s_cbranch_execnz .LBB2_2536
; %bb.1952:                             ;   in Loop: Header=BB2_1949 Depth=3
	ds_load_b64 v[12:13], v0
	s_and_not1_b32 s37, s37, exec_lo
	s_waitcnt lgkmcnt(0)
	v_cmp_ge_u64_e32 vcc_lo, v[12:13], v[32:33]
	s_or_not1_b32 vcc_lo, vcc_lo, exec_lo
	s_branch .LBB2_1948
.LBB2_1953:                             ;   in Loop: Header=BB2_1949 Depth=3
	s_cbranch_execnz .LBB2_2552
; %bb.1954:                             ;   in Loop: Header=BB2_1949 Depth=3
	ds_load_b64 v[12:13], v0
	s_and_not1_b32 s39, s39, exec_lo
	s_mov_b32 s38, 0
	s_mov_b32 s40, -1
	s_waitcnt lgkmcnt(0)
	flat_load_b32 v2, v[12:13] glc
	s_waitcnt vmcnt(0) lgkmcnt(0)
	buffer_gl1_inv
	buffer_gl0_inv
	v_cmp_eq_u32_e32 vcc_lo, 0, v2
	s_and_b32 vcc_lo, vcc_lo, exec_lo
	s_delay_alu instid0(SALU_CYCLE_1)
	s_or_b32 s39, s39, vcc_lo
	s_branch .LBB2_1950
.LBB2_1955:                             ;   in Loop: Header=BB2_1913 Depth=2
	s_or_b32 exec_lo, exec_lo, s35
	s_and_saveexec_b32 vcc_lo, s36
	s_delay_alu instid0(SALU_CYCLE_1)
	s_xor_b32 vcc_lo, exec_lo, vcc_lo
	s_cbranch_execz .LBB2_1957
; %bb.1956:                             ;   in Loop: Header=BB2_1913 Depth=2
	ds_store_b32 v0, v133
	s_cbranch_execnz .LBB2_2672
.LBB2_1957:                             ;   in Loop: Header=BB2_1913 Depth=2
	s_or_b32 exec_lo, exec_lo, s24
	;;#ASMSTART
	s_wakeup
	;;#ASMEND
.LBB2_1958:                             ;   in Loop: Header=BB2_1913 Depth=2
	s_or_b32 exec_lo, exec_lo, s14
.LBB2_1959:                             ;   in Loop: Header=BB2_1913 Depth=2
	s_and_not1_saveexec_b32 s6, s6
	s_cbranch_execz .LBB2_1961
; %bb.1960:                             ;   in Loop: Header=BB2_1913 Depth=2
	s_waitcnt lgkmcnt(0)
	s_waitcnt_vscnt null, 0x0
	buffer_gl1_inv
	buffer_gl0_inv
	s_barrier
.LBB2_1961:                             ;   in Loop: Header=BB2_1913 Depth=2
	s_or_b32 exec_lo, exec_lo, s6
.LBB2_1962:                             ;   in Loop: Header=BB2_1913 Depth=2
	s_delay_alu instid0(SALU_CYCLE_1)
	s_or_b32 exec_lo, exec_lo, s13
	s_cbranch_execnz .LBB2_2322
; %bb.1963:                             ;   in Loop: Header=BB2_1913 Depth=2
	ds_load_b32 v12, v0
	v_and_b32_e32 v2, 0x4000, v30
	s_xor_b32 s6, s2, -1
	s_delay_alu instid0(VALU_DEP_1) | instskip(SKIP_1) | instid1(SALU_CYCLE_1)
	v_cmp_ne_u32_e32 vcc_lo, 0, v2
	s_and_b32 s6, s6, vcc_lo
	s_and_saveexec_b32 s13, s6
	s_cbranch_execz .LBB2_1985
; %bb.1964:                             ;   in Loop: Header=BB2_1913 Depth=2
	s_and_saveexec_b32 s6, s4
	s_delay_alu instid0(SALU_CYCLE_1)
	s_xor_b32 s6, exec_lo, s6
	s_cbranch_execz .LBB2_1982
; %bb.1965:                             ;   in Loop: Header=BB2_1913 Depth=2
	s_and_saveexec_b32 s14, s1
	s_cbranch_execz .LBB2_1981
; %bb.1966:                             ;   in Loop: Header=BB2_1913 Depth=2
	s_mov_b32 s35, exec_lo
	s_mov_b32 s24, exec_lo
	v_mbcnt_lo_u32_b32 v2, s35, 0
	s_waitcnt lgkmcnt(0)
	s_waitcnt_vscnt null, 0x0
	buffer_gl1_inv
	buffer_gl0_inv
	v_cmpx_eq_u32_e32 0, v2
	s_cbranch_execz .LBB2_1968
; %bb.1967:                             ;   in Loop: Header=BB2_1913 Depth=2
	s_bcnt1_i32_b32 vcc_lo, s35
	s_delay_alu instid0(SALU_CYCLE_1)
	v_mov_b32_e32 v2, vcc_lo
	ds_add_u64 v0, v[2:3]
	s_cbranch_execnz .LBB2_2524
.LBB2_1968:                             ;   in Loop: Header=BB2_1913 Depth=2
	s_or_b32 exec_lo, exec_lo, s24
	s_cbranch_execnz .LBB2_2506
; %bb.1969:                             ;   in Loop: Header=BB2_1913 Depth=2
	ds_load_b64 v[13:14], v0
	v_add_co_u32 v32, vcc_lo, v32, v99
	v_add_co_ci_u32_e32 v33, vcc_lo, 0, v33, vcc_lo
	s_mov_b32 s24, exec_lo
	s_waitcnt lgkmcnt(0)
	s_delay_alu instid0(VALU_DEP_1)
	v_cmpx_lt_u64_e64 v[13:14], v[32:33]
	s_cbranch_execz .LBB2_1980
; %bb.1970:                             ;   in Loop: Header=BB2_1913 Depth=2
	s_mov_b32 s35, 0
	s_mov_b32 s38, 0
                                        ; implicit-def: $sgpr36
                                        ; implicit-def: $sgpr37
	s_branch .LBB2_1972
.LBB2_1971:                             ;   in Loop: Header=BB2_1972 Depth=3
	s_or_b32 exec_lo, exec_lo, s40
	s_delay_alu instid0(SALU_CYCLE_1) | instskip(NEXT) | instid1(SALU_CYCLE_1)
	s_and_b32 vcc_lo, exec_lo, vcc_lo
	s_or_b32 s35, vcc_lo, s35
	s_and_not1_b32 vcc_lo, s36, exec_lo
	s_and_b32 s36, s37, exec_lo
	s_delay_alu instid0(SALU_CYCLE_1)
	s_or_b32 s36, vcc_lo, s36
	s_and_not1_b32 exec_lo, exec_lo, s35
	s_cbranch_execz .LBB2_1978
.LBB2_1972:                             ;   Parent Loop BB2_51 Depth=1
                                        ;     Parent Loop BB2_1913 Depth=2
                                        ; =>    This Inner Loop Header: Depth=3
	s_add_i32 s38, s38, 1
                                        ; implicit-def: $sgpr40
	s_delay_alu instid0(SALU_CYCLE_1) | instskip(SKIP_1) | instid1(SALU_CYCLE_1)
	s_cmpk_lg_i32 s38, 0x2710
	s_cselect_b32 s39, -1, 0
	s_and_b32 vcc_lo, exec_lo, s39
	s_cbranch_vccz .LBB2_1976
.LBB2_1973:                             ;   in Loop: Header=BB2_1972 Depth=3
	s_and_not1_b32 s37, s37, exec_lo
	s_and_b32 s40, s40, exec_lo
	s_mov_b32 vcc_lo, -1
	s_or_b32 s37, s37, s40
	s_and_saveexec_b32 s40, s39
	s_cbranch_execz .LBB2_1971
; %bb.1974:                             ;   in Loop: Header=BB2_1972 Depth=3
	s_sleep 1
	s_cbranch_execnz .LBB2_2590
; %bb.1975:                             ;   in Loop: Header=BB2_1972 Depth=3
	ds_load_b64 v[13:14], v0
	s_and_not1_b32 s37, s37, exec_lo
	s_waitcnt lgkmcnt(0)
	v_cmp_ge_u64_e32 vcc_lo, v[13:14], v[32:33]
	s_or_not1_b32 vcc_lo, vcc_lo, exec_lo
	s_branch .LBB2_1971
.LBB2_1976:                             ;   in Loop: Header=BB2_1972 Depth=3
	s_cbranch_execnz .LBB2_2602
; %bb.1977:                             ;   in Loop: Header=BB2_1972 Depth=3
	ds_load_b64 v[13:14], v0
	s_and_not1_b32 s39, s39, exec_lo
	s_mov_b32 s38, 0
	s_mov_b32 s40, -1
	s_waitcnt lgkmcnt(0)
	flat_load_b32 v2, v[13:14] glc
	s_waitcnt vmcnt(0) lgkmcnt(0)
	buffer_gl1_inv
	buffer_gl0_inv
	v_cmp_eq_u32_e32 vcc_lo, 0, v2
	s_and_b32 vcc_lo, vcc_lo, exec_lo
	s_delay_alu instid0(SALU_CYCLE_1)
	s_or_b32 s39, s39, vcc_lo
	s_branch .LBB2_1973
.LBB2_1978:                             ;   in Loop: Header=BB2_1913 Depth=2
	s_or_b32 exec_lo, exec_lo, s35
	s_and_saveexec_b32 vcc_lo, s36
	s_delay_alu instid0(SALU_CYCLE_1)
	s_xor_b32 vcc_lo, exec_lo, vcc_lo
	s_cbranch_execz .LBB2_1980
; %bb.1979:                             ;   in Loop: Header=BB2_1913 Depth=2
	ds_store_b32 v0, v133
	s_cbranch_execnz .LBB2_2688
.LBB2_1980:                             ;   in Loop: Header=BB2_1913 Depth=2
	s_or_b32 exec_lo, exec_lo, s24
	;;#ASMSTART
	s_wakeup
	;;#ASMEND
.LBB2_1981:                             ;   in Loop: Header=BB2_1913 Depth=2
	s_or_b32 exec_lo, exec_lo, s14
.LBB2_1982:                             ;   in Loop: Header=BB2_1913 Depth=2
	s_and_not1_saveexec_b32 s6, s6
	s_cbranch_execz .LBB2_1984
; %bb.1983:                             ;   in Loop: Header=BB2_1913 Depth=2
	s_waitcnt lgkmcnt(0)
	s_waitcnt_vscnt null, 0x0
	buffer_gl1_inv
	buffer_gl0_inv
	s_barrier
.LBB2_1984:                             ;   in Loop: Header=BB2_1913 Depth=2
	s_or_b32 exec_lo, exec_lo, s6
.LBB2_1985:                             ;   in Loop: Header=BB2_1913 Depth=2
	s_delay_alu instid0(SALU_CYCLE_1)
	s_or_b32 exec_lo, exec_lo, s13
	s_cbranch_execnz .LBB2_2380
; %bb.1986:                             ;   in Loop: Header=BB2_1913 Depth=2
	ds_load_b64 v[13:14], v0
	v_sub_nc_u32_e32 v2, v52, v8
	v_mov_b32_e32 v9, 0
	s_delay_alu instid0(VALU_DEP_2) | instskip(SKIP_3) | instid1(SALU_CYCLE_1)
	v_min_i32_e32 v53, v53, v2
	s_waitcnt lgkmcnt(0)
	v_cmp_eq_u64_e32 vcc_lo, 0, v[13:14]
	s_or_b32 s6, vcc_lo, vcc_lo
	s_and_b32 vcc_lo, exec_lo, s6
	s_cbranch_vccnz .LBB2_2021
; %bb.1987:                             ;   in Loop: Header=BB2_1913 Depth=2
	s_mov_b32 s6, -1
	s_and_saveexec_b32 s13, vcc_hi
	s_cbranch_execz .LBB2_1989
; %bb.1988:                             ;   in Loop: Header=BB2_1913 Depth=2
	ds_load_b32 v2, v0 offset:720
	s_waitcnt lgkmcnt(0)
	v_and_b32_e32 v2, 15, v2
	s_delay_alu instid0(VALU_DEP_1)
	v_cmp_eq_u32_e32 vcc_lo, 0, v2
	s_or_not1_b32 s6, vcc_lo, exec_lo
.LBB2_1989:                             ;   in Loop: Header=BB2_1913 Depth=2
	s_or_b32 exec_lo, exec_lo, s13
	s_and_saveexec_b32 s13, s5
	s_cbranch_execz .LBB2_1991
; %bb.1990:                             ;   in Loop: Header=BB2_1913 Depth=2
	ds_load_b32 v2, v0 offset:784
	s_waitcnt lgkmcnt(0)
	v_and_b32_e32 v2, 15, v2
	s_delay_alu instid0(VALU_DEP_1) | instskip(SKIP_3) | instid1(SALU_CYCLE_1)
	v_cmp_eq_u32_e32 vcc_lo, 0, v2
	s_and_b32 s14, s6, vcc_lo
	s_and_not1_b32 s6, s6, exec_lo
	s_and_b32 s14, s14, exec_lo
	s_or_b32 s6, s6, s14
.LBB2_1991:                             ;   in Loop: Header=BB2_1913 Depth=2
	s_or_b32 exec_lo, exec_lo, s13
	v_cmp_eq_u32_e32 vcc_lo, 0, v12
	s_xor_b32 s6, s6, -1
	s_mov_b32 s13, -1
	v_cndmask_b32_e64 v2, 0, 1, s6
	;;#ASMSTART
	;;#ASMEND
	v_dual_cndmask_b32 v9, 0, v53 :: v_dual_mov_b32 v54, 0
	s_delay_alu instid0(VALU_DEP_2) | instskip(NEXT) | instid1(VALU_DEP_2)
	v_cmp_ne_u32_e32 vcc_lo, 0, v2
	v_lshlrev_b32_e32 v2, 1, v9
	s_cbranch_vccz .LBB2_1993
; %bb.1992:                             ;   in Loop: Header=BB2_1913 Depth=2
	v_dual_mov_b32 v55, v0 :: v_dual_mov_b32 v66, v97
	s_branch .LBB2_2008
.LBB2_1993:                             ;   in Loop: Header=BB2_1913 Depth=2
	s_delay_alu instid0(VALU_DEP_1) | instskip(SKIP_1) | instid1(VALU_DEP_1)
	v_ashrrev_i32_e32 v12, 31, v2
	s_mov_b32 s6, exec_lo
	v_lshrrev_b32_e32 v12, 22, v12
	s_delay_alu instid0(VALU_DEP_1) | instskip(NEXT) | instid1(VALU_DEP_1)
	v_add_nc_u32_e32 v12, v2, v12
	v_ashrrev_i32_e32 v54, 10, v12
	s_delay_alu instid0(VALU_DEP_1) | instskip(NEXT) | instid1(VALU_DEP_1)
	v_sub_nc_u32_e32 v64, v54, v97
	v_cmpx_lt_i32_e32 0, v64
	s_cbranch_execz .LBB2_1998
; %bb.1994:                             ;   in Loop: Header=BB2_1913 Depth=2
	s_cbranch_execnz .LBB2_2558
; %bb.1995:                             ;   in Loop: Header=BB2_1913 Depth=2
	ds_load_b64 v[12:13], v0
	v_dual_mov_b32 v14, v38 :: v_dual_mov_b32 v15, v39
	s_mov_b32 s14, 0
.LBB2_1996:                             ;   Parent Loop BB2_51 Depth=1
                                        ;     Parent Loop BB2_1913 Depth=2
                                        ; =>    This Inner Loop Header: Depth=3
	s_waitcnt lgkmcnt(0)
	s_delay_alu instid0(VALU_DEP_1) | instskip(NEXT) | instid1(VALU_DEP_2)
	v_add_co_u32 v69, vcc_lo, v12, v14
	v_add_co_ci_u32_e32 v70, vcc_lo, v13, v15, vcc_lo
	v_sub_nc_u32_e32 v64, v64, v99
	v_add_co_u32 v14, s13, v14, v102
	s_clause 0x1
	global_load_b128 v[65:68], v[69:70], off slc dlc
	global_load_b128 v[80:83], v[69:70], off offset:512 slc dlc
	v_add_co_ci_u32_e64 v15, s13, v15, v103, s13
	v_cmp_gt_i32_e32 vcc_lo, 1, v64
	s_waitcnt vmcnt(1)
	global_store_b128 v[69:70], v[65:68], off glc slc dlc
	s_waitcnt vmcnt(0)
	global_store_b128 v[69:70], v[80:83], off offset:512 glc slc dlc
	s_or_b32 s14, vcc_lo, s14
	s_delay_alu instid0(SALU_CYCLE_1)
	s_and_not1_b32 exec_lo, exec_lo, s14
	s_cbranch_execnz .LBB2_1996
; %bb.1997:                             ;   in Loop: Header=BB2_1913 Depth=2
	s_or_b32 exec_lo, exec_lo, s14
.LBB2_1998:                             ;   in Loop: Header=BB2_1913 Depth=2
	s_delay_alu instid0(SALU_CYCLE_1) | instskip(SKIP_4) | instid1(VALU_DEP_2)
	s_or_b32 exec_lo, exec_lo, s6
	v_lshlrev_b32_e32 v14, 10, v54
	v_mov_b32_e32 v54, 0
	s_mov_b32 s13, 0
	s_mov_b32 s6, exec_lo
                                        ; implicit-def: $vgpr55
                                        ; implicit-def: $vgpr66
	v_cmpx_ne_u32_e64 v2, v14
	s_cbranch_execz .LBB2_2007
; %bb.1999:                             ;   in Loop: Header=BB2_1913 Depth=2
	v_lshlrev_b32_e32 v12, 5, v64
	v_sub_nc_u32_e32 v54, v2, v14
	s_mov_b32 s24, exec_lo
	s_delay_alu instid0(VALU_DEP_2) | instskip(NEXT) | instid1(VALU_DEP_2)
	v_sub_nc_u32_e32 v12, v98, v12
	v_ashrrev_i32_e32 v15, 31, v54
	s_delay_alu instid0(VALU_DEP_2) | instskip(NEXT) | instid1(VALU_DEP_2)
	v_ashrrev_i32_e32 v13, 31, v12
	v_lshrrev_b32_e32 v15, 23, v15
	s_delay_alu instid0(VALU_DEP_2) | instskip(NEXT) | instid1(VALU_DEP_2)
	v_lshrrev_b32_e32 v13, 27, v13
	v_add_nc_u32_e32 v66, v54, v15
	s_delay_alu instid0(VALU_DEP_2) | instskip(NEXT) | instid1(VALU_DEP_2)
	v_add_nc_u32_e32 v13, v12, v13
	v_and_b32_e32 v15, 0xfffffe00, v66
	v_ashrrev_i32_e32 v66, 9, v66
	s_delay_alu instid0(VALU_DEP_3) | instskip(NEXT) | instid1(VALU_DEP_3)
	v_and_b32_e32 v55, 0xffffffe0, v13
	v_sub_nc_u32_e32 v65, v54, v15
	s_delay_alu instid0(VALU_DEP_2) | instskip(SKIP_1) | instid1(VALU_DEP_3)
	v_sub_nc_u32_e32 v64, v12, v55
	v_ashrrev_i32_e32 v12, 5, v13
	v_cmp_lt_i32_e32 vcc_lo, 15, v65
	s_delay_alu instid0(VALU_DEP_3) | instskip(NEXT) | instid1(VALU_DEP_1)
	v_lshlrev_b32_e32 v13, 4, v64
	v_lshl_add_u32 v55, v12, 9, v13
	v_add_co_ci_u32_e64 v13, s13, 0, v66, vcc_lo
	s_delay_alu instid0(VALU_DEP_2) | instskip(NEXT) | instid1(VALU_DEP_2)
	v_sub_nc_u32_e32 v54, v54, v55
	v_sub_nc_u32_e32 v67, v13, v12
	s_delay_alu instid0(VALU_DEP_2)
	v_cmpx_lt_i32_e32 15, v54
	s_cbranch_execz .LBB2_2004
; %bb.2000:                             ;   in Loop: Header=BB2_1913 Depth=2
	s_cbranch_execnz .LBB2_2614
; %bb.2001:                             ;   in Loop: Header=BB2_1913 Depth=2
	ds_load_b64 v[12:13], v0
	v_add_nc_u32_e32 v55, v55, v14
	s_mov_b32 s35, 0
	s_delay_alu instid0(VALU_DEP_1)
	v_ashrrev_i32_e32 v66, 31, v55
.LBB2_2002:                             ;   Parent Loop BB2_51 Depth=1
                                        ;     Parent Loop BB2_1913 Depth=2
                                        ; =>    This Inner Loop Header: Depth=3
	s_waitcnt lgkmcnt(0)
	v_add_co_u32 v80, s13, v12, v55
	s_delay_alu instid0(VALU_DEP_1)
	v_add_co_ci_u32_e64 v81, s13, v13, v66, s13
	v_sub_nc_u32_e32 v54, v54, v100
	v_add_co_u32 v55, s14, v55, v114
	global_load_b128 v[68:71], v[80:81], off slc dlc
	v_sub_nc_u32_e32 v67, v67, v99
	v_cmp_gt_i32_e64 s13, 16, v54
	v_add_co_ci_u32_e64 v66, s14, v66, v115, s14
	s_delay_alu instid0(VALU_DEP_2)
	s_or_b32 s35, s13, s35
	s_waitcnt vmcnt(0)
	global_store_b128 v[80:81], v[68:71], off glc slc dlc
	s_and_not1_b32 exec_lo, exec_lo, s35
	s_cbranch_execnz .LBB2_2002
; %bb.2003:                             ;   in Loop: Header=BB2_1913 Depth=2
	s_or_b32 exec_lo, exec_lo, s35
.LBB2_2004:                             ;   in Loop: Header=BB2_1913 Depth=2
	s_delay_alu instid0(SALU_CYCLE_1) | instskip(SKIP_4) | instid1(VALU_DEP_2)
	s_or_b32 exec_lo, exec_lo, s24
	v_and_b32_e32 v12, 14, v2
	v_mov_b32_e32 v54, 0
	s_mov_b32 s14, 0
	s_mov_b32 s24, exec_lo
                                        ; implicit-def: $vgpr55
                                        ; implicit-def: $vgpr66
	v_cndmask_b32_e32 v2, v65, v12, vcc_lo
	s_delay_alu instid0(VALU_DEP_1)
	v_cmpx_ne_u32_e32 0, v2
; %bb.2005:                             ;   in Loop: Header=BB2_1913 Depth=2
	v_cmp_lt_i32_e64 s13, 0, v67
	v_sub_nc_u32_e32 v12, v65, v12
	s_mov_b32 s14, exec_lo
	s_delay_alu instid0(VALU_DEP_2) | instskip(NEXT) | instid1(VALU_DEP_1)
	v_cndmask_b32_e64 v13, 0, v99, s13
	v_sub_nc_u32_e32 v13, v13, v67
	s_delay_alu instid0(VALU_DEP_1) | instskip(NEXT) | instid1(VALU_DEP_1)
	v_lshl_add_u32 v55, v13, 5, v64
	v_ashrrev_i32_e32 v13, 31, v55
	s_delay_alu instid0(VALU_DEP_1) | instskip(NEXT) | instid1(VALU_DEP_1)
	v_lshrrev_b32_e32 v13, 27, v13
	v_dual_cndmask_b32 v12, 0, v12 :: v_dual_add_nc_u32 v13, v55, v13
	s_delay_alu instid0(VALU_DEP_1) | instskip(NEXT) | instid1(VALU_DEP_2)
	v_add3_u32 v54, v15, v14, v12
	v_ashrrev_i32_e32 v66, 5, v13
; %bb.2006:                             ;   in Loop: Header=BB2_1913 Depth=2
	s_or_b32 exec_lo, exec_lo, s24
	s_delay_alu instid0(SALU_CYCLE_1)
	s_and_b32 s13, s14, exec_lo
.LBB2_2007:                             ;   in Loop: Header=BB2_1913 Depth=2
	s_or_b32 exec_lo, exec_lo, s6
.LBB2_2008:                             ;   in Loop: Header=BB2_1913 Depth=2
	s_and_saveexec_b32 s14, s13
	s_cbranch_execz .LBB2_2020
; %bb.2009:                             ;   in Loop: Header=BB2_1913 Depth=2
	v_ashrrev_i32_e32 v12, 31, v2
	s_mov_b32 s6, exec_lo
	s_delay_alu instid0(VALU_DEP_1) | instskip(NEXT) | instid1(VALU_DEP_1)
	v_lshrrev_b32_e32 v12, 24, v12
	v_add_nc_u32_e32 v12, v2, v12
	s_delay_alu instid0(VALU_DEP_1) | instskip(NEXT) | instid1(VALU_DEP_1)
	v_ashrrev_i32_e32 v65, 8, v12
	v_sub_nc_u32_e32 v64, v65, v66
	s_delay_alu instid0(VALU_DEP_1)
	v_cmpx_lt_i32_e32 0, v64
	s_cbranch_execz .LBB2_2014
; %bb.2010:                             ;   in Loop: Header=BB2_1913 Depth=2
	s_cbranch_execnz .LBB2_2548
; %bb.2011:                             ;   in Loop: Header=BB2_1913 Depth=2
	v_ashrrev_i32_e32 v12, 31, v55
	s_mov_b32 s24, 0
	s_delay_alu instid0(VALU_DEP_1) | instskip(NEXT) | instid1(VALU_DEP_1)
	v_lshrrev_b32_e32 v12, 27, v12
	v_add_nc_u32_e32 v12, v55, v12
	s_delay_alu instid0(VALU_DEP_1) | instskip(SKIP_3) | instid1(VALU_DEP_1)
	v_and_b32_e32 v14, 0x7fffffe0, v12
	ds_load_b64 v[12:13], v0
	v_lshlrev_b32_e32 v15, 8, v66
	v_sub_nc_u32_e32 v14, v55, v14
	v_lshlrev_b32_e32 v14, 1, v14
	s_delay_alu instid0(VALU_DEP_1) | instskip(NEXT) | instid1(VALU_DEP_1)
	v_add3_u32 v66, v14, v54, v15
	v_ashrrev_i32_e32 v67, 31, v66
	s_waitcnt lgkmcnt(0)
	v_dual_mov_b32 v15, v13 :: v_dual_mov_b32 v14, v12
	s_set_inst_prefetch_distance 0x1
.LBB2_2012:                             ;   Parent Loop BB2_51 Depth=1
                                        ;     Parent Loop BB2_1913 Depth=2
                                        ; =>    This Inner Loop Header: Depth=3
	s_delay_alu instid0(VALU_DEP_1) | instskip(NEXT) | instid1(VALU_DEP_2)
	v_add_co_u32 v68, vcc_lo, v66, v14
	v_add_co_ci_u32_e32 v69, vcc_lo, v67, v15, vcc_lo
	v_sub_nc_u32_e32 v64, v64, v99
	s_clause 0x3
	flat_load_u16 v70, v[68:69] slc dlc
	flat_load_u16 v71, v[68:69] offset:64 slc dlc
	flat_load_u16 v80, v[68:69] offset:128 slc dlc
	;; [unrolled: 1-line block ×3, first 2 shown]
	v_add_co_u32 v68, vcc_lo, v66, v12
	v_add_co_ci_u32_e32 v69, vcc_lo, v67, v13, vcc_lo
	v_add_co_u32 v14, vcc_lo, v14, v117
	v_add_co_ci_u32_e32 v15, vcc_lo, v15, v118, vcc_lo
	v_add_co_u32 v12, vcc_lo, v12, v117
	v_cmp_gt_i32_e64 s13, 1, v64
	v_add_co_ci_u32_e32 v13, vcc_lo, v13, v118, vcc_lo
	s_waitcnt vmcnt(3) lgkmcnt(3)
	flat_store_b16 v[68:69], v70 glc slc dlc
	s_waitcnt vmcnt(2) lgkmcnt(3)
	flat_store_b16 v[68:69], v71 offset:64 glc slc dlc
	s_waitcnt vmcnt(1) lgkmcnt(3)
	flat_store_b16 v[68:69], v80 offset:128 glc slc dlc
	;; [unrolled: 2-line block ×3, first 2 shown]
	s_or_b32 s24, s13, s24
	s_delay_alu instid0(SALU_CYCLE_1)
	s_and_not1_b32 exec_lo, exec_lo, s24
	s_cbranch_execnz .LBB2_2012
; %bb.2013:                             ;   in Loop: Header=BB2_1913 Depth=2
	s_set_inst_prefetch_distance 0x2
	s_or_b32 exec_lo, exec_lo, s24
.LBB2_2014:                             ;   in Loop: Header=BB2_1913 Depth=2
	s_delay_alu instid0(SALU_CYCLE_1) | instskip(SKIP_2) | instid1(VALU_DEP_1)
	s_or_b32 exec_lo, exec_lo, s6
	v_lshlrev_b32_e32 v12, 8, v65
	s_mov_b32 s6, exec_lo
	v_cmpx_ne_u32_e64 v2, v12
	s_cbranch_execz .LBB2_2019
; %bb.2015:                             ;   in Loop: Header=BB2_1913 Depth=2
	v_ashrrev_i32_e32 v13, 31, v55
	v_lshlrev_b32_e32 v14, 5, v64
	s_delay_alu instid0(VALU_DEP_2) | instskip(NEXT) | instid1(VALU_DEP_1)
	v_lshrrev_b32_e32 v13, 27, v13
	v_add_nc_u32_e32 v13, v55, v13
	s_delay_alu instid0(VALU_DEP_1) | instskip(NEXT) | instid1(VALU_DEP_1)
	v_and_b32_e32 v13, 0xffffffe0, v13
	v_sub_nc_u32_e32 v13, v55, v13
	s_delay_alu instid0(VALU_DEP_1) | instskip(NEXT) | instid1(VALU_DEP_1)
	v_sub_nc_u32_e32 v13, v13, v14
	v_ashrrev_i32_e32 v14, 31, v13
	s_delay_alu instid0(VALU_DEP_1) | instskip(NEXT) | instid1(VALU_DEP_1)
	v_lshrrev_b32_e32 v14, 27, v14
	v_add_nc_u32_e32 v14, v13, v14
	s_delay_alu instid0(VALU_DEP_1) | instskip(SKIP_1) | instid1(VALU_DEP_2)
	v_and_b32_e32 v15, 0x7fffffe0, v14
	v_lshlrev_b32_e32 v14, 1, v14
	v_sub_nc_u32_e32 v13, v13, v15
	s_delay_alu instid0(VALU_DEP_2) | instskip(NEXT) | instid1(VALU_DEP_2)
	v_and_b32_e32 v14, 0xffffffc0, v14
	v_lshlrev_b32_e32 v13, 1, v13
	s_delay_alu instid0(VALU_DEP_1) | instskip(NEXT) | instid1(VALU_DEP_1)
	v_add3_u32 v14, v14, v13, v12
	v_sub_nc_u32_e32 v2, v2, v14
	s_delay_alu instid0(VALU_DEP_1)
	v_cmp_lt_i32_e32 vcc_lo, 1, v2
	s_and_b32 exec_lo, exec_lo, vcc_lo
	s_cbranch_execz .LBB2_2019
; %bb.2016:                             ;   in Loop: Header=BB2_1913 Depth=2
	s_cbranch_execnz .LBB2_2608
; %bb.2017:                             ;   in Loop: Header=BB2_1913 Depth=2
	ds_load_b64 v[12:13], v0
	v_add_nc_u32_e32 v14, v14, v54
	s_mov_b32 s24, 0
	s_delay_alu instid0(VALU_DEP_1)
	v_ashrrev_i32_e32 v15, 31, v14
.LBB2_2018:                             ;   Parent Loop BB2_51 Depth=1
                                        ;     Parent Loop BB2_1913 Depth=2
                                        ; =>    This Inner Loop Header: Depth=3
	s_waitcnt lgkmcnt(0)
	v_add_co_u32 v54, vcc_lo, v12, v14
	s_delay_alu instid0(VALU_DEP_2)
	v_add_co_ci_u32_e32 v55, vcc_lo, v13, v15, vcc_lo
	v_sub_nc_u32_e32 v2, v2, v113
	v_add_co_u32 v14, s13, v14, v128
	flat_load_u16 v64, v[54:55] slc dlc
	v_add_co_ci_u32_e64 v15, s13, v15, v129, s13
	v_cmp_gt_i32_e32 vcc_lo, 2, v2
	s_or_b32 s24, vcc_lo, s24
	s_waitcnt vmcnt(0) lgkmcnt(0)
	flat_store_b16 v[54:55], v64 glc slc dlc
	s_and_not1_b32 exec_lo, exec_lo, s24
	s_cbranch_execnz .LBB2_2018
.LBB2_2019:                             ;   in Loop: Header=BB2_1913 Depth=2
	s_or_b32 exec_lo, exec_lo, s6
.LBB2_2020:                             ;   in Loop: Header=BB2_1913 Depth=2
	s_delay_alu instid0(SALU_CYCLE_1)
	s_or_b32 exec_lo, exec_lo, s14
.LBB2_2021:                             ;   in Loop: Header=BB2_1913 Depth=2
	s_and_saveexec_b32 s13, s3
	s_cbranch_execz .LBB2_2043
; %bb.2022:                             ;   in Loop: Header=BB2_1913 Depth=2
	s_and_saveexec_b32 s6, s4
	s_delay_alu instid0(SALU_CYCLE_1)
	s_xor_b32 s6, exec_lo, s6
	s_cbranch_execz .LBB2_2040
; %bb.2023:                             ;   in Loop: Header=BB2_1913 Depth=2
	s_and_saveexec_b32 s14, s1
	s_cbranch_execz .LBB2_2039
; %bb.2024:                             ;   in Loop: Header=BB2_1913 Depth=2
	s_mov_b32 s35, exec_lo
	s_mov_b32 s24, exec_lo
	v_mbcnt_lo_u32_b32 v2, s35, 0
	s_waitcnt lgkmcnt(0)
	s_waitcnt_vscnt null, 0x0
	buffer_gl1_inv
	buffer_gl0_inv
	v_cmpx_eq_u32_e32 0, v2
	s_cbranch_execz .LBB2_2026
; %bb.2025:                             ;   in Loop: Header=BB2_1913 Depth=2
	s_bcnt1_i32_b32 vcc_lo, s35
	s_delay_alu instid0(SALU_CYCLE_1)
	v_mov_b32_e32 v2, vcc_lo
	ds_add_u64 v0, v[2:3]
	s_cbranch_execnz .LBB2_2594
.LBB2_2026:                             ;   in Loop: Header=BB2_1913 Depth=2
	s_or_b32 exec_lo, exec_lo, s24
	s_cbranch_execnz .LBB2_2568
; %bb.2027:                             ;   in Loop: Header=BB2_1913 Depth=2
	ds_load_b64 v[12:13], v0
	v_add_co_u32 v32, vcc_lo, v32, v99
	v_add_co_ci_u32_e32 v33, vcc_lo, 0, v33, vcc_lo
	s_mov_b32 s24, exec_lo
	s_waitcnt lgkmcnt(0)
	s_delay_alu instid0(VALU_DEP_1)
	v_cmpx_lt_u64_e64 v[12:13], v[32:33]
	s_cbranch_execz .LBB2_2038
; %bb.2028:                             ;   in Loop: Header=BB2_1913 Depth=2
	s_mov_b32 s35, 0
	s_mov_b32 s38, 0
                                        ; implicit-def: $sgpr36
                                        ; implicit-def: $sgpr37
	s_branch .LBB2_2030
.LBB2_2029:                             ;   in Loop: Header=BB2_2030 Depth=3
	s_or_b32 exec_lo, exec_lo, s40
	s_delay_alu instid0(SALU_CYCLE_1) | instskip(NEXT) | instid1(SALU_CYCLE_1)
	s_and_b32 vcc_lo, exec_lo, vcc_lo
	s_or_b32 s35, vcc_lo, s35
	s_and_not1_b32 vcc_lo, s36, exec_lo
	s_and_b32 s36, s37, exec_lo
	s_delay_alu instid0(SALU_CYCLE_1)
	s_or_b32 s36, vcc_lo, s36
	s_and_not1_b32 exec_lo, exec_lo, s35
	s_cbranch_execz .LBB2_2036
.LBB2_2030:                             ;   Parent Loop BB2_51 Depth=1
                                        ;     Parent Loop BB2_1913 Depth=2
                                        ; =>    This Inner Loop Header: Depth=3
	s_add_i32 s38, s38, 1
                                        ; implicit-def: $sgpr40
	s_delay_alu instid0(SALU_CYCLE_1) | instskip(SKIP_1) | instid1(SALU_CYCLE_1)
	s_cmpk_lg_i32 s38, 0x2710
	s_cselect_b32 s39, -1, 0
	s_and_b32 vcc_lo, exec_lo, s39
	s_cbranch_vccnz .LBB2_2033
; %bb.2031:                             ;   in Loop: Header=BB2_2030 Depth=3
	s_cbranch_execnz .LBB2_2638
; %bb.2032:                             ;   in Loop: Header=BB2_2030 Depth=3
	ds_load_b64 v[12:13], v0
	s_and_not1_b32 s39, s39, exec_lo
	s_mov_b32 s38, 0
	s_mov_b32 s40, -1
	s_waitcnt lgkmcnt(0)
	flat_load_b32 v2, v[12:13] glc
	s_waitcnt vmcnt(0) lgkmcnt(0)
	buffer_gl1_inv
	buffer_gl0_inv
	v_cmp_eq_u32_e32 vcc_lo, 0, v2
	s_and_b32 vcc_lo, vcc_lo, exec_lo
	s_delay_alu instid0(SALU_CYCLE_1)
	s_or_b32 s39, s39, vcc_lo
.LBB2_2033:                             ;   in Loop: Header=BB2_2030 Depth=3
	s_and_not1_b32 s37, s37, exec_lo
	s_and_b32 s40, s40, exec_lo
	s_mov_b32 vcc_lo, -1
	s_or_b32 s37, s37, s40
	s_and_saveexec_b32 s40, s39
	s_cbranch_execz .LBB2_2029
; %bb.2034:                             ;   in Loop: Header=BB2_2030 Depth=3
	s_sleep 1
	s_cbranch_execnz .LBB2_2626
; %bb.2035:                             ;   in Loop: Header=BB2_2030 Depth=3
	ds_load_b64 v[12:13], v0
	s_and_not1_b32 s37, s37, exec_lo
	s_waitcnt lgkmcnt(0)
	v_cmp_ge_u64_e32 vcc_lo, v[12:13], v[32:33]
	s_or_not1_b32 vcc_lo, vcc_lo, exec_lo
	s_branch .LBB2_2029
.LBB2_2036:                             ;   in Loop: Header=BB2_1913 Depth=2
	s_or_b32 exec_lo, exec_lo, s35
	s_and_saveexec_b32 vcc_lo, s36
	s_delay_alu instid0(SALU_CYCLE_1)
	s_xor_b32 vcc_lo, exec_lo, vcc_lo
	s_cbranch_execz .LBB2_2038
; %bb.2037:                             ;   in Loop: Header=BB2_1913 Depth=2
	ds_store_b32 v0, v133
	s_cbranch_execnz .LBB2_2692
.LBB2_2038:                             ;   in Loop: Header=BB2_1913 Depth=2
	s_or_b32 exec_lo, exec_lo, s24
	;;#ASMSTART
	s_wakeup
	;;#ASMEND
.LBB2_2039:                             ;   in Loop: Header=BB2_1913 Depth=2
	s_or_b32 exec_lo, exec_lo, s14
.LBB2_2040:                             ;   in Loop: Header=BB2_1913 Depth=2
	s_and_not1_saveexec_b32 s6, s6
	s_cbranch_execz .LBB2_2042
; %bb.2041:                             ;   in Loop: Header=BB2_1913 Depth=2
	s_waitcnt lgkmcnt(0)
	s_waitcnt_vscnt null, 0x0
	buffer_gl1_inv
	buffer_gl0_inv
	s_barrier
.LBB2_2042:                             ;   in Loop: Header=BB2_1913 Depth=2
	s_or_b32 exec_lo, exec_lo, s6
.LBB2_2043:                             ;   in Loop: Header=BB2_1913 Depth=2
	s_delay_alu instid0(SALU_CYCLE_1) | instskip(SKIP_1) | instid1(SALU_CYCLE_1)
	s_or_b32 exec_lo, exec_lo, s13
	s_and_saveexec_b32 s6, s7
	s_xor_b32 s6, exec_lo, s6
	s_cbranch_execz .LBB2_2047
; %bb.2044:                             ;   in Loop: Header=BB2_1913 Depth=2
	v_and_b32_e32 v2, 16, v30
	v_cmp_lt_i32_e32 vcc_lo, 0, v9
	s_delay_alu instid0(VALU_DEP_2) | instskip(NEXT) | instid1(VALU_DEP_1)
	v_cmp_ne_u32_e64 s13, 0, v2
	s_and_b32 s14, s13, vcc_lo
	s_delay_alu instid0(SALU_CYCLE_1)
	s_and_saveexec_b32 s13, s14
	s_cbranch_execz .LBB2_2046
; %bb.2045:                             ;   in Loop: Header=BB2_1913 Depth=2
	s_waitcnt lgkmcnt(0)
	s_waitcnt_vscnt null, 0x0
	buffer_gl1_inv
	buffer_gl0_inv
.LBB2_2046:                             ;   in Loop: Header=BB2_1913 Depth=2
	s_or_b32 exec_lo, exec_lo, s13
.LBB2_2047:                             ;   in Loop: Header=BB2_1913 Depth=2
	s_and_not1_saveexec_b32 s13, s6
	s_cbranch_execz .LBB2_2069
; %bb.2048:                             ;   in Loop: Header=BB2_1913 Depth=2
	s_and_saveexec_b32 s6, s4
	s_delay_alu instid0(SALU_CYCLE_1)
	s_xor_b32 s6, exec_lo, s6
	s_cbranch_execz .LBB2_2066
; %bb.2049:                             ;   in Loop: Header=BB2_1913 Depth=2
	s_and_saveexec_b32 s14, s1
	s_cbranch_execz .LBB2_2065
; %bb.2050:                             ;   in Loop: Header=BB2_1913 Depth=2
	s_mov_b32 s35, exec_lo
	s_mov_b32 s24, exec_lo
	v_mbcnt_lo_u32_b32 v2, s35, 0
	;;#ASMSTART
	s_waitcnt lgkmcnt(0) vmcnt(0)
	;;#ASMEND
	s_delay_alu instid0(VALU_DEP_1)
	v_cmpx_eq_u32_e32 0, v2
	s_cbranch_execz .LBB2_2052
; %bb.2051:                             ;   in Loop: Header=BB2_1913 Depth=2
	s_bcnt1_i32_b32 vcc_lo, s35
	s_delay_alu instid0(SALU_CYCLE_1)
	v_mov_b32_e32 v2, vcc_lo
	ds_add_u64 v0, v[2:3]
	s_cbranch_execnz .LBB2_2598
.LBB2_2052:                             ;   in Loop: Header=BB2_1913 Depth=2
	s_or_b32 exec_lo, exec_lo, s24
	s_cbranch_execnz .LBB2_2578
; %bb.2053:                             ;   in Loop: Header=BB2_1913 Depth=2
	ds_load_b64 v[12:13], v0
	v_add_co_u32 v32, vcc_lo, v32, v99
	v_add_co_ci_u32_e32 v33, vcc_lo, 0, v33, vcc_lo
	s_mov_b32 s24, exec_lo
	s_waitcnt lgkmcnt(0)
	s_delay_alu instid0(VALU_DEP_1)
	v_cmpx_lt_u64_e64 v[12:13], v[32:33]
	s_cbranch_execz .LBB2_2064
; %bb.2054:                             ;   in Loop: Header=BB2_1913 Depth=2
	s_mov_b32 s35, 0
	s_mov_b32 s38, 0
                                        ; implicit-def: $sgpr36
                                        ; implicit-def: $sgpr37
	s_branch .LBB2_2056
.LBB2_2055:                             ;   in Loop: Header=BB2_2056 Depth=3
	s_or_b32 exec_lo, exec_lo, s40
	s_delay_alu instid0(SALU_CYCLE_1) | instskip(NEXT) | instid1(SALU_CYCLE_1)
	s_and_b32 vcc_lo, exec_lo, vcc_lo
	s_or_b32 s35, vcc_lo, s35
	s_and_not1_b32 vcc_lo, s36, exec_lo
	s_and_b32 s36, s37, exec_lo
	s_delay_alu instid0(SALU_CYCLE_1)
	s_or_b32 s36, vcc_lo, s36
	s_and_not1_b32 exec_lo, exec_lo, s35
	s_cbranch_execz .LBB2_2062
.LBB2_2056:                             ;   Parent Loop BB2_51 Depth=1
                                        ;     Parent Loop BB2_1913 Depth=2
                                        ; =>    This Inner Loop Header: Depth=3
	s_add_i32 s38, s38, 1
                                        ; implicit-def: $sgpr40
	s_delay_alu instid0(SALU_CYCLE_1) | instskip(SKIP_1) | instid1(SALU_CYCLE_1)
	s_cmpk_lg_i32 s38, 0x2710
	s_cselect_b32 s39, -1, 0
	s_and_b32 vcc_lo, exec_lo, s39
	s_cbranch_vccz .LBB2_2060
.LBB2_2057:                             ;   in Loop: Header=BB2_2056 Depth=3
	s_and_not1_b32 s37, s37, exec_lo
	s_and_b32 s40, s40, exec_lo
	s_mov_b32 vcc_lo, -1
	s_or_b32 s37, s37, s40
	s_and_saveexec_b32 s40, s39
	s_cbranch_execz .LBB2_2055
; %bb.2058:                             ;   in Loop: Header=BB2_2056 Depth=3
	s_sleep 1
	s_cbranch_execnz .LBB2_2632
; %bb.2059:                             ;   in Loop: Header=BB2_2056 Depth=3
	ds_load_b64 v[12:13], v0
	s_and_not1_b32 s37, s37, exec_lo
	s_waitcnt lgkmcnt(0)
	v_cmp_ge_u64_e32 vcc_lo, v[12:13], v[32:33]
	s_or_not1_b32 vcc_lo, vcc_lo, exec_lo
	s_branch .LBB2_2055
.LBB2_2060:                             ;   in Loop: Header=BB2_2056 Depth=3
	s_cbranch_execnz .LBB2_2646
; %bb.2061:                             ;   in Loop: Header=BB2_2056 Depth=3
	ds_load_b64 v[12:13], v0
	s_and_not1_b32 s39, s39, exec_lo
	s_mov_b32 s38, 0
	s_mov_b32 s40, -1
	s_waitcnt lgkmcnt(0)
	s_waitcnt_vscnt null, 0x0
	flat_load_b32 v2, v[12:13] glc
	s_waitcnt vmcnt(0) lgkmcnt(0)
	buffer_gl1_inv
	buffer_gl0_inv
	v_cmp_eq_u32_e32 vcc_lo, 0, v2
	s_and_b32 vcc_lo, vcc_lo, exec_lo
	s_delay_alu instid0(SALU_CYCLE_1)
	s_or_b32 s39, s39, vcc_lo
	s_branch .LBB2_2057
.LBB2_2062:                             ;   in Loop: Header=BB2_1913 Depth=2
	s_or_b32 exec_lo, exec_lo, s35
	s_and_saveexec_b32 vcc_lo, s36
	s_delay_alu instid0(SALU_CYCLE_1)
	s_xor_b32 vcc_lo, exec_lo, vcc_lo
	s_cbranch_execz .LBB2_2064
; %bb.2063:                             ;   in Loop: Header=BB2_1913 Depth=2
	ds_store_b32 v0, v133
	s_cbranch_execnz .LBB2_2694
.LBB2_2064:                             ;   in Loop: Header=BB2_1913 Depth=2
	s_or_b32 exec_lo, exec_lo, s24
	;;#ASMSTART
	s_wakeup
	;;#ASMEND
.LBB2_2065:                             ;   in Loop: Header=BB2_1913 Depth=2
	s_or_b32 exec_lo, exec_lo, s14
.LBB2_2066:                             ;   in Loop: Header=BB2_1913 Depth=2
	s_and_not1_saveexec_b32 s6, s6
	s_cbranch_execz .LBB2_2068
; %bb.2067:                             ;   in Loop: Header=BB2_1913 Depth=2
	;;#ASMSTART
	s_waitcnt lgkmcnt(0) vmcnt(0)
	;;#ASMEND
	s_waitcnt lgkmcnt(0)
	s_waitcnt_vscnt null, 0x0
	s_barrier
.LBB2_2068:                             ;   in Loop: Header=BB2_1913 Depth=2
	s_or_b32 exec_lo, exec_lo, s6
.LBB2_2069:                             ;   in Loop: Header=BB2_1913 Depth=2
	s_delay_alu instid0(SALU_CYCLE_1) | instskip(SKIP_2) | instid1(VALU_DEP_1)
	s_or_b32 exec_lo, exec_lo, s13
	v_and_b32_e32 v2, 32, v30
	s_mov_b32 s6, exec_lo
	v_cmpx_ne_u32_e32 0, v2
	s_cbranch_execz .LBB2_2071
; %bb.2070:                             ;   in Loop: Header=BB2_1913 Depth=2
	v_add_co_u32 v24, vcc_lo, v24, 2
	v_add_co_ci_u32_e32 v25, vcc_lo, 0, v25, vcc_lo
	s_waitcnt lgkmcnt(0)
	s_waitcnt_vscnt null, 0x0
	flat_store_b64 v[22:23], v[24:25]
.LBB2_2071:                             ;   in Loop: Header=BB2_1913 Depth=2
	s_or_b32 exec_lo, exec_lo, s6
	v_add_nc_u32_e32 v8, v53, v8
	s_xor_b32 s6, s31, -1
	v_mov_b32_e32 v2, s34
	s_mov_b32 s31, 0
	s_mov_b32 s34, 2
	v_cmp_ge_i32_e32 vcc_lo, v8, v52
	s_or_b32 s6, s6, vcc_lo
	s_delay_alu instid0(SALU_CYCLE_1) | instskip(NEXT) | instid1(SALU_CYCLE_1)
	s_and_b32 s6, exec_lo, s6
	s_or_b32 s30, s6, s30
	s_delay_alu instid0(SALU_CYCLE_1)
	s_and_not1_b32 exec_lo, exec_lo, s30
	s_cbranch_execnz .LBB2_1913
; %bb.2072:                             ;   in Loop: Header=BB2_51 Depth=1
	s_or_b32 exec_lo, exec_lo, s30
.LBB2_2073:                             ;   in Loop: Header=BB2_51 Depth=1
	s_delay_alu instid0(SALU_CYCLE_1) | instskip(NEXT) | instid1(SALU_CYCLE_1)
	s_or_b32 exec_lo, exec_lo, s15
	s_mov_b32 s14, exec_lo
	v_cmpx_gt_i32_e32 2, v2
	s_cbranch_execz .LBB2_2152
; %bb.2074:                             ;   in Loop: Header=BB2_51 Depth=1
	v_cmp_eq_u32_e64 s13, 0, v2
	s_mov_b32 s15, 0
.LBB2_2075:                             ;   Parent Loop BB2_51 Depth=1
                                        ; =>  This Loop Header: Depth=2
                                        ;       Child Loop BB2_2081 Depth 3
                                        ;       Child Loop BB2_2108 Depth 3
	;; [unrolled: 1-line block ×3, first 2 shown]
	v_and_b32_e32 v2, 4, v30
	s_mov_b32 s24, -1
	s_mov_b32 s6, exec_lo
	s_delay_alu instid0(VALU_DEP_1)
	v_cmpx_ne_u32_e32 0, v2
	s_cbranch_execz .LBB2_2089
; %bb.2076:                             ;   in Loop: Header=BB2_2075 Depth=2
	v_add_co_u32 v9, vcc_lo, v24, 2
	v_add_co_ci_u32_e32 v10, vcc_lo, 0, v25, vcc_lo
	v_mov_b32_e32 v2, 1
	s_mov_b32 s24, exec_lo
	s_delay_alu instid0(VALU_DEP_2)
	v_cmpx_lt_u64_e64 v[34:35], v[9:10]
	s_cbranch_execz .LBB2_2088
; %bb.2077:                             ;   in Loop: Header=BB2_2075 Depth=2
	v_mov_b32_e32 v2, 0
	s_mov_b32 s30, 0
                                        ; implicit-def: $sgpr31
	s_branch .LBB2_2081
.LBB2_2078:                             ;   in Loop: Header=BB2_2081 Depth=3
	s_or_b32 exec_lo, exec_lo, s37
	v_mov_b32_e32 v11, 0
	s_or_not1_b32 s36, s36, exec_lo
.LBB2_2079:                             ;   in Loop: Header=BB2_2081 Depth=3
	s_or_b32 exec_lo, exec_lo, s35
	s_delay_alu instid0(VALU_DEP_1) | instskip(SKIP_2) | instid1(SALU_CYCLE_1)
	v_mov_b32_e32 v2, v11
	s_and_not1_b32 vcc_lo, s31, exec_lo
	s_and_b32 s31, s36, exec_lo
	s_or_b32 s31, vcc_lo, s31
.LBB2_2080:                             ;   in Loop: Header=BB2_2081 Depth=3
	s_or_b32 exec_lo, exec_lo, s34
	s_waitcnt vmcnt(0) lgkmcnt(0)
	v_cmp_ge_u64_e32 vcc_lo, v[34:35], v[9:10]
	s_xor_b32 s34, s31, -1
	s_delay_alu instid0(SALU_CYCLE_1) | instskip(NEXT) | instid1(SALU_CYCLE_1)
	s_or_b32 vcc_lo, s34, vcc_lo
	s_and_b32 vcc_lo, exec_lo, vcc_lo
	s_delay_alu instid0(SALU_CYCLE_1) | instskip(NEXT) | instid1(SALU_CYCLE_1)
	s_or_b32 s30, vcc_lo, s30
	s_and_not1_b32 exec_lo, exec_lo, s30
	s_cbranch_execz .LBB2_2087
.LBB2_2081:                             ;   Parent Loop BB2_51 Depth=1
                                        ;     Parent Loop BB2_2075 Depth=2
                                        ; =>    This Inner Loop Header: Depth=3
	s_sleep 1
	flat_load_b64 v[34:35], v[22:23] glc
	v_and_b32_e32 v11, 64, v30
	s_and_not1_b32 s31, s31, exec_lo
	s_mov_b32 s34, exec_lo
	s_delay_alu instid0(VALU_DEP_1)
	v_cmpx_eq_u32_e32 0, v11
	s_cbranch_execz .LBB2_2080
; %bb.2082:                             ;   in Loop: Header=BB2_2081 Depth=3
	v_add_nc_u32_e32 v11, 1, v2
	s_mov_b32 s36, -1
	s_mov_b32 s35, exec_lo
	v_cmpx_lt_i32_e32 0x270e, v2
	s_cbranch_execz .LBB2_2079
; %bb.2083:                             ;   in Loop: Header=BB2_2081 Depth=3
	s_cbranch_execnz .LBB2_2366
; %bb.2084:                             ;   in Loop: Header=BB2_2081 Depth=3
	ds_load_b64 v[11:12], v0
	s_mov_b32 s37, exec_lo
	s_waitcnt vmcnt(0) lgkmcnt(0)
	s_waitcnt_vscnt null, 0x0
	flat_load_b32 v2, v[11:12] glc
	s_waitcnt vmcnt(0) lgkmcnt(0)
	buffer_gl1_inv
	buffer_gl0_inv
	v_cmpx_ne_u32_e32 0, v2
	s_cbranch_execz .LBB2_2078
; %bb.2085:                             ;   in Loop: Header=BB2_2081 Depth=3
	ds_store_b32 v0, v2
	s_cbranch_execnz .LBB2_2440
; %bb.2086:                             ;   in Loop: Header=BB2_2081 Depth=3
	v_or_b32_e32 v30, 64, v30
	s_xor_b32 s36, exec_lo, -1
	s_branch .LBB2_2078
.LBB2_2087:                             ;   in Loop: Header=BB2_2075 Depth=2
	s_or_b32 exec_lo, exec_lo, s30
	v_and_b32_e32 v2, 4, v30
.LBB2_2088:                             ;   in Loop: Header=BB2_2075 Depth=2
	s_or_b32 exec_lo, exec_lo, s24
	s_delay_alu instid0(VALU_DEP_1)
	v_cmp_eq_u32_e32 vcc_lo, 0, v2
	;;#ASMSTART
	s_wakeup
	;;#ASMEND
	s_or_not1_b32 s24, vcc_lo, exec_lo
.LBB2_2089:                             ;   in Loop: Header=BB2_2075 Depth=2
	s_or_b32 exec_lo, exec_lo, s6
	s_xor_b32 s6, s13, -1
	s_delay_alu instid0(SALU_CYCLE_1) | instskip(NEXT) | instid1(SALU_CYCLE_1)
	s_and_b32 s6, exec_lo, s6
	s_or_b32 s15, s6, s15
	s_xor_b32 s13, s24, -1
	s_delay_alu instid0(SALU_CYCLE_1)
	s_and_saveexec_b32 s6, s13
	s_cbranch_execz .LBB2_2099
; %bb.2090:                             ;   in Loop: Header=BB2_2075 Depth=2
	v_and_b32_e32 v2, 0x100, v30
	s_mov_b32 s13, -1
                                        ; implicit-def: $vgpr9_vgpr10
	s_delay_alu instid0(VALU_DEP_1)
	v_cmp_ne_u32_e32 vcc_lo, 0, v2
	v_and_b32_e32 v2, 7, v24
	s_and_saveexec_b32 s24, vcc_lo
	s_cbranch_execz .LBB2_2094
; %bb.2091:                             ;   in Loop: Header=BB2_2075 Depth=2
	s_delay_alu instid0(VALU_DEP_1) | instskip(SKIP_4) | instid1(VALU_DEP_1)
	v_mad_u64_u32 v[11:12], null, v2, 24, v[6:7]
	flat_load_b32 v9, v[11:12]
	s_waitcnt vmcnt(0) lgkmcnt(0)
	v_cmp_ne_u32_e32 vcc_lo, 1, v9
	v_cmp_eq_u32_e64 s13, 1, v9
                                        ; implicit-def: $vgpr9_vgpr10
	s_and_saveexec_b32 s30, s13
	s_cbranch_execz .LBB2_2093
; %bb.2092:                             ;   in Loop: Header=BB2_2075 Depth=2
	flat_load_b32 v9, v[11:12] offset:4 glc
	s_waitcnt vmcnt(0) lgkmcnt(0)
	v_ashrrev_i32_e32 v10, 31, v9
	s_delay_alu instid0(VALU_DEP_1)
	v_lshrrev_b64 v[9:10], 1, v[9:10]
.LBB2_2093:                             ;   in Loop: Header=BB2_2075 Depth=2
	s_or_b32 exec_lo, exec_lo, s30
	s_delay_alu instid0(SALU_CYCLE_1)
	s_or_not1_b32 s13, vcc_lo, exec_lo
.LBB2_2094:                             ;   in Loop: Header=BB2_2075 Depth=2
	s_or_b32 exec_lo, exec_lo, s24
	s_and_saveexec_b32 s24, s13
; %bb.2095:                             ;   in Loop: Header=BB2_2075 Depth=2
	v_mad_i64_i32 v[9:10], null, v2, v87, 0
; %bb.2096:                             ;   in Loop: Header=BB2_2075 Depth=2
	s_or_b32 exec_lo, exec_lo, s24
	s_delay_alu instid0(VALU_DEP_1) | instskip(SKIP_2) | instid1(VALU_DEP_2)
	v_lshlrev_b64 v[9:10], 1, v[9:10]
	v_and_b32_e32 v2, 0x2000, v30
	s_mov_b32 s13, exec_lo
	v_add_co_u32 v9, vcc_lo, v26, v9
	s_delay_alu instid0(VALU_DEP_3)
	v_add_co_ci_u32_e32 v10, vcc_lo, v27, v10, vcc_lo
	ds_store_b64 v0, v[9:10] offset:720
	v_cmpx_ne_u32_e32 0, v2
	s_cbranch_execz .LBB2_2098
; %bb.2097:                             ;   in Loop: Header=BB2_2075 Depth=2
	ds_load_b64 v[9:10], v0 offset:584
	s_waitcnt lgkmcnt(0)
	v_add_co_u32 v9, vcc_lo, v9, 1
	v_add_co_ci_u32_e32 v10, vcc_lo, 0, v10, vcc_lo
	ds_store_b64 v0, v[9:10] offset:584
.LBB2_2098:                             ;   in Loop: Header=BB2_2075 Depth=2
	s_or_b32 exec_lo, exec_lo, s13
	v_add_co_u32 v24, vcc_lo, v24, 2
	v_add_co_ci_u32_e32 v25, vcc_lo, 0, v25, vcc_lo
.LBB2_2099:                             ;   in Loop: Header=BB2_2075 Depth=2
	s_or_b32 exec_lo, exec_lo, s6
	s_and_saveexec_b32 s13, s3
	s_cbranch_execz .LBB2_2121
; %bb.2100:                             ;   in Loop: Header=BB2_2075 Depth=2
	s_and_saveexec_b32 s6, s4
	s_delay_alu instid0(SALU_CYCLE_1)
	s_xor_b32 s6, exec_lo, s6
	s_cbranch_execz .LBB2_2118
; %bb.2101:                             ;   in Loop: Header=BB2_2075 Depth=2
	s_and_saveexec_b32 s24, s1
	s_cbranch_execz .LBB2_2117
; %bb.2102:                             ;   in Loop: Header=BB2_2075 Depth=2
	s_mov_b32 s31, exec_lo
	s_mov_b32 s30, exec_lo
	v_mbcnt_lo_u32_b32 v2, s31, 0
	s_waitcnt lgkmcnt(0)
	s_waitcnt_vscnt null, 0x0
	buffer_gl1_inv
	buffer_gl0_inv
	v_cmpx_eq_u32_e32 0, v2
	s_cbranch_execz .LBB2_2104
; %bb.2103:                             ;   in Loop: Header=BB2_2075 Depth=2
	s_bcnt1_i32_b32 vcc_lo, s31
	s_delay_alu instid0(SALU_CYCLE_1)
	v_mov_b32_e32 v2, vcc_lo
	ds_add_u64 v0, v[2:3]
	s_cbranch_execnz .LBB2_2474
.LBB2_2104:                             ;   in Loop: Header=BB2_2075 Depth=2
	s_or_b32 exec_lo, exec_lo, s30
	s_cbranch_execnz .LBB2_2448
; %bb.2105:                             ;   in Loop: Header=BB2_2075 Depth=2
	ds_load_b64 v[9:10], v0
	v_add_co_u32 v32, vcc_lo, v32, v99
	v_add_co_ci_u32_e32 v33, vcc_lo, 0, v33, vcc_lo
	s_mov_b32 s30, exec_lo
	s_waitcnt lgkmcnt(0)
	s_delay_alu instid0(VALU_DEP_1)
	v_cmpx_lt_u64_e64 v[9:10], v[32:33]
	s_cbranch_execz .LBB2_2116
; %bb.2106:                             ;   in Loop: Header=BB2_2075 Depth=2
	s_mov_b32 s31, 0
	s_mov_b32 s36, 0
                                        ; implicit-def: $sgpr34
                                        ; implicit-def: $sgpr35
	s_branch .LBB2_2108
.LBB2_2107:                             ;   in Loop: Header=BB2_2108 Depth=3
	s_or_b32 exec_lo, exec_lo, s38
	s_delay_alu instid0(SALU_CYCLE_1) | instskip(NEXT) | instid1(SALU_CYCLE_1)
	s_and_b32 vcc_lo, exec_lo, vcc_lo
	s_or_b32 s31, vcc_lo, s31
	s_and_not1_b32 vcc_lo, s34, exec_lo
	s_and_b32 s34, s35, exec_lo
	s_delay_alu instid0(SALU_CYCLE_1)
	s_or_b32 s34, vcc_lo, s34
	s_and_not1_b32 exec_lo, exec_lo, s31
	s_cbranch_execz .LBB2_2114
.LBB2_2108:                             ;   Parent Loop BB2_51 Depth=1
                                        ;     Parent Loop BB2_2075 Depth=2
                                        ; =>    This Inner Loop Header: Depth=3
	s_add_i32 s36, s36, 1
                                        ; implicit-def: $sgpr38
	s_delay_alu instid0(SALU_CYCLE_1) | instskip(SKIP_1) | instid1(SALU_CYCLE_1)
	s_cmpk_lg_i32 s36, 0x2710
	s_cselect_b32 s37, -1, 0
	s_and_b32 vcc_lo, exec_lo, s37
	s_cbranch_vccz .LBB2_2112
.LBB2_2109:                             ;   in Loop: Header=BB2_2108 Depth=3
	s_and_not1_b32 s35, s35, exec_lo
	s_and_b32 s38, s38, exec_lo
	s_mov_b32 vcc_lo, -1
	s_or_b32 s35, s35, s38
	s_and_saveexec_b32 s38, s37
	s_cbranch_execz .LBB2_2107
; %bb.2110:                             ;   in Loop: Header=BB2_2108 Depth=3
	s_sleep 1
	s_cbranch_execnz .LBB2_2522
; %bb.2111:                             ;   in Loop: Header=BB2_2108 Depth=3
	ds_load_b64 v[9:10], v0
	s_and_not1_b32 s35, s35, exec_lo
	s_waitcnt lgkmcnt(0)
	v_cmp_ge_u64_e32 vcc_lo, v[9:10], v[32:33]
	s_or_not1_b32 vcc_lo, vcc_lo, exec_lo
	s_branch .LBB2_2107
.LBB2_2112:                             ;   in Loop: Header=BB2_2108 Depth=3
	s_cbranch_execnz .LBB2_2544
; %bb.2113:                             ;   in Loop: Header=BB2_2108 Depth=3
	ds_load_b64 v[9:10], v0
	s_and_not1_b32 s37, s37, exec_lo
	s_mov_b32 s36, 0
	s_mov_b32 s38, -1
	s_waitcnt lgkmcnt(0)
	flat_load_b32 v2, v[9:10] glc
	s_waitcnt vmcnt(0) lgkmcnt(0)
	buffer_gl1_inv
	buffer_gl0_inv
	v_cmp_eq_u32_e32 vcc_lo, 0, v2
	s_and_b32 vcc_lo, vcc_lo, exec_lo
	s_delay_alu instid0(SALU_CYCLE_1)
	s_or_b32 s37, s37, vcc_lo
	s_branch .LBB2_2109
.LBB2_2114:                             ;   in Loop: Header=BB2_2075 Depth=2
	s_or_b32 exec_lo, exec_lo, s31
	s_and_saveexec_b32 vcc_lo, s34
	s_delay_alu instid0(SALU_CYCLE_1)
	s_xor_b32 vcc_lo, exec_lo, vcc_lo
	s_cbranch_execz .LBB2_2116
; %bb.2115:                             ;   in Loop: Header=BB2_2075 Depth=2
	ds_store_b32 v0, v133
	s_cbranch_execnz .LBB2_2668
.LBB2_2116:                             ;   in Loop: Header=BB2_2075 Depth=2
	s_or_b32 exec_lo, exec_lo, s30
	;;#ASMSTART
	s_wakeup
	;;#ASMEND
.LBB2_2117:                             ;   in Loop: Header=BB2_2075 Depth=2
	s_or_b32 exec_lo, exec_lo, s24
.LBB2_2118:                             ;   in Loop: Header=BB2_2075 Depth=2
	s_and_not1_saveexec_b32 s6, s6
	s_cbranch_execz .LBB2_2120
; %bb.2119:                             ;   in Loop: Header=BB2_2075 Depth=2
	s_waitcnt lgkmcnt(0)
	s_waitcnt_vscnt null, 0x0
	buffer_gl1_inv
	buffer_gl0_inv
	s_barrier
.LBB2_2120:                             ;   in Loop: Header=BB2_2075 Depth=2
	s_or_b32 exec_lo, exec_lo, s6
.LBB2_2121:                             ;   in Loop: Header=BB2_2075 Depth=2
	s_delay_alu instid0(SALU_CYCLE_1) | instskip(SKIP_1) | instid1(VALU_DEP_1)
	s_or_b32 exec_lo, exec_lo, s13
	v_sub_nc_u32_e32 v2, v52, v8
	v_min_i32_e32 v53, v53, v2
	s_and_saveexec_b32 s6, s7
	s_delay_alu instid0(SALU_CYCLE_1)
	s_xor_b32 s6, exec_lo, s6
	s_cbranch_execz .LBB2_2126
; %bb.2122:                             ;   in Loop: Header=BB2_2075 Depth=2
	s_cbranch_execnz .LBB2_2362
; %bb.2123:                             ;   in Loop: Header=BB2_2075 Depth=2
	ds_load_b32 v2, v0
	v_cmp_lt_i32_e32 vcc_lo, 0, v53
	s_waitcnt lgkmcnt(0)
	v_readfirstlane_b32 s13, v2
	v_and_b32_e32 v2, 16, v30
	s_delay_alu instid0(VALU_DEP_2) | instskip(NEXT) | instid1(VALU_DEP_1)
	s_cmp_eq_u32 s13, 0
	v_cmp_ne_u32_e64 s13, 0, v2
	s_cselect_b32 s24, -1, 0
	s_delay_alu instid0(SALU_CYCLE_1)
	s_and_b32 s24, vcc_lo, s24
	s_delay_alu instid0(VALU_DEP_1) | instid1(SALU_CYCLE_1)
	s_and_b32 s24, s13, s24
	s_delay_alu instid0(SALU_CYCLE_1)
	s_and_saveexec_b32 s13, s24
	s_cbranch_execz .LBB2_2125
; %bb.2124:                             ;   in Loop: Header=BB2_2075 Depth=2
	s_waitcnt_vscnt null, 0x0
	buffer_gl1_inv
	buffer_gl0_inv
.LBB2_2125:                             ;   in Loop: Header=BB2_2075 Depth=2
	s_or_b32 exec_lo, exec_lo, s13
.LBB2_2126:                             ;   in Loop: Header=BB2_2075 Depth=2
	s_and_not1_saveexec_b32 s13, s6
	s_cbranch_execz .LBB2_2148
; %bb.2127:                             ;   in Loop: Header=BB2_2075 Depth=2
	s_and_saveexec_b32 s6, s4
	s_delay_alu instid0(SALU_CYCLE_1)
	s_xor_b32 s6, exec_lo, s6
	s_cbranch_execz .LBB2_2145
; %bb.2128:                             ;   in Loop: Header=BB2_2075 Depth=2
	s_and_saveexec_b32 s24, s1
	s_cbranch_execz .LBB2_2144
; %bb.2129:                             ;   in Loop: Header=BB2_2075 Depth=2
	s_mov_b32 s31, exec_lo
	s_mov_b32 s30, exec_lo
	v_mbcnt_lo_u32_b32 v2, s31, 0
	;;#ASMSTART
	s_waitcnt lgkmcnt(0) vmcnt(0)
	;;#ASMEND
	s_delay_alu instid0(VALU_DEP_1)
	v_cmpx_eq_u32_e32 0, v2
	s_cbranch_execz .LBB2_2131
; %bb.2130:                             ;   in Loop: Header=BB2_2075 Depth=2
	s_bcnt1_i32_b32 vcc_lo, s31
	s_delay_alu instid0(SALU_CYCLE_1)
	v_mov_b32_e32 v2, vcc_lo
	ds_add_u64 v0, v[2:3]
	s_cbranch_execnz .LBB2_2502
.LBB2_2131:                             ;   in Loop: Header=BB2_2075 Depth=2
	s_or_b32 exec_lo, exec_lo, s30
	s_cbranch_execnz .LBB2_2472
; %bb.2132:                             ;   in Loop: Header=BB2_2075 Depth=2
	ds_load_b64 v[9:10], v0
	v_add_co_u32 v32, vcc_lo, v32, v99
	v_add_co_ci_u32_e32 v33, vcc_lo, 0, v33, vcc_lo
	s_mov_b32 s30, exec_lo
	s_waitcnt lgkmcnt(0)
	s_delay_alu instid0(VALU_DEP_1)
	v_cmpx_lt_u64_e64 v[9:10], v[32:33]
	s_cbranch_execz .LBB2_2143
; %bb.2133:                             ;   in Loop: Header=BB2_2075 Depth=2
	s_mov_b32 s31, 0
	s_mov_b32 s36, 0
                                        ; implicit-def: $sgpr34
                                        ; implicit-def: $sgpr35
	s_branch .LBB2_2135
.LBB2_2134:                             ;   in Loop: Header=BB2_2135 Depth=3
	s_or_b32 exec_lo, exec_lo, s38
	s_delay_alu instid0(SALU_CYCLE_1) | instskip(NEXT) | instid1(SALU_CYCLE_1)
	s_and_b32 vcc_lo, exec_lo, vcc_lo
	s_or_b32 s31, vcc_lo, s31
	s_and_not1_b32 vcc_lo, s34, exec_lo
	s_and_b32 s34, s35, exec_lo
	s_delay_alu instid0(SALU_CYCLE_1)
	s_or_b32 s34, vcc_lo, s34
	s_and_not1_b32 exec_lo, exec_lo, s31
	s_cbranch_execz .LBB2_2141
.LBB2_2135:                             ;   Parent Loop BB2_51 Depth=1
                                        ;     Parent Loop BB2_2075 Depth=2
                                        ; =>    This Inner Loop Header: Depth=3
	s_add_i32 s36, s36, 1
                                        ; implicit-def: $sgpr38
	s_delay_alu instid0(SALU_CYCLE_1) | instskip(SKIP_1) | instid1(SALU_CYCLE_1)
	s_cmpk_lg_i32 s36, 0x2710
	s_cselect_b32 s37, -1, 0
	s_and_b32 vcc_lo, exec_lo, s37
	s_cbranch_vccz .LBB2_2139
.LBB2_2136:                             ;   in Loop: Header=BB2_2135 Depth=3
	s_and_not1_b32 s35, s35, exec_lo
	s_and_b32 s38, s38, exec_lo
	s_mov_b32 vcc_lo, -1
	s_or_b32 s35, s35, s38
	s_and_saveexec_b32 s38, s37
	s_cbranch_execz .LBB2_2134
; %bb.2137:                             ;   in Loop: Header=BB2_2135 Depth=3
	s_sleep 1
	s_cbranch_execnz .LBB2_2556
; %bb.2138:                             ;   in Loop: Header=BB2_2135 Depth=3
	ds_load_b64 v[9:10], v0
	s_and_not1_b32 s35, s35, exec_lo
	s_waitcnt lgkmcnt(0)
	v_cmp_ge_u64_e32 vcc_lo, v[9:10], v[32:33]
	s_or_not1_b32 vcc_lo, vcc_lo, exec_lo
	s_branch .LBB2_2134
.LBB2_2139:                             ;   in Loop: Header=BB2_2135 Depth=3
	s_cbranch_execnz .LBB2_2576
; %bb.2140:                             ;   in Loop: Header=BB2_2135 Depth=3
	ds_load_b64 v[9:10], v0
	s_and_not1_b32 s37, s37, exec_lo
	s_mov_b32 s36, 0
	s_mov_b32 s38, -1
	s_waitcnt lgkmcnt(0)
	s_waitcnt_vscnt null, 0x0
	flat_load_b32 v2, v[9:10] glc
	s_waitcnt vmcnt(0) lgkmcnt(0)
	buffer_gl1_inv
	buffer_gl0_inv
	v_cmp_eq_u32_e32 vcc_lo, 0, v2
	s_and_b32 vcc_lo, vcc_lo, exec_lo
	s_delay_alu instid0(SALU_CYCLE_1)
	s_or_b32 s37, s37, vcc_lo
	s_branch .LBB2_2136
.LBB2_2141:                             ;   in Loop: Header=BB2_2075 Depth=2
	s_or_b32 exec_lo, exec_lo, s31
	s_and_saveexec_b32 vcc_lo, s34
	s_delay_alu instid0(SALU_CYCLE_1)
	s_xor_b32 vcc_lo, exec_lo, vcc_lo
	s_cbranch_execz .LBB2_2143
; %bb.2142:                             ;   in Loop: Header=BB2_2075 Depth=2
	ds_store_b32 v0, v133
	s_cbranch_execnz .LBB2_2682
.LBB2_2143:                             ;   in Loop: Header=BB2_2075 Depth=2
	s_or_b32 exec_lo, exec_lo, s30
	;;#ASMSTART
	s_wakeup
	;;#ASMEND
.LBB2_2144:                             ;   in Loop: Header=BB2_2075 Depth=2
	s_or_b32 exec_lo, exec_lo, s24
.LBB2_2145:                             ;   in Loop: Header=BB2_2075 Depth=2
	s_and_not1_saveexec_b32 s6, s6
	s_cbranch_execz .LBB2_2147
; %bb.2146:                             ;   in Loop: Header=BB2_2075 Depth=2
	;;#ASMSTART
	s_waitcnt lgkmcnt(0) vmcnt(0)
	;;#ASMEND
	s_waitcnt lgkmcnt(0)
	s_waitcnt_vscnt null, 0x0
	s_barrier
.LBB2_2147:                             ;   in Loop: Header=BB2_2075 Depth=2
	s_or_b32 exec_lo, exec_lo, s6
.LBB2_2148:                             ;   in Loop: Header=BB2_2075 Depth=2
	s_delay_alu instid0(SALU_CYCLE_1) | instskip(SKIP_2) | instid1(VALU_DEP_1)
	s_or_b32 exec_lo, exec_lo, s13
	v_and_b32_e32 v2, 32, v30
	s_mov_b32 s6, exec_lo
	v_cmpx_ne_u32_e32 0, v2
	s_cbranch_execz .LBB2_2150
; %bb.2149:                             ;   in Loop: Header=BB2_2075 Depth=2
	v_add_co_u32 v24, vcc_lo, v24, 2
	v_add_co_ci_u32_e32 v25, vcc_lo, 0, v25, vcc_lo
	s_waitcnt lgkmcnt(0)
	s_waitcnt_vscnt null, 0x0
	flat_store_b64 v[22:23], v[24:25]
.LBB2_2150:                             ;   in Loop: Header=BB2_2075 Depth=2
	s_or_b32 exec_lo, exec_lo, s6
	v_add_nc_u32_e32 v8, v53, v8
	s_mov_b32 s13, 0
	s_and_not1_b32 exec_lo, exec_lo, s15
	s_cbranch_execnz .LBB2_2075
; %bb.2151:                             ;   in Loop: Header=BB2_51 Depth=1
	s_or_b32 exec_lo, exec_lo, s15
.LBB2_2152:                             ;   in Loop: Header=BB2_51 Depth=1
	s_delay_alu instid0(SALU_CYCLE_1)
	s_or_b32 exec_lo, exec_lo, s14
	v_add_co_u32 v48, vcc_lo, v48, v36
	v_add_co_ci_u32_e32 v49, vcc_lo, v49, v37, vcc_lo
	v_readlane_b32 s13, v42, 0
	v_readlane_b32 s31, v42, 6
	;; [unrolled: 1-line block ×3, first 2 shown]
	s_delay_alu instid0(VALU_DEP_4) | instskip(SKIP_4) | instid1(SALU_CYCLE_1)
	v_cmp_ge_i64_e32 vcc_lo, v[48:49], v[4:5]
	v_readlane_b32 s35, v42, 8
	s_mov_b32 s14, s17
	v_readlane_b32 s6, v42, 1
	s_or_b32 s13, vcc_lo, s13
	v_writelane_b32 v42, s13, 0
	s_and_not1_b32 exec_lo, exec_lo, s13
	s_cbranch_execnz .LBB2_51
; %bb.2153:
	s_delay_alu instid0(VALU_DEP_1) | instskip(NEXT) | instid1(VALU_DEP_1)
	v_readlane_b32 s0, v42, 0
	s_or_b32 exec_lo, exec_lo, s0
.LBB2_2154:
	s_delay_alu instid0(SALU_CYCLE_1)
	s_or_b32 exec_lo, exec_lo, s20
; %bb.2155:
	v_and_b32_e32 v0, 0x800, v30
	s_mov_b32 s0, exec_lo
	s_delay_alu instid0(VALU_DEP_1)
	v_cmpx_eq_u32_e32 0, v0
	s_cbranch_execz .LBB2_2412
; %bb.2156:
	v_and_b32_e32 v0, 48, v30
	s_mov_b32 s1, exec_lo
	s_delay_alu instid0(VALU_DEP_1)
	v_cmpx_ne_u32_e32 0, v0
	s_cbranch_execz .LBB2_2158
; %bb.2157:
	flat_store_b64 v[20:21], v[24:25] offset:104
.LBB2_2158:
	s_or_b32 exec_lo, exec_lo, s1
	v_and_b32_e32 v0, 0x88, v30
	s_mov_b32 s1, exec_lo
	s_delay_alu instid0(VALU_DEP_1)
	v_cmpx_eq_u32_e32 0x88, v0
	s_cbranch_execz .LBB2_2208
; %bb.2159:
	v_add_nc_u32_e32 v0, 6, v24
	s_mov_b32 s2, 0
                                        ; implicit-def: $sgpr3
	s_delay_alu instid0(VALU_DEP_1) | instskip(NEXT) | instid1(VALU_DEP_1)
	v_and_b32_e32 v0, 7, v0
	v_mad_u64_u32 v[2:3], null, v0, 24, v[6:7]
	v_mov_b32_e32 v0, 0
	s_delay_alu instid0(VALU_DEP_2) | instskip(NEXT) | instid1(VALU_DEP_3)
	v_add_co_u32 v2, vcc_lo, v2, 8
	v_add_co_ci_u32_e32 v3, vcc_lo, 0, v3, vcc_lo
	s_branch .LBB2_2194
.LBB2_2160:
	s_trap 2
	s_sendmsg_rtn_b32 s0, sendmsg(MSG_RTN_GET_DOORBELL)
	s_mov_b32 ttmp2, m0
	s_waitcnt lgkmcnt(0)
	s_and_b32 s0, s0, 0x3ff
	s_delay_alu instid0(SALU_CYCLE_1) | instskip(NEXT) | instid1(SALU_CYCLE_1)
	s_bitset1_b32 s0, 10
	s_mov_b32 m0, s0
	s_sendmsg sendmsg(MSG_INTERRUPT)
	s_mov_b32 m0, ttmp2
.LBB2_2161:                             ; =>This Inner Loop Header: Depth=1
	s_sethalt 5
	s_branch .LBB2_2161
.LBB2_2162:
	v_bfe_u32 v9, v7, 8, 8
	v_not_b32_e32 v8, v8
	s_mov_b32 s1, exec_lo
                                        ; implicit-def: $vgpr14_vgpr15
                                        ; implicit-def: $vgpr16_vgpr17
                                        ; implicit-def: $vgpr4_vgpr5
	s_delay_alu instid0(VALU_DEP_2)
	v_cmpx_ne_u32_e64 v9, v6
	s_xor_b32 s1, exec_lo, s1
	s_cbranch_execz .LBB2_2164
; %bb.2163:
	s_clause 0x1
	flat_load_b128 v[9:12], v[2:3] offset:72
	flat_load_b64 v[4:5], v[2:3] offset:96
	v_add_nc_u32_e32 v6, v6, v8
                                        ; implicit-def: $vgpr8
	s_waitcnt vmcnt(0) lgkmcnt(0)
	v_lshrrev_b64 v[14:15], 13, v[4:5]
	v_dual_mov_b32 v4, v11 :: v_dual_mov_b32 v5, v12
	s_delay_alu instid0(VALU_DEP_3) | instskip(SKIP_2) | instid1(VALU_DEP_3)
	v_ashrrev_i32_e32 v7, 31, v6
	v_mad_u64_u32 v[16:17], null, v11, v6, v[9:10]
	v_mul_lo_u32 v6, v12, v6
                                        ; implicit-def: $vgpr9
	v_mul_lo_u32 v7, v11, v7
	s_delay_alu instid0(VALU_DEP_1)
	v_add3_u32 v17, v6, v17, v7
.LBB2_2164:
	s_and_not1_saveexec_b32 s1, s1
	s_cbranch_execz .LBB2_2166
; %bb.2165:
	s_clause 0x1
	flat_load_b128 v[10:13], v[2:3] offset:72
	flat_load_b128 v[4:7], v[2:3] offset:88
	s_waitcnt vmcnt(0) lgkmcnt(0)
	v_add_nc_u32_e32 v6, v9, v8
	s_delay_alu instid0(VALU_DEP_1) | instskip(NEXT) | instid1(VALU_DEP_1)
	v_ashrrev_i32_e32 v8, 31, v6
	v_mul_lo_u32 v8, v12, v8
	v_mad_u64_u32 v[16:17], null, v12, v6, v[10:11]
	v_mul_lo_u32 v6, v13, v6
	v_lshrrev_b32_e32 v14, 2, v7
	s_delay_alu instid0(VALU_DEP_2)
	v_add3_u32 v17, v6, v17, v8
.LBB2_2166:
	s_or_b32 exec_lo, exec_lo, s1
	s_and_not1_saveexec_b32 s0, s0
	s_cbranch_execz .LBB2_3
.LBB2_2167:
	s_clause 0x1
	flat_load_b64 v[6:7], v[2:3] offset:96
	flat_load_b64 v[4:5], v[2:3] offset:72
	v_mov_b32_e32 v16, 0
	v_mov_b32_e32 v17, 0
	s_waitcnt vmcnt(1) lgkmcnt(1)
	v_lshlrev_b64 v[14:15], 8, v[6:7]
	s_or_b32 exec_lo, exec_lo, s0
	s_cbranch_execz .LBB2_4
.LBB2_2168:
	s_trap 2
	s_sendmsg_rtn_b32 s0, sendmsg(MSG_RTN_GET_DOORBELL)
	s_mov_b32 ttmp2, m0
	s_waitcnt lgkmcnt(0)
	s_and_b32 s0, s0, 0x3ff
	s_delay_alu instid0(SALU_CYCLE_1) | instskip(NEXT) | instid1(SALU_CYCLE_1)
	s_bitset1_b32 s0, 10
	s_mov_b32 m0, s0
	s_sendmsg sendmsg(MSG_INTERRUPT)
	s_mov_b32 m0, ttmp2
.LBB2_2169:                             ; =>This Inner Loop Header: Depth=1
	s_sethalt 5
	s_branch .LBB2_2169
.LBB2_2170:
	s_trap 2
	s_sendmsg_rtn_b32 s0, sendmsg(MSG_RTN_GET_DOORBELL)
	s_mov_b32 ttmp2, m0
	s_waitcnt lgkmcnt(0)
	s_and_b32 s0, s0, 0x3ff
	s_delay_alu instid0(SALU_CYCLE_1) | instskip(NEXT) | instid1(SALU_CYCLE_1)
	s_bitset1_b32 s0, 10
	s_mov_b32 m0, s0
	s_sendmsg sendmsg(MSG_INTERRUPT)
	s_mov_b32 m0, ttmp2
.LBB2_2171:                             ; =>This Inner Loop Header: Depth=1
	s_sethalt 5
	s_branch .LBB2_2171
.LBB2_2172:
	s_trap 2
	s_sendmsg_rtn_b32 s0, sendmsg(MSG_RTN_GET_DOORBELL)
	s_mov_b32 ttmp2, m0
	s_waitcnt lgkmcnt(0)
	s_and_b32 s0, s0, 0x3ff
	s_delay_alu instid0(SALU_CYCLE_1) | instskip(NEXT) | instid1(SALU_CYCLE_1)
	s_bitset1_b32 s0, 10
	s_mov_b32 m0, s0
	s_sendmsg sendmsg(MSG_INTERRUPT)
	s_mov_b32 m0, ttmp2
.LBB2_2173:                             ; =>This Inner Loop Header: Depth=1
	s_sethalt 5
	s_branch .LBB2_2173
.LBB2_2174:
	s_trap 2
	s_sendmsg_rtn_b32 s0, sendmsg(MSG_RTN_GET_DOORBELL)
	s_mov_b32 ttmp2, m0
	s_waitcnt lgkmcnt(0)
	s_and_b32 s0, s0, 0x3ff
	s_delay_alu instid0(SALU_CYCLE_1) | instskip(NEXT) | instid1(SALU_CYCLE_1)
	s_bitset1_b32 s0, 10
	s_mov_b32 m0, s0
	s_sendmsg sendmsg(MSG_INTERRUPT)
	s_mov_b32 m0, ttmp2
.LBB2_2175:                             ; =>This Inner Loop Header: Depth=1
	s_sethalt 5
	s_branch .LBB2_2175
.LBB2_2176:
	s_trap 2
	s_sendmsg_rtn_b32 s0, sendmsg(MSG_RTN_GET_DOORBELL)
	s_mov_b32 ttmp2, m0
	s_waitcnt lgkmcnt(0)
	s_and_b32 s0, s0, 0x3ff
	s_delay_alu instid0(SALU_CYCLE_1) | instskip(NEXT) | instid1(SALU_CYCLE_1)
	s_bitset1_b32 s0, 10
	s_mov_b32 m0, s0
	s_sendmsg sendmsg(MSG_INTERRUPT)
	s_mov_b32 m0, ttmp2
.LBB2_2177:                             ; =>This Inner Loop Header: Depth=1
	s_sethalt 5
	s_branch .LBB2_2177
.LBB2_2178:
	s_trap 2
	s_sendmsg_rtn_b32 s0, sendmsg(MSG_RTN_GET_DOORBELL)
	s_mov_b32 ttmp2, m0
	s_waitcnt lgkmcnt(0)
	s_and_b32 s0, s0, 0x3ff
	s_delay_alu instid0(SALU_CYCLE_1) | instskip(NEXT) | instid1(SALU_CYCLE_1)
	s_bitset1_b32 s0, 10
	s_mov_b32 m0, s0
	s_sendmsg sendmsg(MSG_INTERRUPT)
	s_mov_b32 m0, ttmp2
.LBB2_2179:                             ; =>This Inner Loop Header: Depth=1
	s_sethalt 5
	s_branch .LBB2_2179
.LBB2_2180:
	s_trap 2
	s_sendmsg_rtn_b32 s0, sendmsg(MSG_RTN_GET_DOORBELL)
	s_mov_b32 ttmp2, m0
	s_waitcnt lgkmcnt(0)
	s_and_b32 s0, s0, 0x3ff
	s_delay_alu instid0(SALU_CYCLE_1) | instskip(NEXT) | instid1(SALU_CYCLE_1)
	s_bitset1_b32 s0, 10
	s_mov_b32 m0, s0
	s_sendmsg sendmsg(MSG_INTERRUPT)
	s_mov_b32 m0, ttmp2
.LBB2_2181:                             ; =>This Inner Loop Header: Depth=1
	s_sethalt 5
	s_branch .LBB2_2181
.LBB2_2182:
	s_trap 2
	s_sendmsg_rtn_b32 s0, sendmsg(MSG_RTN_GET_DOORBELL)
	s_mov_b32 ttmp2, m0
	s_waitcnt lgkmcnt(0)
	s_and_b32 s0, s0, 0x3ff
	s_delay_alu instid0(SALU_CYCLE_1) | instskip(NEXT) | instid1(SALU_CYCLE_1)
	s_bitset1_b32 s0, 10
	s_mov_b32 m0, s0
	s_sendmsg sendmsg(MSG_INTERRUPT)
	s_mov_b32 m0, ttmp2
.LBB2_2183:                             ; =>This Inner Loop Header: Depth=1
	s_sethalt 5
	s_branch .LBB2_2183
.LBB2_2184:
	s_trap 2
	s_sendmsg_rtn_b32 s0, sendmsg(MSG_RTN_GET_DOORBELL)
	s_mov_b32 ttmp2, m0
	s_waitcnt lgkmcnt(0)
	s_and_b32 s0, s0, 0x3ff
	s_delay_alu instid0(SALU_CYCLE_1) | instskip(NEXT) | instid1(SALU_CYCLE_1)
	s_bitset1_b32 s0, 10
	s_mov_b32 m0, s0
	s_sendmsg sendmsg(MSG_INTERRUPT)
	s_mov_b32 m0, ttmp2
.LBB2_2185:                             ; =>This Inner Loop Header: Depth=1
	s_sethalt 5
	s_branch .LBB2_2185
.LBB2_2186:
	s_trap 2
	s_sendmsg_rtn_b32 s0, sendmsg(MSG_RTN_GET_DOORBELL)
	s_mov_b32 ttmp2, m0
	s_waitcnt lgkmcnt(0)
	s_and_b32 s0, s0, 0x3ff
	s_delay_alu instid0(SALU_CYCLE_1) | instskip(NEXT) | instid1(SALU_CYCLE_1)
	s_bitset1_b32 s0, 10
	s_mov_b32 m0, s0
	s_sendmsg sendmsg(MSG_INTERRUPT)
	s_mov_b32 m0, ttmp2
.LBB2_2187:                             ; =>This Inner Loop Header: Depth=1
	s_sethalt 5
	s_branch .LBB2_2187
.LBB2_2188:
	s_trap 2
	s_sendmsg_rtn_b32 s0, sendmsg(MSG_RTN_GET_DOORBELL)
	s_mov_b32 ttmp2, m0
	s_waitcnt lgkmcnt(0)
	s_and_b32 s0, s0, 0x3ff
	s_delay_alu instid0(SALU_CYCLE_1) | instskip(NEXT) | instid1(SALU_CYCLE_1)
	s_bitset1_b32 s0, 10
	s_mov_b32 m0, s0
	s_sendmsg sendmsg(MSG_INTERRUPT)
	s_mov_b32 m0, ttmp2
.LBB2_2189:                             ; =>This Inner Loop Header: Depth=1
	s_sethalt 5
	s_branch .LBB2_2189
.LBB2_2190:                             ;   in Loop: Header=BB2_2194 Depth=1
	s_or_b32 exec_lo, exec_lo, s10
	v_mov_b32_e32 v4, 0
	s_or_not1_b32 s7, s7, exec_lo
.LBB2_2191:                             ;   in Loop: Header=BB2_2194 Depth=1
	s_or_b32 exec_lo, exec_lo, s6
	s_delay_alu instid0(VALU_DEP_1)
	v_mov_b32_e32 v0, v4
	s_and_b32 s6, s7, exec_lo
.LBB2_2192:                             ;   in Loop: Header=BB2_2194 Depth=1
	s_or_b32 exec_lo, exec_lo, s5
	s_xor_b32 s5, s6, -1
	s_and_not1_b32 s3, s3, exec_lo
	s_and_b32 s5, s5, exec_lo
	s_delay_alu instid0(SALU_CYCLE_1)
	s_or_b32 s3, s3, s5
.LBB2_2193:                             ;   in Loop: Header=BB2_2194 Depth=1
	s_or_b32 exec_lo, exec_lo, s4
	s_delay_alu instid0(SALU_CYCLE_1) | instskip(NEXT) | instid1(SALU_CYCLE_1)
	s_and_b32 s4, exec_lo, s3
	s_or_b32 s2, s4, s2
	s_delay_alu instid0(SALU_CYCLE_1)
	s_and_not1_b32 exec_lo, exec_lo, s2
	s_cbranch_execz .LBB2_2207
.LBB2_2194:                             ; =>This Inner Loop Header: Depth=1
	flat_load_b64 v[4:5], v[2:3] glc dlc
	s_waitcnt vmcnt(0)
	s_or_b32 s3, s3, exec_lo
	s_mov_b32 s4, exec_lo
	s_waitcnt lgkmcnt(0)
	v_cmpx_ne_u64_e32 -1, v[4:5]
	s_cbranch_execz .LBB2_2193
; %bb.2195:                             ;   in Loop: Header=BB2_2194 Depth=1
	v_and_b32_e32 v4, 64, v30
	s_mov_b32 s6, 0
	s_mov_b32 s5, exec_lo
	s_delay_alu instid0(VALU_DEP_1)
	v_cmpx_eq_u32_e32 0, v4
	s_cbranch_execz .LBB2_2192
; %bb.2196:                             ;   in Loop: Header=BB2_2194 Depth=1
	v_add_nc_u32_e32 v4, 1, v0
	s_mov_b32 s7, -1
	s_mov_b32 s6, exec_lo
	v_cmpx_lt_i32_e32 0x270e, v0
	s_cbranch_execz .LBB2_2191
; %bb.2197:                             ;   in Loop: Header=BB2_2194 Depth=1
	s_cbranch_execnz .LBB2_2201
; %bb.2198:                             ;   in Loop: Header=BB2_2194 Depth=1
	ds_load_b64 v[4:5], v0
	s_mov_b32 s10, exec_lo
	s_waitcnt lgkmcnt(0)
	s_waitcnt_vscnt null, 0x0
	flat_load_b32 v0, v[4:5] glc
	s_waitcnt vmcnt(0) lgkmcnt(0)
	buffer_gl1_inv
	buffer_gl0_inv
	v_cmpx_ne_u32_e32 0, v0
	s_cbranch_execz .LBB2_2190
; %bb.2199:                             ;   in Loop: Header=BB2_2194 Depth=1
	ds_store_b32 v0, v0
	s_cbranch_execnz .LBB2_2225
; %bb.2200:                             ;   in Loop: Header=BB2_2194 Depth=1
	v_or_b32_e32 v30, 64, v30
	s_xor_b32 s7, exec_lo, -1
	s_branch .LBB2_2190
.LBB2_2201:
	s_trap 2
	s_sendmsg_rtn_b32 s0, sendmsg(MSG_RTN_GET_DOORBELL)
	s_mov_b32 ttmp2, m0
	s_waitcnt lgkmcnt(0)
	s_and_b32 s0, s0, 0x3ff
	s_delay_alu instid0(SALU_CYCLE_1) | instskip(NEXT) | instid1(SALU_CYCLE_1)
	s_bitset1_b32 s0, 10
	s_mov_b32 m0, s0
	s_sendmsg sendmsg(MSG_INTERRUPT)
	s_mov_b32 m0, ttmp2
.LBB2_2202:                             ; =>This Inner Loop Header: Depth=1
	s_sethalt 5
	s_branch .LBB2_2202
.LBB2_2203:
	s_trap 2
	s_sendmsg_rtn_b32 s0, sendmsg(MSG_RTN_GET_DOORBELL)
	s_mov_b32 ttmp2, m0
	s_waitcnt lgkmcnt(0)
	s_and_b32 s0, s0, 0x3ff
	s_delay_alu instid0(SALU_CYCLE_1) | instskip(NEXT) | instid1(SALU_CYCLE_1)
	s_bitset1_b32 s0, 10
	s_mov_b32 m0, s0
	s_sendmsg sendmsg(MSG_INTERRUPT)
	s_mov_b32 m0, ttmp2
.LBB2_2204:                             ; =>This Inner Loop Header: Depth=1
	s_sethalt 5
	s_branch .LBB2_2204
.LBB2_2205:
	s_trap 2
	s_sendmsg_rtn_b32 s0, sendmsg(MSG_RTN_GET_DOORBELL)
	s_mov_b32 ttmp2, m0
	s_waitcnt lgkmcnt(0)
	s_and_b32 s0, s0, 0x3ff
	s_delay_alu instid0(SALU_CYCLE_1) | instskip(NEXT) | instid1(SALU_CYCLE_1)
	s_bitset1_b32 s0, 10
	s_mov_b32 m0, s0
	s_sendmsg sendmsg(MSG_INTERRUPT)
	s_mov_b32 m0, ttmp2
.LBB2_2206:                             ; =>This Inner Loop Header: Depth=1
	s_sethalt 5
	s_branch .LBB2_2206
.LBB2_2207:
	s_or_b32 exec_lo, exec_lo, s2
.LBB2_2208:
	s_delay_alu instid0(SALU_CYCLE_1) | instskip(SKIP_2) | instid1(VALU_DEP_1)
	s_or_b32 exec_lo, exec_lo, s1
	v_and_b32_e32 v0, 0x2000, v30
	s_mov_b32 s1, exec_lo
	v_cmpx_ne_u32_e32 0, v0
	s_cbranch_execz .LBB2_2211
; %bb.2209:
	s_cbranch_execnz .LBB2_2219
; %bb.2210:
	ds_load_b64 v[2:3], v0
	s_waitcnt lgkmcnt(0)
	flat_store_b64 v[18:19], v[2:3] offset:16
.LBB2_2211:
	s_or_b32 exec_lo, exec_lo, s1
	v_cmp_ne_u32_e32 vcc_lo, 32, v1
	s_and_b32 exec_lo, exec_lo, vcc_lo
	s_cbranch_execz .LBB2_2412
; %bb.2212:
	s_mov_b32 s1, exec_lo
	v_cmpx_ne_u32_e64 v86, v1
	s_xor_b32 s1, exec_lo, s1
	s_cbranch_execz .LBB2_2410
; %bb.2213:
	v_and_b32_e32 v0, 31, v31
	s_mov_b32 s2, exec_lo
	s_delay_alu instid0(VALU_DEP_1)
	v_cmpx_eq_u32_e32 0, v0
	s_cbranch_execz .LBB2_2409
; %bb.2214:
	s_mov_b32 s4, exec_lo
	s_mov_b32 s3, exec_lo
	v_mbcnt_lo_u32_b32 v0, s4, 0
	s_waitcnt lgkmcnt(0)
	s_waitcnt_vscnt null, 0x0
	buffer_gl1_inv
	buffer_gl0_inv
	v_cmpx_eq_u32_e32 0, v0
	s_cbranch_execz .LBB2_2216
; %bb.2215:
	s_bcnt1_i32_b32 s4, s4
	s_delay_alu instid0(SALU_CYCLE_1)
	v_dual_mov_b32 v3, 0 :: v_dual_mov_b32 v2, s4
	ds_add_u64 v0, v[2:3]
	s_cbranch_execnz .LBB2_2254
.LBB2_2216:
	s_or_b32 exec_lo, exec_lo, s3
	s_cbranch_execnz .LBB2_2233
; %bb.2217:
	v_ashrrev_i32_e32 v0, 31, v1
	s_mov_b32 s3, exec_lo
	s_delay_alu instid0(VALU_DEP_1) | instskip(NEXT) | instid1(VALU_DEP_1)
	v_lshrrev_b32_e32 v0, 27, v0
	v_add_nc_u32_e32 v0, v1, v0
	ds_load_b64 v[2:3], v0
	v_ashrrev_i32_e32 v0, 5, v0
	s_delay_alu instid0(VALU_DEP_1) | instskip(SKIP_1) | instid1(VALU_DEP_2)
	v_ashrrev_i32_e32 v1, 31, v0
	v_add_co_u32 v0, vcc_lo, v32, v0
	v_add_co_ci_u32_e32 v1, vcc_lo, v33, v1, vcc_lo
	s_waitcnt lgkmcnt(0)
	s_delay_alu instid0(VALU_DEP_1)
	v_cmpx_lt_u64_e64 v[2:3], v[0:1]
	s_cbranch_execz .LBB2_2408
; %bb.2218:
	s_mov_b32 s4, 0
	s_mov_b32 s7, 0
                                        ; implicit-def: $sgpr5
                                        ; implicit-def: $sgpr6
	s_branch .LBB2_2240
.LBB2_2219:
	s_trap 2
	s_sendmsg_rtn_b32 s0, sendmsg(MSG_RTN_GET_DOORBELL)
	s_mov_b32 ttmp2, m0
	s_waitcnt lgkmcnt(0)
	s_and_b32 s0, s0, 0x3ff
	s_delay_alu instid0(SALU_CYCLE_1) | instskip(NEXT) | instid1(SALU_CYCLE_1)
	s_bitset1_b32 s0, 10
	s_mov_b32 m0, s0
	s_sendmsg sendmsg(MSG_INTERRUPT)
	s_mov_b32 m0, ttmp2
.LBB2_2220:                             ; =>This Inner Loop Header: Depth=1
	s_sethalt 5
	s_branch .LBB2_2220
.LBB2_2221:
	s_trap 2
	s_sendmsg_rtn_b32 s0, sendmsg(MSG_RTN_GET_DOORBELL)
	s_mov_b32 ttmp2, m0
	s_waitcnt lgkmcnt(0)
	s_and_b32 s0, s0, 0x3ff
	s_delay_alu instid0(SALU_CYCLE_1) | instskip(NEXT) | instid1(SALU_CYCLE_1)
	s_bitset1_b32 s0, 10
	s_mov_b32 m0, s0
	s_sendmsg sendmsg(MSG_INTERRUPT)
	s_mov_b32 m0, ttmp2
.LBB2_2222:                             ; =>This Inner Loop Header: Depth=1
	s_sethalt 5
	s_branch .LBB2_2222
.LBB2_2223:
	s_trap 2
	s_sendmsg_rtn_b32 s0, sendmsg(MSG_RTN_GET_DOORBELL)
	s_mov_b32 ttmp2, m0
	s_waitcnt lgkmcnt(0)
	s_and_b32 s0, s0, 0x3ff
	s_delay_alu instid0(SALU_CYCLE_1) | instskip(NEXT) | instid1(SALU_CYCLE_1)
	s_bitset1_b32 s0, 10
	s_mov_b32 m0, s0
	s_sendmsg sendmsg(MSG_INTERRUPT)
	s_mov_b32 m0, ttmp2
.LBB2_2224:                             ; =>This Inner Loop Header: Depth=1
	s_sethalt 5
	s_branch .LBB2_2224
.LBB2_2225:
	s_trap 2
	s_sendmsg_rtn_b32 s0, sendmsg(MSG_RTN_GET_DOORBELL)
	s_mov_b32 ttmp2, m0
	s_waitcnt lgkmcnt(0)
	s_and_b32 s0, s0, 0x3ff
	s_delay_alu instid0(SALU_CYCLE_1) | instskip(NEXT) | instid1(SALU_CYCLE_1)
	s_bitset1_b32 s0, 10
	s_mov_b32 m0, s0
	s_sendmsg sendmsg(MSG_INTERRUPT)
	s_mov_b32 m0, ttmp2
.LBB2_2226:                             ; =>This Inner Loop Header: Depth=1
	s_sethalt 5
	s_branch .LBB2_2226
.LBB2_2227:
	s_trap 2
	s_sendmsg_rtn_b32 s0, sendmsg(MSG_RTN_GET_DOORBELL)
	s_mov_b32 ttmp2, m0
	s_waitcnt lgkmcnt(0)
	s_and_b32 s0, s0, 0x3ff
	s_delay_alu instid0(SALU_CYCLE_1) | instskip(NEXT) | instid1(SALU_CYCLE_1)
	s_bitset1_b32 s0, 10
	s_mov_b32 m0, s0
	s_sendmsg sendmsg(MSG_INTERRUPT)
	s_mov_b32 m0, ttmp2
.LBB2_2228:                             ; =>This Inner Loop Header: Depth=1
	s_sethalt 5
	s_branch .LBB2_2228
.LBB2_2229:
	s_trap 2
	s_sendmsg_rtn_b32 s0, sendmsg(MSG_RTN_GET_DOORBELL)
	s_mov_b32 ttmp2, m0
	s_waitcnt lgkmcnt(0)
	s_and_b32 s0, s0, 0x3ff
	s_delay_alu instid0(SALU_CYCLE_1) | instskip(NEXT) | instid1(SALU_CYCLE_1)
	s_bitset1_b32 s0, 10
	s_mov_b32 m0, s0
	s_sendmsg sendmsg(MSG_INTERRUPT)
	s_mov_b32 m0, ttmp2
.LBB2_2230:                             ; =>This Inner Loop Header: Depth=1
	s_sethalt 5
	s_branch .LBB2_2230
.LBB2_2231:
	s_trap 2
	s_sendmsg_rtn_b32 s0, sendmsg(MSG_RTN_GET_DOORBELL)
	s_mov_b32 ttmp2, m0
	s_waitcnt lgkmcnt(0)
	s_and_b32 s0, s0, 0x3ff
	s_delay_alu instid0(SALU_CYCLE_1) | instskip(NEXT) | instid1(SALU_CYCLE_1)
	s_bitset1_b32 s0, 10
	s_mov_b32 m0, s0
	s_sendmsg sendmsg(MSG_INTERRUPT)
	s_mov_b32 m0, ttmp2
.LBB2_2232:                             ; =>This Inner Loop Header: Depth=1
	s_sethalt 5
	s_branch .LBB2_2232
.LBB2_2233:
	s_trap 2
	s_sendmsg_rtn_b32 s0, sendmsg(MSG_RTN_GET_DOORBELL)
	s_mov_b32 ttmp2, m0
	s_waitcnt lgkmcnt(0)
	s_and_b32 s0, s0, 0x3ff
	s_delay_alu instid0(SALU_CYCLE_1) | instskip(NEXT) | instid1(SALU_CYCLE_1)
	s_bitset1_b32 s0, 10
	s_mov_b32 m0, s0
	s_sendmsg sendmsg(MSG_INTERRUPT)
	s_mov_b32 m0, ttmp2
.LBB2_2234:                             ; =>This Inner Loop Header: Depth=1
	s_sethalt 5
	s_branch .LBB2_2234
.LBB2_2235:
	s_trap 2
	s_sendmsg_rtn_b32 s0, sendmsg(MSG_RTN_GET_DOORBELL)
	s_mov_b32 ttmp2, m0
	s_waitcnt lgkmcnt(0)
	s_and_b32 s0, s0, 0x3ff
	s_delay_alu instid0(SALU_CYCLE_1) | instskip(NEXT) | instid1(SALU_CYCLE_1)
	s_bitset1_b32 s0, 10
	s_mov_b32 m0, s0
	s_sendmsg sendmsg(MSG_INTERRUPT)
	s_mov_b32 m0, ttmp2
.LBB2_2236:                             ; =>This Inner Loop Header: Depth=1
	s_sethalt 5
	s_branch .LBB2_2236
.LBB2_2237:
	s_trap 2
	s_sendmsg_rtn_b32 s0, sendmsg(MSG_RTN_GET_DOORBELL)
	s_mov_b32 ttmp2, m0
	s_waitcnt lgkmcnt(0)
	s_and_b32 s0, s0, 0x3ff
	s_delay_alu instid0(SALU_CYCLE_1) | instskip(NEXT) | instid1(SALU_CYCLE_1)
	s_bitset1_b32 s0, 10
	s_mov_b32 m0, s0
	s_sendmsg sendmsg(MSG_INTERRUPT)
	s_mov_b32 m0, ttmp2
.LBB2_2238:                             ; =>This Inner Loop Header: Depth=1
	s_sethalt 5
	s_branch .LBB2_2238
.LBB2_2239:                             ;   in Loop: Header=BB2_2240 Depth=1
	s_or_b32 exec_lo, exec_lo, s12
	s_delay_alu instid0(SALU_CYCLE_1) | instskip(NEXT) | instid1(SALU_CYCLE_1)
	s_and_b32 s10, exec_lo, s11
	s_or_b32 s4, s10, s4
	s_and_not1_b32 s5, s5, exec_lo
	s_and_b32 s10, s6, exec_lo
	s_delay_alu instid0(SALU_CYCLE_1)
	s_or_b32 s5, s5, s10
	s_and_not1_b32 exec_lo, exec_lo, s4
	s_cbranch_execz .LBB2_2406
.LBB2_2240:                             ; =>This Inner Loop Header: Depth=1
	s_add_i32 s7, s7, 1
                                        ; implicit-def: $sgpr11
	s_delay_alu instid0(SALU_CYCLE_1) | instskip(SKIP_1) | instid1(SALU_CYCLE_1)
	s_cmpk_lg_i32 s7, 0x2710
	s_cselect_b32 s10, -1, 0
	s_and_b32 vcc_lo, exec_lo, s10
	s_cbranch_vccz .LBB2_2244
.LBB2_2241:                             ;   in Loop: Header=BB2_2240 Depth=1
	s_and_not1_b32 s6, s6, exec_lo
	s_and_b32 s12, s11, exec_lo
	s_mov_b32 s11, -1
	s_or_b32 s6, s6, s12
	s_and_saveexec_b32 s12, s10
	s_cbranch_execz .LBB2_2239
; %bb.2242:                             ;   in Loop: Header=BB2_2240 Depth=1
	s_sleep 1
	s_cbranch_execnz .LBB2_2292
; %bb.2243:                             ;   in Loop: Header=BB2_2240 Depth=1
	ds_load_b64 v[2:3], v0
	s_and_not1_b32 s6, s6, exec_lo
	s_waitcnt lgkmcnt(0)
	v_cmp_ge_u64_e32 vcc_lo, v[2:3], v[0:1]
	s_or_not1_b32 s11, vcc_lo, exec_lo
	s_branch .LBB2_2239
.LBB2_2244:                             ;   in Loop: Header=BB2_2240 Depth=1
	s_cbranch_execnz .LBB2_2294
; %bb.2245:                             ;   in Loop: Header=BB2_2240 Depth=1
	ds_load_b64 v[2:3], v0
	s_and_not1_b32 s10, s10, exec_lo
	s_mov_b32 s7, 0
	s_mov_b32 s11, -1
	s_waitcnt lgkmcnt(0)
	flat_load_b32 v2, v[2:3] glc
	s_waitcnt vmcnt(0) lgkmcnt(0)
	buffer_gl1_inv
	buffer_gl0_inv
	v_cmp_eq_u32_e32 vcc_lo, 0, v2
	s_and_b32 s12, vcc_lo, exec_lo
	s_delay_alu instid0(SALU_CYCLE_1)
	s_or_b32 s10, s10, s12
	s_branch .LBB2_2241
.LBB2_2246:
	s_trap 2
	s_sendmsg_rtn_b32 s0, sendmsg(MSG_RTN_GET_DOORBELL)
	s_mov_b32 ttmp2, m0
	s_waitcnt lgkmcnt(0)
	s_and_b32 s0, s0, 0x3ff
	s_delay_alu instid0(SALU_CYCLE_1) | instskip(NEXT) | instid1(SALU_CYCLE_1)
	s_bitset1_b32 s0, 10
	s_mov_b32 m0, s0
	s_sendmsg sendmsg(MSG_INTERRUPT)
	s_mov_b32 m0, ttmp2
.LBB2_2247:                             ; =>This Inner Loop Header: Depth=1
	s_sethalt 5
	s_branch .LBB2_2247
.LBB2_2248:
	s_trap 2
	s_sendmsg_rtn_b32 s0, sendmsg(MSG_RTN_GET_DOORBELL)
	s_mov_b32 ttmp2, m0
	s_waitcnt lgkmcnt(0)
	s_and_b32 s0, s0, 0x3ff
	s_delay_alu instid0(SALU_CYCLE_1) | instskip(NEXT) | instid1(SALU_CYCLE_1)
	s_bitset1_b32 s0, 10
	s_mov_b32 m0, s0
	s_sendmsg sendmsg(MSG_INTERRUPT)
	s_mov_b32 m0, ttmp2
.LBB2_2249:                             ; =>This Inner Loop Header: Depth=1
	s_sethalt 5
	s_branch .LBB2_2249
.LBB2_2250:
	s_trap 2
	s_sendmsg_rtn_b32 s0, sendmsg(MSG_RTN_GET_DOORBELL)
	s_mov_b32 ttmp2, m0
	s_waitcnt lgkmcnt(0)
	s_and_b32 s0, s0, 0x3ff
	s_delay_alu instid0(SALU_CYCLE_1) | instskip(NEXT) | instid1(SALU_CYCLE_1)
	s_bitset1_b32 s0, 10
	s_mov_b32 m0, s0
	s_sendmsg sendmsg(MSG_INTERRUPT)
	s_mov_b32 m0, ttmp2
.LBB2_2251:                             ; =>This Inner Loop Header: Depth=1
	s_sethalt 5
	s_branch .LBB2_2251
.LBB2_2252:
	s_trap 2
	s_sendmsg_rtn_b32 s0, sendmsg(MSG_RTN_GET_DOORBELL)
	s_mov_b32 ttmp2, m0
	s_waitcnt lgkmcnt(0)
	s_and_b32 s0, s0, 0x3ff
	s_delay_alu instid0(SALU_CYCLE_1) | instskip(NEXT) | instid1(SALU_CYCLE_1)
	s_bitset1_b32 s0, 10
	s_mov_b32 m0, s0
	s_sendmsg sendmsg(MSG_INTERRUPT)
	s_mov_b32 m0, ttmp2
.LBB2_2253:                             ; =>This Inner Loop Header: Depth=1
	s_sethalt 5
	s_branch .LBB2_2253
.LBB2_2254:
	s_trap 2
	s_sendmsg_rtn_b32 s0, sendmsg(MSG_RTN_GET_DOORBELL)
	s_mov_b32 ttmp2, m0
	s_waitcnt lgkmcnt(0)
	s_and_b32 s0, s0, 0x3ff
	s_delay_alu instid0(SALU_CYCLE_1) | instskip(NEXT) | instid1(SALU_CYCLE_1)
	s_bitset1_b32 s0, 10
	s_mov_b32 m0, s0
	s_sendmsg sendmsg(MSG_INTERRUPT)
	s_mov_b32 m0, ttmp2
.LBB2_2255:                             ; =>This Inner Loop Header: Depth=1
	s_sethalt 5
	s_branch .LBB2_2255
.LBB2_2256:
	s_trap 2
	s_sendmsg_rtn_b32 s0, sendmsg(MSG_RTN_GET_DOORBELL)
	s_mov_b32 ttmp2, m0
	s_waitcnt lgkmcnt(0)
	s_and_b32 s0, s0, 0x3ff
	s_delay_alu instid0(SALU_CYCLE_1) | instskip(NEXT) | instid1(SALU_CYCLE_1)
	s_bitset1_b32 s0, 10
	s_mov_b32 m0, s0
	s_sendmsg sendmsg(MSG_INTERRUPT)
	s_mov_b32 m0, ttmp2
.LBB2_2257:                             ; =>This Inner Loop Header: Depth=1
	s_sethalt 5
	s_branch .LBB2_2257
.LBB2_2258:
	s_trap 2
	s_sendmsg_rtn_b32 s0, sendmsg(MSG_RTN_GET_DOORBELL)
	s_mov_b32 ttmp2, m0
	s_waitcnt lgkmcnt(0)
	s_and_b32 s0, s0, 0x3ff
	s_delay_alu instid0(SALU_CYCLE_1) | instskip(NEXT) | instid1(SALU_CYCLE_1)
	s_bitset1_b32 s0, 10
	s_mov_b32 m0, s0
	s_sendmsg sendmsg(MSG_INTERRUPT)
	s_mov_b32 m0, ttmp2
.LBB2_2259:                             ; =>This Inner Loop Header: Depth=1
	s_sethalt 5
	s_branch .LBB2_2259
.LBB2_2260:
	s_trap 2
	s_sendmsg_rtn_b32 s0, sendmsg(MSG_RTN_GET_DOORBELL)
	s_mov_b32 ttmp2, m0
	s_waitcnt lgkmcnt(0)
	s_and_b32 s0, s0, 0x3ff
	s_delay_alu instid0(SALU_CYCLE_1) | instskip(NEXT) | instid1(SALU_CYCLE_1)
	s_bitset1_b32 s0, 10
	s_mov_b32 m0, s0
	s_sendmsg sendmsg(MSG_INTERRUPT)
	s_mov_b32 m0, ttmp2
.LBB2_2261:                             ; =>This Inner Loop Header: Depth=1
	s_sethalt 5
	s_branch .LBB2_2261
.LBB2_2262:
	s_trap 2
	s_sendmsg_rtn_b32 s0, sendmsg(MSG_RTN_GET_DOORBELL)
	s_mov_b32 ttmp2, m0
	s_waitcnt lgkmcnt(0)
	s_and_b32 s0, s0, 0x3ff
	s_delay_alu instid0(SALU_CYCLE_1) | instskip(NEXT) | instid1(SALU_CYCLE_1)
	s_bitset1_b32 s0, 10
	s_mov_b32 m0, s0
	s_sendmsg sendmsg(MSG_INTERRUPT)
	s_mov_b32 m0, ttmp2
.LBB2_2263:                             ; =>This Inner Loop Header: Depth=1
	s_sethalt 5
	s_branch .LBB2_2263
.LBB2_2264:
	s_trap 2
	s_sendmsg_rtn_b32 s0, sendmsg(MSG_RTN_GET_DOORBELL)
	s_mov_b32 ttmp2, m0
	s_waitcnt lgkmcnt(0)
	s_and_b32 s0, s0, 0x3ff
	s_delay_alu instid0(SALU_CYCLE_1) | instskip(NEXT) | instid1(SALU_CYCLE_1)
	s_bitset1_b32 s0, 10
	s_mov_b32 m0, s0
	s_sendmsg sendmsg(MSG_INTERRUPT)
	s_mov_b32 m0, ttmp2
.LBB2_2265:                             ; =>This Inner Loop Header: Depth=1
	s_sethalt 5
	s_branch .LBB2_2265
.LBB2_2266:
	s_trap 2
	s_sendmsg_rtn_b32 s0, sendmsg(MSG_RTN_GET_DOORBELL)
	s_mov_b32 ttmp2, m0
	s_waitcnt lgkmcnt(0)
	s_and_b32 s0, s0, 0x3ff
	s_delay_alu instid0(SALU_CYCLE_1) | instskip(NEXT) | instid1(SALU_CYCLE_1)
	s_bitset1_b32 s0, 10
	s_mov_b32 m0, s0
	s_sendmsg sendmsg(MSG_INTERRUPT)
	s_mov_b32 m0, ttmp2
.LBB2_2267:                             ; =>This Inner Loop Header: Depth=1
	s_sethalt 5
	s_branch .LBB2_2267
.LBB2_2268:
	s_trap 2
	s_sendmsg_rtn_b32 s0, sendmsg(MSG_RTN_GET_DOORBELL)
	s_mov_b32 ttmp2, m0
	s_waitcnt lgkmcnt(0)
	s_and_b32 s0, s0, 0x3ff
	s_delay_alu instid0(SALU_CYCLE_1) | instskip(NEXT) | instid1(SALU_CYCLE_1)
	s_bitset1_b32 s0, 10
	s_mov_b32 m0, s0
	s_sendmsg sendmsg(MSG_INTERRUPT)
	s_mov_b32 m0, ttmp2
.LBB2_2269:                             ; =>This Inner Loop Header: Depth=1
	s_sethalt 5
	s_branch .LBB2_2269
.LBB2_2270:
	s_trap 2
	s_sendmsg_rtn_b32 s0, sendmsg(MSG_RTN_GET_DOORBELL)
	s_mov_b32 ttmp2, m0
	s_waitcnt lgkmcnt(0)
	s_and_b32 s0, s0, 0x3ff
	s_delay_alu instid0(SALU_CYCLE_1) | instskip(NEXT) | instid1(SALU_CYCLE_1)
	s_bitset1_b32 s0, 10
	s_mov_b32 m0, s0
	s_sendmsg sendmsg(MSG_INTERRUPT)
	s_mov_b32 m0, ttmp2
.LBB2_2271:                             ; =>This Inner Loop Header: Depth=1
	s_sethalt 5
	s_branch .LBB2_2271
.LBB2_2272:
	s_trap 2
	s_sendmsg_rtn_b32 s0, sendmsg(MSG_RTN_GET_DOORBELL)
	s_mov_b32 ttmp2, m0
	s_waitcnt lgkmcnt(0)
	s_and_b32 s0, s0, 0x3ff
	s_delay_alu instid0(SALU_CYCLE_1) | instskip(NEXT) | instid1(SALU_CYCLE_1)
	s_bitset1_b32 s0, 10
	s_mov_b32 m0, s0
	s_sendmsg sendmsg(MSG_INTERRUPT)
	s_mov_b32 m0, ttmp2
.LBB2_2273:                             ; =>This Inner Loop Header: Depth=1
	s_sethalt 5
	s_branch .LBB2_2273
.LBB2_2274:
	s_trap 2
	s_sendmsg_rtn_b32 s0, sendmsg(MSG_RTN_GET_DOORBELL)
	s_mov_b32 ttmp2, m0
	s_waitcnt lgkmcnt(0)
	s_and_b32 s0, s0, 0x3ff
	s_delay_alu instid0(SALU_CYCLE_1) | instskip(NEXT) | instid1(SALU_CYCLE_1)
	s_bitset1_b32 s0, 10
	s_mov_b32 m0, s0
	s_sendmsg sendmsg(MSG_INTERRUPT)
	s_mov_b32 m0, ttmp2
.LBB2_2275:                             ; =>This Inner Loop Header: Depth=1
	s_sethalt 5
	s_branch .LBB2_2275
.LBB2_2276:
	s_trap 2
	s_sendmsg_rtn_b32 s0, sendmsg(MSG_RTN_GET_DOORBELL)
	s_mov_b32 ttmp2, m0
	s_waitcnt lgkmcnt(0)
	s_and_b32 s0, s0, 0x3ff
	s_delay_alu instid0(SALU_CYCLE_1) | instskip(NEXT) | instid1(SALU_CYCLE_1)
	s_bitset1_b32 s0, 10
	s_mov_b32 m0, s0
	s_sendmsg sendmsg(MSG_INTERRUPT)
	s_mov_b32 m0, ttmp2
.LBB2_2277:                             ; =>This Inner Loop Header: Depth=1
	s_sethalt 5
	s_branch .LBB2_2277
.LBB2_2278:
	s_trap 2
	s_sendmsg_rtn_b32 s0, sendmsg(MSG_RTN_GET_DOORBELL)
	s_mov_b32 ttmp2, m0
	s_waitcnt lgkmcnt(0)
	s_and_b32 s0, s0, 0x3ff
	s_delay_alu instid0(SALU_CYCLE_1) | instskip(NEXT) | instid1(SALU_CYCLE_1)
	s_bitset1_b32 s0, 10
	s_mov_b32 m0, s0
	s_sendmsg sendmsg(MSG_INTERRUPT)
	s_mov_b32 m0, ttmp2
.LBB2_2279:                             ; =>This Inner Loop Header: Depth=1
	s_sethalt 5
	s_branch .LBB2_2279
.LBB2_2280:
	s_trap 2
	s_sendmsg_rtn_b32 s0, sendmsg(MSG_RTN_GET_DOORBELL)
	s_mov_b32 ttmp2, m0
	s_waitcnt lgkmcnt(0)
	s_and_b32 s0, s0, 0x3ff
	s_delay_alu instid0(SALU_CYCLE_1) | instskip(NEXT) | instid1(SALU_CYCLE_1)
	s_bitset1_b32 s0, 10
	s_mov_b32 m0, s0
	s_sendmsg sendmsg(MSG_INTERRUPT)
	s_mov_b32 m0, ttmp2
.LBB2_2281:                             ; =>This Inner Loop Header: Depth=1
	s_sethalt 5
	s_branch .LBB2_2281
.LBB2_2282:
	s_trap 2
	s_sendmsg_rtn_b32 s0, sendmsg(MSG_RTN_GET_DOORBELL)
	s_mov_b32 ttmp2, m0
	s_waitcnt lgkmcnt(0)
	s_and_b32 s0, s0, 0x3ff
	s_delay_alu instid0(SALU_CYCLE_1) | instskip(NEXT) | instid1(SALU_CYCLE_1)
	s_bitset1_b32 s0, 10
	s_mov_b32 m0, s0
	s_sendmsg sendmsg(MSG_INTERRUPT)
	s_mov_b32 m0, ttmp2
.LBB2_2283:                             ; =>This Inner Loop Header: Depth=1
	s_sethalt 5
	s_branch .LBB2_2283
.LBB2_2284:
	s_trap 2
	s_sendmsg_rtn_b32 s0, sendmsg(MSG_RTN_GET_DOORBELL)
	s_mov_b32 ttmp2, m0
	s_waitcnt lgkmcnt(0)
	s_and_b32 s0, s0, 0x3ff
	s_delay_alu instid0(SALU_CYCLE_1) | instskip(NEXT) | instid1(SALU_CYCLE_1)
	s_bitset1_b32 s0, 10
	s_mov_b32 m0, s0
	s_sendmsg sendmsg(MSG_INTERRUPT)
	s_mov_b32 m0, ttmp2
.LBB2_2285:                             ; =>This Inner Loop Header: Depth=1
	s_sethalt 5
	s_branch .LBB2_2285
.LBB2_2286:
	s_trap 2
	s_sendmsg_rtn_b32 s0, sendmsg(MSG_RTN_GET_DOORBELL)
	s_mov_b32 ttmp2, m0
	s_waitcnt lgkmcnt(0)
	s_and_b32 s0, s0, 0x3ff
	s_delay_alu instid0(SALU_CYCLE_1) | instskip(NEXT) | instid1(SALU_CYCLE_1)
	s_bitset1_b32 s0, 10
	s_mov_b32 m0, s0
	s_sendmsg sendmsg(MSG_INTERRUPT)
	s_mov_b32 m0, ttmp2
.LBB2_2287:                             ; =>This Inner Loop Header: Depth=1
	s_sethalt 5
	s_branch .LBB2_2287
.LBB2_2288:
	s_trap 2
	s_sendmsg_rtn_b32 s0, sendmsg(MSG_RTN_GET_DOORBELL)
	s_mov_b32 ttmp2, m0
	s_waitcnt lgkmcnt(0)
	s_and_b32 s0, s0, 0x3ff
	s_delay_alu instid0(SALU_CYCLE_1) | instskip(NEXT) | instid1(SALU_CYCLE_1)
	s_bitset1_b32 s0, 10
	s_mov_b32 m0, s0
	s_sendmsg sendmsg(MSG_INTERRUPT)
	s_mov_b32 m0, ttmp2
.LBB2_2289:                             ; =>This Inner Loop Header: Depth=1
	s_sethalt 5
	s_branch .LBB2_2289
.LBB2_2290:
	s_trap 2
	s_sendmsg_rtn_b32 s0, sendmsg(MSG_RTN_GET_DOORBELL)
	s_mov_b32 ttmp2, m0
	s_waitcnt lgkmcnt(0)
	s_and_b32 s0, s0, 0x3ff
	s_delay_alu instid0(SALU_CYCLE_1) | instskip(NEXT) | instid1(SALU_CYCLE_1)
	s_bitset1_b32 s0, 10
	s_mov_b32 m0, s0
	s_sendmsg sendmsg(MSG_INTERRUPT)
	s_mov_b32 m0, ttmp2
.LBB2_2291:                             ; =>This Inner Loop Header: Depth=1
	s_sethalt 5
	s_branch .LBB2_2291
.LBB2_2292:
	s_trap 2
	s_sendmsg_rtn_b32 s0, sendmsg(MSG_RTN_GET_DOORBELL)
	s_mov_b32 ttmp2, m0
	s_waitcnt lgkmcnt(0)
	s_and_b32 s0, s0, 0x3ff
	s_delay_alu instid0(SALU_CYCLE_1) | instskip(NEXT) | instid1(SALU_CYCLE_1)
	s_bitset1_b32 s0, 10
	s_mov_b32 m0, s0
	s_sendmsg sendmsg(MSG_INTERRUPT)
	s_mov_b32 m0, ttmp2
.LBB2_2293:                             ; =>This Inner Loop Header: Depth=1
	s_sethalt 5
	s_branch .LBB2_2293
.LBB2_2294:
	s_trap 2
	s_sendmsg_rtn_b32 s0, sendmsg(MSG_RTN_GET_DOORBELL)
	s_mov_b32 ttmp2, m0
	s_waitcnt lgkmcnt(0)
	s_and_b32 s0, s0, 0x3ff
	s_delay_alu instid0(SALU_CYCLE_1) | instskip(NEXT) | instid1(SALU_CYCLE_1)
	s_bitset1_b32 s0, 10
	s_mov_b32 m0, s0
	s_sendmsg sendmsg(MSG_INTERRUPT)
	s_mov_b32 m0, ttmp2
.LBB2_2295:                             ; =>This Inner Loop Header: Depth=1
	s_sethalt 5
	s_branch .LBB2_2295
.LBB2_2296:
	s_trap 2
	s_sendmsg_rtn_b32 s0, sendmsg(MSG_RTN_GET_DOORBELL)
	s_mov_b32 ttmp2, m0
	s_waitcnt lgkmcnt(0)
	s_and_b32 s0, s0, 0x3ff
	s_delay_alu instid0(SALU_CYCLE_1) | instskip(NEXT) | instid1(SALU_CYCLE_1)
	s_bitset1_b32 s0, 10
	s_mov_b32 m0, s0
	s_sendmsg sendmsg(MSG_INTERRUPT)
	s_mov_b32 m0, ttmp2
.LBB2_2297:                             ; =>This Inner Loop Header: Depth=1
	s_sethalt 5
	s_branch .LBB2_2297
.LBB2_2298:
	s_trap 2
	s_sendmsg_rtn_b32 s0, sendmsg(MSG_RTN_GET_DOORBELL)
	s_mov_b32 ttmp2, m0
	s_waitcnt lgkmcnt(0)
	s_and_b32 s0, s0, 0x3ff
	s_delay_alu instid0(SALU_CYCLE_1) | instskip(NEXT) | instid1(SALU_CYCLE_1)
	s_bitset1_b32 s0, 10
	s_mov_b32 m0, s0
	s_sendmsg sendmsg(MSG_INTERRUPT)
	s_mov_b32 m0, ttmp2
.LBB2_2299:                             ; =>This Inner Loop Header: Depth=1
	s_sethalt 5
	s_branch .LBB2_2299
.LBB2_2300:
	s_trap 2
	s_sendmsg_rtn_b32 s0, sendmsg(MSG_RTN_GET_DOORBELL)
	s_mov_b32 ttmp2, m0
	s_waitcnt lgkmcnt(0)
	s_and_b32 s0, s0, 0x3ff
	s_delay_alu instid0(SALU_CYCLE_1) | instskip(NEXT) | instid1(SALU_CYCLE_1)
	s_bitset1_b32 s0, 10
	s_mov_b32 m0, s0
	s_sendmsg sendmsg(MSG_INTERRUPT)
	s_mov_b32 m0, ttmp2
.LBB2_2301:                             ; =>This Inner Loop Header: Depth=1
	s_sethalt 5
	s_branch .LBB2_2301
.LBB2_2302:
	s_trap 2
	s_sendmsg_rtn_b32 s0, sendmsg(MSG_RTN_GET_DOORBELL)
	s_mov_b32 ttmp2, m0
	s_waitcnt lgkmcnt(0)
	s_and_b32 s0, s0, 0x3ff
	s_delay_alu instid0(SALU_CYCLE_1) | instskip(NEXT) | instid1(SALU_CYCLE_1)
	s_bitset1_b32 s0, 10
	s_mov_b32 m0, s0
	s_sendmsg sendmsg(MSG_INTERRUPT)
	s_mov_b32 m0, ttmp2
.LBB2_2303:                             ; =>This Inner Loop Header: Depth=1
	s_sethalt 5
	s_branch .LBB2_2303
.LBB2_2304:
	s_trap 2
	s_sendmsg_rtn_b32 s0, sendmsg(MSG_RTN_GET_DOORBELL)
	s_mov_b32 ttmp2, m0
	s_waitcnt lgkmcnt(0)
	s_and_b32 s0, s0, 0x3ff
	s_delay_alu instid0(SALU_CYCLE_1) | instskip(NEXT) | instid1(SALU_CYCLE_1)
	s_bitset1_b32 s0, 10
	s_mov_b32 m0, s0
	s_sendmsg sendmsg(MSG_INTERRUPT)
	s_mov_b32 m0, ttmp2
.LBB2_2305:                             ; =>This Inner Loop Header: Depth=1
	s_sethalt 5
	s_branch .LBB2_2305
.LBB2_2306:
	s_trap 2
	s_sendmsg_rtn_b32 s0, sendmsg(MSG_RTN_GET_DOORBELL)
	s_mov_b32 ttmp2, m0
	s_waitcnt lgkmcnt(0)
	s_and_b32 s0, s0, 0x3ff
	s_delay_alu instid0(SALU_CYCLE_1) | instskip(NEXT) | instid1(SALU_CYCLE_1)
	s_bitset1_b32 s0, 10
	s_mov_b32 m0, s0
	s_sendmsg sendmsg(MSG_INTERRUPT)
	s_mov_b32 m0, ttmp2
.LBB2_2307:                             ; =>This Inner Loop Header: Depth=1
	s_sethalt 5
	s_branch .LBB2_2307
.LBB2_2308:
	s_trap 2
	s_sendmsg_rtn_b32 s0, sendmsg(MSG_RTN_GET_DOORBELL)
	s_mov_b32 ttmp2, m0
	s_waitcnt lgkmcnt(0)
	s_and_b32 s0, s0, 0x3ff
	s_delay_alu instid0(SALU_CYCLE_1) | instskip(NEXT) | instid1(SALU_CYCLE_1)
	s_bitset1_b32 s0, 10
	s_mov_b32 m0, s0
	s_sendmsg sendmsg(MSG_INTERRUPT)
	s_mov_b32 m0, ttmp2
.LBB2_2309:                             ; =>This Inner Loop Header: Depth=1
	s_sethalt 5
	s_branch .LBB2_2309
.LBB2_2310:
	s_trap 2
	s_sendmsg_rtn_b32 s0, sendmsg(MSG_RTN_GET_DOORBELL)
	s_mov_b32 ttmp2, m0
	s_waitcnt lgkmcnt(0)
	s_and_b32 s0, s0, 0x3ff
	s_delay_alu instid0(SALU_CYCLE_1) | instskip(NEXT) | instid1(SALU_CYCLE_1)
	s_bitset1_b32 s0, 10
	s_mov_b32 m0, s0
	s_sendmsg sendmsg(MSG_INTERRUPT)
	s_mov_b32 m0, ttmp2
.LBB2_2311:                             ; =>This Inner Loop Header: Depth=1
	s_sethalt 5
	s_branch .LBB2_2311
.LBB2_2312:
	s_trap 2
	s_sendmsg_rtn_b32 s0, sendmsg(MSG_RTN_GET_DOORBELL)
	s_mov_b32 ttmp2, m0
	s_waitcnt lgkmcnt(0)
	s_and_b32 s0, s0, 0x3ff
	s_delay_alu instid0(SALU_CYCLE_1) | instskip(NEXT) | instid1(SALU_CYCLE_1)
	s_bitset1_b32 s0, 10
	s_mov_b32 m0, s0
	s_sendmsg sendmsg(MSG_INTERRUPT)
	s_mov_b32 m0, ttmp2
.LBB2_2313:                             ; =>This Inner Loop Header: Depth=1
	s_sethalt 5
	s_branch .LBB2_2313
.LBB2_2314:
	s_trap 2
	s_sendmsg_rtn_b32 s0, sendmsg(MSG_RTN_GET_DOORBELL)
	s_mov_b32 ttmp2, m0
	s_waitcnt lgkmcnt(0)
	s_and_b32 s0, s0, 0x3ff
	s_delay_alu instid0(SALU_CYCLE_1) | instskip(NEXT) | instid1(SALU_CYCLE_1)
	s_bitset1_b32 s0, 10
	s_mov_b32 m0, s0
	s_sendmsg sendmsg(MSG_INTERRUPT)
	s_mov_b32 m0, ttmp2
.LBB2_2315:                             ; =>This Inner Loop Header: Depth=1
	s_sethalt 5
	s_branch .LBB2_2315
.LBB2_2316:
	s_trap 2
	s_sendmsg_rtn_b32 s0, sendmsg(MSG_RTN_GET_DOORBELL)
	s_mov_b32 ttmp2, m0
	s_waitcnt lgkmcnt(0)
	s_and_b32 s0, s0, 0x3ff
	s_delay_alu instid0(SALU_CYCLE_1) | instskip(NEXT) | instid1(SALU_CYCLE_1)
	s_bitset1_b32 s0, 10
	s_mov_b32 m0, s0
	s_sendmsg sendmsg(MSG_INTERRUPT)
	s_mov_b32 m0, ttmp2
.LBB2_2317:                             ; =>This Inner Loop Header: Depth=1
	s_sethalt 5
	s_branch .LBB2_2317
.LBB2_2318:
	s_trap 2
	s_sendmsg_rtn_b32 s0, sendmsg(MSG_RTN_GET_DOORBELL)
	s_mov_b32 ttmp2, m0
	s_waitcnt lgkmcnt(0)
	s_and_b32 s0, s0, 0x3ff
	s_delay_alu instid0(SALU_CYCLE_1) | instskip(NEXT) | instid1(SALU_CYCLE_1)
	s_bitset1_b32 s0, 10
	s_mov_b32 m0, s0
	s_sendmsg sendmsg(MSG_INTERRUPT)
	s_mov_b32 m0, ttmp2
.LBB2_2319:                             ; =>This Inner Loop Header: Depth=1
	s_sethalt 5
	s_branch .LBB2_2319
.LBB2_2320:
	s_trap 2
	s_sendmsg_rtn_b32 s0, sendmsg(MSG_RTN_GET_DOORBELL)
	s_mov_b32 ttmp2, m0
	s_waitcnt lgkmcnt(0)
	s_and_b32 s0, s0, 0x3ff
	s_delay_alu instid0(SALU_CYCLE_1) | instskip(NEXT) | instid1(SALU_CYCLE_1)
	s_bitset1_b32 s0, 10
	s_mov_b32 m0, s0
	s_sendmsg sendmsg(MSG_INTERRUPT)
	s_mov_b32 m0, ttmp2
.LBB2_2321:                             ; =>This Inner Loop Header: Depth=1
	s_sethalt 5
	s_branch .LBB2_2321
.LBB2_2322:
	s_trap 2
	s_sendmsg_rtn_b32 s0, sendmsg(MSG_RTN_GET_DOORBELL)
	s_mov_b32 ttmp2, m0
	s_waitcnt lgkmcnt(0)
	s_and_b32 s0, s0, 0x3ff
	s_delay_alu instid0(SALU_CYCLE_1) | instskip(NEXT) | instid1(SALU_CYCLE_1)
	s_bitset1_b32 s0, 10
	s_mov_b32 m0, s0
	s_sendmsg sendmsg(MSG_INTERRUPT)
	s_mov_b32 m0, ttmp2
.LBB2_2323:                             ; =>This Inner Loop Header: Depth=1
	s_sethalt 5
	s_branch .LBB2_2323
.LBB2_2324:
	s_trap 2
	s_sendmsg_rtn_b32 s0, sendmsg(MSG_RTN_GET_DOORBELL)
	s_mov_b32 ttmp2, m0
	s_waitcnt lgkmcnt(0)
	s_and_b32 s0, s0, 0x3ff
	s_delay_alu instid0(SALU_CYCLE_1) | instskip(NEXT) | instid1(SALU_CYCLE_1)
	s_bitset1_b32 s0, 10
	s_mov_b32 m0, s0
	s_sendmsg sendmsg(MSG_INTERRUPT)
	s_mov_b32 m0, ttmp2
.LBB2_2325:                             ; =>This Inner Loop Header: Depth=1
	s_sethalt 5
	s_branch .LBB2_2325
.LBB2_2326:
	s_trap 2
	s_sendmsg_rtn_b32 s0, sendmsg(MSG_RTN_GET_DOORBELL)
	s_mov_b32 ttmp2, m0
	s_waitcnt lgkmcnt(0)
	s_and_b32 s0, s0, 0x3ff
	s_delay_alu instid0(SALU_CYCLE_1) | instskip(NEXT) | instid1(SALU_CYCLE_1)
	s_bitset1_b32 s0, 10
	s_mov_b32 m0, s0
	s_sendmsg sendmsg(MSG_INTERRUPT)
	s_mov_b32 m0, ttmp2
.LBB2_2327:                             ; =>This Inner Loop Header: Depth=1
	s_sethalt 5
	s_branch .LBB2_2327
.LBB2_2328:
	s_trap 2
	s_sendmsg_rtn_b32 s0, sendmsg(MSG_RTN_GET_DOORBELL)
	s_mov_b32 ttmp2, m0
	s_waitcnt lgkmcnt(0)
	s_and_b32 s0, s0, 0x3ff
	s_delay_alu instid0(SALU_CYCLE_1) | instskip(NEXT) | instid1(SALU_CYCLE_1)
	s_bitset1_b32 s0, 10
	s_mov_b32 m0, s0
	s_sendmsg sendmsg(MSG_INTERRUPT)
	s_mov_b32 m0, ttmp2
.LBB2_2329:                             ; =>This Inner Loop Header: Depth=1
	s_sethalt 5
	s_branch .LBB2_2329
.LBB2_2330:
	s_trap 2
	s_sendmsg_rtn_b32 s0, sendmsg(MSG_RTN_GET_DOORBELL)
	s_mov_b32 ttmp2, m0
	s_waitcnt lgkmcnt(0)
	s_and_b32 s0, s0, 0x3ff
	s_delay_alu instid0(SALU_CYCLE_1) | instskip(NEXT) | instid1(SALU_CYCLE_1)
	s_bitset1_b32 s0, 10
	s_mov_b32 m0, s0
	s_sendmsg sendmsg(MSG_INTERRUPT)
	s_mov_b32 m0, ttmp2
.LBB2_2331:                             ; =>This Inner Loop Header: Depth=1
	s_sethalt 5
	s_branch .LBB2_2331
.LBB2_2332:
	s_trap 2
	s_sendmsg_rtn_b32 s0, sendmsg(MSG_RTN_GET_DOORBELL)
	s_mov_b32 ttmp2, m0
	s_waitcnt lgkmcnt(0)
	s_and_b32 s0, s0, 0x3ff
	s_delay_alu instid0(SALU_CYCLE_1) | instskip(NEXT) | instid1(SALU_CYCLE_1)
	s_bitset1_b32 s0, 10
	s_mov_b32 m0, s0
	s_sendmsg sendmsg(MSG_INTERRUPT)
	s_mov_b32 m0, ttmp2
.LBB2_2333:                             ; =>This Inner Loop Header: Depth=1
	s_sethalt 5
	s_branch .LBB2_2333
.LBB2_2334:
	s_trap 2
	s_sendmsg_rtn_b32 s0, sendmsg(MSG_RTN_GET_DOORBELL)
	s_mov_b32 ttmp2, m0
	s_waitcnt lgkmcnt(0)
	s_and_b32 s0, s0, 0x3ff
	s_delay_alu instid0(SALU_CYCLE_1) | instskip(NEXT) | instid1(SALU_CYCLE_1)
	s_bitset1_b32 s0, 10
	s_mov_b32 m0, s0
	s_sendmsg sendmsg(MSG_INTERRUPT)
	s_mov_b32 m0, ttmp2
.LBB2_2335:                             ; =>This Inner Loop Header: Depth=1
	s_sethalt 5
	s_branch .LBB2_2335
.LBB2_2336:
	s_trap 2
	s_sendmsg_rtn_b32 s0, sendmsg(MSG_RTN_GET_DOORBELL)
	s_mov_b32 ttmp2, m0
	s_waitcnt lgkmcnt(0)
	s_and_b32 s0, s0, 0x3ff
	s_delay_alu instid0(SALU_CYCLE_1) | instskip(NEXT) | instid1(SALU_CYCLE_1)
	s_bitset1_b32 s0, 10
	s_mov_b32 m0, s0
	s_sendmsg sendmsg(MSG_INTERRUPT)
	s_mov_b32 m0, ttmp2
.LBB2_2337:                             ; =>This Inner Loop Header: Depth=1
	s_sethalt 5
	s_branch .LBB2_2337
.LBB2_2338:
	s_trap 2
	s_sendmsg_rtn_b32 s0, sendmsg(MSG_RTN_GET_DOORBELL)
	s_mov_b32 ttmp2, m0
	s_waitcnt lgkmcnt(0)
	s_and_b32 s0, s0, 0x3ff
	s_delay_alu instid0(SALU_CYCLE_1) | instskip(NEXT) | instid1(SALU_CYCLE_1)
	s_bitset1_b32 s0, 10
	s_mov_b32 m0, s0
	s_sendmsg sendmsg(MSG_INTERRUPT)
	s_mov_b32 m0, ttmp2
.LBB2_2339:                             ; =>This Inner Loop Header: Depth=1
	s_sethalt 5
	s_branch .LBB2_2339
.LBB2_2340:
	s_trap 2
	s_sendmsg_rtn_b32 s0, sendmsg(MSG_RTN_GET_DOORBELL)
	s_mov_b32 ttmp2, m0
	s_waitcnt lgkmcnt(0)
	s_and_b32 s0, s0, 0x3ff
	s_delay_alu instid0(SALU_CYCLE_1) | instskip(NEXT) | instid1(SALU_CYCLE_1)
	s_bitset1_b32 s0, 10
	s_mov_b32 m0, s0
	s_sendmsg sendmsg(MSG_INTERRUPT)
	s_mov_b32 m0, ttmp2
.LBB2_2341:                             ; =>This Inner Loop Header: Depth=1
	s_sethalt 5
	s_branch .LBB2_2341
.LBB2_2342:
	s_trap 2
	s_sendmsg_rtn_b32 s0, sendmsg(MSG_RTN_GET_DOORBELL)
	s_mov_b32 ttmp2, m0
	s_waitcnt lgkmcnt(0)
	s_and_b32 s0, s0, 0x3ff
	s_delay_alu instid0(SALU_CYCLE_1) | instskip(NEXT) | instid1(SALU_CYCLE_1)
	s_bitset1_b32 s0, 10
	s_mov_b32 m0, s0
	s_sendmsg sendmsg(MSG_INTERRUPT)
	s_mov_b32 m0, ttmp2
.LBB2_2343:                             ; =>This Inner Loop Header: Depth=1
	s_sethalt 5
	s_branch .LBB2_2343
.LBB2_2344:
	s_trap 2
	s_sendmsg_rtn_b32 s0, sendmsg(MSG_RTN_GET_DOORBELL)
	s_mov_b32 ttmp2, m0
	s_waitcnt lgkmcnt(0)
	s_and_b32 s0, s0, 0x3ff
	s_delay_alu instid0(SALU_CYCLE_1) | instskip(NEXT) | instid1(SALU_CYCLE_1)
	s_bitset1_b32 s0, 10
	s_mov_b32 m0, s0
	s_sendmsg sendmsg(MSG_INTERRUPT)
	s_mov_b32 m0, ttmp2
.LBB2_2345:                             ; =>This Inner Loop Header: Depth=1
	s_sethalt 5
	s_branch .LBB2_2345
.LBB2_2346:
	s_trap 2
	s_sendmsg_rtn_b32 s0, sendmsg(MSG_RTN_GET_DOORBELL)
	s_mov_b32 ttmp2, m0
	s_waitcnt lgkmcnt(0)
	s_and_b32 s0, s0, 0x3ff
	s_delay_alu instid0(SALU_CYCLE_1) | instskip(NEXT) | instid1(SALU_CYCLE_1)
	s_bitset1_b32 s0, 10
	s_mov_b32 m0, s0
	s_sendmsg sendmsg(MSG_INTERRUPT)
	s_mov_b32 m0, ttmp2
.LBB2_2347:                             ; =>This Inner Loop Header: Depth=1
	s_sethalt 5
	s_branch .LBB2_2347
.LBB2_2348:
	s_trap 2
	s_sendmsg_rtn_b32 s0, sendmsg(MSG_RTN_GET_DOORBELL)
	s_mov_b32 ttmp2, m0
	s_waitcnt lgkmcnt(0)
	s_and_b32 s0, s0, 0x3ff
	s_delay_alu instid0(SALU_CYCLE_1) | instskip(NEXT) | instid1(SALU_CYCLE_1)
	s_bitset1_b32 s0, 10
	s_mov_b32 m0, s0
	s_sendmsg sendmsg(MSG_INTERRUPT)
	s_mov_b32 m0, ttmp2
.LBB2_2349:                             ; =>This Inner Loop Header: Depth=1
	s_sethalt 5
	s_branch .LBB2_2349
.LBB2_2350:
	s_trap 2
	s_sendmsg_rtn_b32 s0, sendmsg(MSG_RTN_GET_DOORBELL)
	s_mov_b32 ttmp2, m0
	s_waitcnt lgkmcnt(0)
	s_and_b32 s0, s0, 0x3ff
	s_delay_alu instid0(SALU_CYCLE_1) | instskip(NEXT) | instid1(SALU_CYCLE_1)
	s_bitset1_b32 s0, 10
	s_mov_b32 m0, s0
	s_sendmsg sendmsg(MSG_INTERRUPT)
	s_mov_b32 m0, ttmp2
.LBB2_2351:                             ; =>This Inner Loop Header: Depth=1
	s_sethalt 5
	s_branch .LBB2_2351
.LBB2_2352:
	s_trap 2
	s_sendmsg_rtn_b32 s0, sendmsg(MSG_RTN_GET_DOORBELL)
	s_mov_b32 ttmp2, m0
	s_waitcnt lgkmcnt(0)
	s_and_b32 s0, s0, 0x3ff
	s_delay_alu instid0(SALU_CYCLE_1) | instskip(NEXT) | instid1(SALU_CYCLE_1)
	s_bitset1_b32 s0, 10
	s_mov_b32 m0, s0
	s_sendmsg sendmsg(MSG_INTERRUPT)
	s_mov_b32 m0, ttmp2
.LBB2_2353:                             ; =>This Inner Loop Header: Depth=1
	s_sethalt 5
	s_branch .LBB2_2353
.LBB2_2354:
	s_trap 2
	s_sendmsg_rtn_b32 s0, sendmsg(MSG_RTN_GET_DOORBELL)
	s_mov_b32 ttmp2, m0
	s_waitcnt lgkmcnt(0)
	s_and_b32 s0, s0, 0x3ff
	s_delay_alu instid0(SALU_CYCLE_1) | instskip(NEXT) | instid1(SALU_CYCLE_1)
	s_bitset1_b32 s0, 10
	s_mov_b32 m0, s0
	s_sendmsg sendmsg(MSG_INTERRUPT)
	s_mov_b32 m0, ttmp2
.LBB2_2355:                             ; =>This Inner Loop Header: Depth=1
	s_sethalt 5
	s_branch .LBB2_2355
.LBB2_2356:
	s_trap 2
	s_sendmsg_rtn_b32 s0, sendmsg(MSG_RTN_GET_DOORBELL)
	s_mov_b32 ttmp2, m0
	s_waitcnt lgkmcnt(0)
	s_and_b32 s0, s0, 0x3ff
	s_delay_alu instid0(SALU_CYCLE_1) | instskip(NEXT) | instid1(SALU_CYCLE_1)
	s_bitset1_b32 s0, 10
	s_mov_b32 m0, s0
	s_sendmsg sendmsg(MSG_INTERRUPT)
	s_mov_b32 m0, ttmp2
.LBB2_2357:                             ; =>This Inner Loop Header: Depth=1
	s_sethalt 5
	s_branch .LBB2_2357
.LBB2_2358:
	s_trap 2
	s_sendmsg_rtn_b32 s0, sendmsg(MSG_RTN_GET_DOORBELL)
	s_mov_b32 ttmp2, m0
	s_waitcnt lgkmcnt(0)
	s_and_b32 s0, s0, 0x3ff
	s_delay_alu instid0(SALU_CYCLE_1) | instskip(NEXT) | instid1(SALU_CYCLE_1)
	s_bitset1_b32 s0, 10
	s_mov_b32 m0, s0
	s_sendmsg sendmsg(MSG_INTERRUPT)
	s_mov_b32 m0, ttmp2
.LBB2_2359:                             ; =>This Inner Loop Header: Depth=1
	s_sethalt 5
	s_branch .LBB2_2359
.LBB2_2360:
	s_trap 2
	s_sendmsg_rtn_b32 s0, sendmsg(MSG_RTN_GET_DOORBELL)
	s_mov_b32 ttmp2, m0
	s_waitcnt lgkmcnt(0)
	s_and_b32 s0, s0, 0x3ff
	s_delay_alu instid0(SALU_CYCLE_1) | instskip(NEXT) | instid1(SALU_CYCLE_1)
	s_bitset1_b32 s0, 10
	s_mov_b32 m0, s0
	s_sendmsg sendmsg(MSG_INTERRUPT)
	s_mov_b32 m0, ttmp2
.LBB2_2361:                             ; =>This Inner Loop Header: Depth=1
	s_sethalt 5
	s_branch .LBB2_2361
.LBB2_2362:
	s_trap 2
	s_sendmsg_rtn_b32 s0, sendmsg(MSG_RTN_GET_DOORBELL)
	s_mov_b32 ttmp2, m0
	s_waitcnt lgkmcnt(0)
	s_and_b32 s0, s0, 0x3ff
	s_delay_alu instid0(SALU_CYCLE_1) | instskip(NEXT) | instid1(SALU_CYCLE_1)
	s_bitset1_b32 s0, 10
	s_mov_b32 m0, s0
	s_sendmsg sendmsg(MSG_INTERRUPT)
	s_mov_b32 m0, ttmp2
.LBB2_2363:                             ; =>This Inner Loop Header: Depth=1
	s_sethalt 5
	s_branch .LBB2_2363
.LBB2_2364:
	s_trap 2
	s_sendmsg_rtn_b32 s0, sendmsg(MSG_RTN_GET_DOORBELL)
	s_mov_b32 ttmp2, m0
	s_waitcnt lgkmcnt(0)
	s_and_b32 s0, s0, 0x3ff
	s_delay_alu instid0(SALU_CYCLE_1) | instskip(NEXT) | instid1(SALU_CYCLE_1)
	s_bitset1_b32 s0, 10
	s_mov_b32 m0, s0
	s_sendmsg sendmsg(MSG_INTERRUPT)
	s_mov_b32 m0, ttmp2
.LBB2_2365:                             ; =>This Inner Loop Header: Depth=1
	s_sethalt 5
	s_branch .LBB2_2365
.LBB2_2366:
	s_trap 2
	s_sendmsg_rtn_b32 s0, sendmsg(MSG_RTN_GET_DOORBELL)
	s_mov_b32 ttmp2, m0
	s_waitcnt lgkmcnt(0)
	s_and_b32 s0, s0, 0x3ff
	s_delay_alu instid0(SALU_CYCLE_1) | instskip(NEXT) | instid1(SALU_CYCLE_1)
	s_bitset1_b32 s0, 10
	s_mov_b32 m0, s0
	s_sendmsg sendmsg(MSG_INTERRUPT)
	s_mov_b32 m0, ttmp2
.LBB2_2367:                             ; =>This Inner Loop Header: Depth=1
	s_sethalt 5
	s_branch .LBB2_2367
.LBB2_2368:
	s_trap 2
	s_sendmsg_rtn_b32 s0, sendmsg(MSG_RTN_GET_DOORBELL)
	s_mov_b32 ttmp2, m0
	s_waitcnt lgkmcnt(0)
	s_and_b32 s0, s0, 0x3ff
	s_delay_alu instid0(SALU_CYCLE_1) | instskip(NEXT) | instid1(SALU_CYCLE_1)
	s_bitset1_b32 s0, 10
	s_mov_b32 m0, s0
	s_sendmsg sendmsg(MSG_INTERRUPT)
	s_mov_b32 m0, ttmp2
.LBB2_2369:                             ; =>This Inner Loop Header: Depth=1
	s_sethalt 5
	s_branch .LBB2_2369
.LBB2_2370:
	s_trap 2
	s_sendmsg_rtn_b32 s0, sendmsg(MSG_RTN_GET_DOORBELL)
	s_mov_b32 ttmp2, m0
	s_waitcnt lgkmcnt(0)
	s_and_b32 s0, s0, 0x3ff
	s_delay_alu instid0(SALU_CYCLE_1) | instskip(NEXT) | instid1(SALU_CYCLE_1)
	s_bitset1_b32 s0, 10
	s_mov_b32 m0, s0
	s_sendmsg sendmsg(MSG_INTERRUPT)
	s_mov_b32 m0, ttmp2
.LBB2_2371:                             ; =>This Inner Loop Header: Depth=1
	s_sethalt 5
	s_branch .LBB2_2371
.LBB2_2372:
	s_trap 2
	s_sendmsg_rtn_b32 s0, sendmsg(MSG_RTN_GET_DOORBELL)
	s_mov_b32 ttmp2, m0
	s_waitcnt lgkmcnt(0)
	s_and_b32 s0, s0, 0x3ff
	s_delay_alu instid0(SALU_CYCLE_1) | instskip(NEXT) | instid1(SALU_CYCLE_1)
	s_bitset1_b32 s0, 10
	s_mov_b32 m0, s0
	s_sendmsg sendmsg(MSG_INTERRUPT)
	s_mov_b32 m0, ttmp2
.LBB2_2373:                             ; =>This Inner Loop Header: Depth=1
	s_sethalt 5
	s_branch .LBB2_2373
.LBB2_2374:
	s_trap 2
	s_sendmsg_rtn_b32 s0, sendmsg(MSG_RTN_GET_DOORBELL)
	s_mov_b32 ttmp2, m0
	s_waitcnt lgkmcnt(0)
	s_and_b32 s0, s0, 0x3ff
	s_delay_alu instid0(SALU_CYCLE_1) | instskip(NEXT) | instid1(SALU_CYCLE_1)
	s_bitset1_b32 s0, 10
	s_mov_b32 m0, s0
	s_sendmsg sendmsg(MSG_INTERRUPT)
	s_mov_b32 m0, ttmp2
.LBB2_2375:                             ; =>This Inner Loop Header: Depth=1
	s_sethalt 5
	s_branch .LBB2_2375
.LBB2_2376:
	s_trap 2
	s_sendmsg_rtn_b32 s0, sendmsg(MSG_RTN_GET_DOORBELL)
	s_mov_b32 ttmp2, m0
	s_waitcnt lgkmcnt(0)
	s_and_b32 s0, s0, 0x3ff
	s_delay_alu instid0(SALU_CYCLE_1) | instskip(NEXT) | instid1(SALU_CYCLE_1)
	s_bitset1_b32 s0, 10
	s_mov_b32 m0, s0
	s_sendmsg sendmsg(MSG_INTERRUPT)
	s_mov_b32 m0, ttmp2
.LBB2_2377:                             ; =>This Inner Loop Header: Depth=1
	s_sethalt 5
	s_branch .LBB2_2377
.LBB2_2378:
	s_trap 2
	s_sendmsg_rtn_b32 s0, sendmsg(MSG_RTN_GET_DOORBELL)
	s_mov_b32 ttmp2, m0
	s_waitcnt lgkmcnt(0)
	s_and_b32 s0, s0, 0x3ff
	s_delay_alu instid0(SALU_CYCLE_1) | instskip(NEXT) | instid1(SALU_CYCLE_1)
	s_bitset1_b32 s0, 10
	s_mov_b32 m0, s0
	s_sendmsg sendmsg(MSG_INTERRUPT)
	s_mov_b32 m0, ttmp2
.LBB2_2379:                             ; =>This Inner Loop Header: Depth=1
	s_sethalt 5
	s_branch .LBB2_2379
.LBB2_2380:
	s_trap 2
	s_sendmsg_rtn_b32 s0, sendmsg(MSG_RTN_GET_DOORBELL)
	s_mov_b32 ttmp2, m0
	s_waitcnt lgkmcnt(0)
	s_and_b32 s0, s0, 0x3ff
	s_delay_alu instid0(SALU_CYCLE_1) | instskip(NEXT) | instid1(SALU_CYCLE_1)
	s_bitset1_b32 s0, 10
	s_mov_b32 m0, s0
	s_sendmsg sendmsg(MSG_INTERRUPT)
	s_mov_b32 m0, ttmp2
.LBB2_2381:                             ; =>This Inner Loop Header: Depth=1
	s_sethalt 5
	s_branch .LBB2_2381
.LBB2_2382:
	s_trap 2
	s_sendmsg_rtn_b32 s0, sendmsg(MSG_RTN_GET_DOORBELL)
	s_mov_b32 ttmp2, m0
	s_waitcnt lgkmcnt(0)
	s_and_b32 s0, s0, 0x3ff
	s_delay_alu instid0(SALU_CYCLE_1) | instskip(NEXT) | instid1(SALU_CYCLE_1)
	s_bitset1_b32 s0, 10
	s_mov_b32 m0, s0
	s_sendmsg sendmsg(MSG_INTERRUPT)
	s_mov_b32 m0, ttmp2
.LBB2_2383:                             ; =>This Inner Loop Header: Depth=1
	s_sethalt 5
	s_branch .LBB2_2383
.LBB2_2384:
	s_trap 2
	s_sendmsg_rtn_b32 s0, sendmsg(MSG_RTN_GET_DOORBELL)
	s_mov_b32 ttmp2, m0
	s_waitcnt lgkmcnt(0)
	s_and_b32 s0, s0, 0x3ff
	s_delay_alu instid0(SALU_CYCLE_1) | instskip(NEXT) | instid1(SALU_CYCLE_1)
	s_bitset1_b32 s0, 10
	s_mov_b32 m0, s0
	s_sendmsg sendmsg(MSG_INTERRUPT)
	s_mov_b32 m0, ttmp2
.LBB2_2385:                             ; =>This Inner Loop Header: Depth=1
	s_sethalt 5
	s_branch .LBB2_2385
.LBB2_2386:
	s_trap 2
	s_sendmsg_rtn_b32 s0, sendmsg(MSG_RTN_GET_DOORBELL)
	s_mov_b32 ttmp2, m0
	s_waitcnt lgkmcnt(0)
	s_and_b32 s0, s0, 0x3ff
	s_delay_alu instid0(SALU_CYCLE_1) | instskip(NEXT) | instid1(SALU_CYCLE_1)
	s_bitset1_b32 s0, 10
	s_mov_b32 m0, s0
	s_sendmsg sendmsg(MSG_INTERRUPT)
	s_mov_b32 m0, ttmp2
.LBB2_2387:                             ; =>This Inner Loop Header: Depth=1
	s_sethalt 5
	s_branch .LBB2_2387
.LBB2_2388:
	s_trap 2
	s_sendmsg_rtn_b32 s0, sendmsg(MSG_RTN_GET_DOORBELL)
	s_mov_b32 ttmp2, m0
	s_waitcnt lgkmcnt(0)
	s_and_b32 s0, s0, 0x3ff
	s_delay_alu instid0(SALU_CYCLE_1) | instskip(NEXT) | instid1(SALU_CYCLE_1)
	s_bitset1_b32 s0, 10
	s_mov_b32 m0, s0
	s_sendmsg sendmsg(MSG_INTERRUPT)
	s_mov_b32 m0, ttmp2
.LBB2_2389:                             ; =>This Inner Loop Header: Depth=1
	s_sethalt 5
	s_branch .LBB2_2389
.LBB2_2390:
	s_trap 2
	s_sendmsg_rtn_b32 s0, sendmsg(MSG_RTN_GET_DOORBELL)
	s_mov_b32 ttmp2, m0
	s_waitcnt lgkmcnt(0)
	s_and_b32 s0, s0, 0x3ff
	s_delay_alu instid0(SALU_CYCLE_1) | instskip(NEXT) | instid1(SALU_CYCLE_1)
	s_bitset1_b32 s0, 10
	s_mov_b32 m0, s0
	s_sendmsg sendmsg(MSG_INTERRUPT)
	s_mov_b32 m0, ttmp2
.LBB2_2391:                             ; =>This Inner Loop Header: Depth=1
	s_sethalt 5
	s_branch .LBB2_2391
.LBB2_2392:
	s_trap 2
	s_sendmsg_rtn_b32 s0, sendmsg(MSG_RTN_GET_DOORBELL)
	s_mov_b32 ttmp2, m0
	s_waitcnt lgkmcnt(0)
	s_and_b32 s0, s0, 0x3ff
	s_delay_alu instid0(SALU_CYCLE_1) | instskip(NEXT) | instid1(SALU_CYCLE_1)
	s_bitset1_b32 s0, 10
	s_mov_b32 m0, s0
	s_sendmsg sendmsg(MSG_INTERRUPT)
	s_mov_b32 m0, ttmp2
.LBB2_2393:                             ; =>This Inner Loop Header: Depth=1
	s_sethalt 5
	s_branch .LBB2_2393
.LBB2_2394:
	s_trap 2
	s_sendmsg_rtn_b32 s0, sendmsg(MSG_RTN_GET_DOORBELL)
	s_mov_b32 ttmp2, m0
	s_waitcnt lgkmcnt(0)
	s_and_b32 s0, s0, 0x3ff
	s_delay_alu instid0(SALU_CYCLE_1) | instskip(NEXT) | instid1(SALU_CYCLE_1)
	s_bitset1_b32 s0, 10
	s_mov_b32 m0, s0
	s_sendmsg sendmsg(MSG_INTERRUPT)
	s_mov_b32 m0, ttmp2
.LBB2_2395:                             ; =>This Inner Loop Header: Depth=1
	s_sethalt 5
	s_branch .LBB2_2395
.LBB2_2396:
	s_trap 2
	s_sendmsg_rtn_b32 s0, sendmsg(MSG_RTN_GET_DOORBELL)
	s_mov_b32 ttmp2, m0
	s_waitcnt lgkmcnt(0)
	s_and_b32 s0, s0, 0x3ff
	s_delay_alu instid0(SALU_CYCLE_1) | instskip(NEXT) | instid1(SALU_CYCLE_1)
	s_bitset1_b32 s0, 10
	s_mov_b32 m0, s0
	s_sendmsg sendmsg(MSG_INTERRUPT)
	s_mov_b32 m0, ttmp2
.LBB2_2397:                             ; =>This Inner Loop Header: Depth=1
	s_sethalt 5
	s_branch .LBB2_2397
.LBB2_2398:
	s_trap 2
	s_sendmsg_rtn_b32 s0, sendmsg(MSG_RTN_GET_DOORBELL)
	s_mov_b32 ttmp2, m0
	s_waitcnt lgkmcnt(0)
	s_and_b32 s0, s0, 0x3ff
	s_delay_alu instid0(SALU_CYCLE_1) | instskip(NEXT) | instid1(SALU_CYCLE_1)
	s_bitset1_b32 s0, 10
	s_mov_b32 m0, s0
	s_sendmsg sendmsg(MSG_INTERRUPT)
	s_mov_b32 m0, ttmp2
.LBB2_2399:                             ; =>This Inner Loop Header: Depth=1
	s_sethalt 5
	s_branch .LBB2_2399
.LBB2_2400:
	s_trap 2
	s_sendmsg_rtn_b32 s0, sendmsg(MSG_RTN_GET_DOORBELL)
	s_mov_b32 ttmp2, m0
	s_waitcnt lgkmcnt(0)
	s_and_b32 s0, s0, 0x3ff
	s_delay_alu instid0(SALU_CYCLE_1) | instskip(NEXT) | instid1(SALU_CYCLE_1)
	s_bitset1_b32 s0, 10
	s_mov_b32 m0, s0
	s_sendmsg sendmsg(MSG_INTERRUPT)
	s_mov_b32 m0, ttmp2
.LBB2_2401:                             ; =>This Inner Loop Header: Depth=1
	s_sethalt 5
	s_branch .LBB2_2401
.LBB2_2402:
	s_trap 2
	s_sendmsg_rtn_b32 s0, sendmsg(MSG_RTN_GET_DOORBELL)
	s_mov_b32 ttmp2, m0
	s_waitcnt lgkmcnt(0)
	s_and_b32 s0, s0, 0x3ff
	s_delay_alu instid0(SALU_CYCLE_1) | instskip(NEXT) | instid1(SALU_CYCLE_1)
	s_bitset1_b32 s0, 10
	s_mov_b32 m0, s0
	s_sendmsg sendmsg(MSG_INTERRUPT)
	s_mov_b32 m0, ttmp2
.LBB2_2403:                             ; =>This Inner Loop Header: Depth=1
	s_sethalt 5
	s_branch .LBB2_2403
.LBB2_2404:
	s_trap 2
	s_sendmsg_rtn_b32 s0, sendmsg(MSG_RTN_GET_DOORBELL)
	s_mov_b32 ttmp2, m0
	s_waitcnt lgkmcnt(0)
	s_and_b32 s0, s0, 0x3ff
	s_delay_alu instid0(SALU_CYCLE_1) | instskip(NEXT) | instid1(SALU_CYCLE_1)
	s_bitset1_b32 s0, 10
	s_mov_b32 m0, s0
	s_sendmsg sendmsg(MSG_INTERRUPT)
	s_mov_b32 m0, ttmp2
.LBB2_2405:                             ; =>This Inner Loop Header: Depth=1
	s_sethalt 5
	s_branch .LBB2_2405
.LBB2_2406:
	s_or_b32 exec_lo, exec_lo, s4
	s_and_saveexec_b32 s4, s5
	s_delay_alu instid0(SALU_CYCLE_1)
	s_xor_b32 s4, exec_lo, s4
	s_cbranch_execz .LBB2_2408
; %bb.2407:
	v_mov_b32_e32 v0, 1
	ds_store_b32 v0, v0
	s_cbranch_execnz .LBB2_2496
.LBB2_2408:
	s_or_b32 exec_lo, exec_lo, s3
	;;#ASMSTART
	s_wakeup
	;;#ASMEND
.LBB2_2409:
	s_or_b32 exec_lo, exec_lo, s2
.LBB2_2410:
	s_and_not1_saveexec_b32 s1, s1
	s_cbranch_execz .LBB2_2412
; %bb.2411:
	s_waitcnt lgkmcnt(0)
	s_waitcnt_vscnt null, 0x0
	buffer_gl1_inv
	buffer_gl0_inv
	s_barrier
.LBB2_2412:
	s_or_b32 exec_lo, exec_lo, s0
.LBB2_2413:
	s_and_not1_saveexec_b32 s21, s18
	s_cbranch_execz .LBB2_2415
; %bb.2414:
	s_getpc_b64 s[0:1]
	s_add_u32 s0, s0, __PRETTY_FUNCTION__._ZN10PrimitivesI6__half10FuncMinMaxIS0_E12FanSymmetricILi1EELi0E11ProtoSimpleILi2ELi2ELi0ELi1ELi0ELi0EELi0ELb0ELi0ELi0ELi0EEC2EiiPKiS9_PKvPvmhhhP15ncclDevWorkCollP14ncclDevWorkP2pii@rel32@lo+4
	s_addc_u32 s1, s1, __PRETTY_FUNCTION__._ZN10PrimitivesI6__half10FuncMinMaxIS0_E12FanSymmetricILi1EELi0E11ProtoSimpleILi2ELi2ELi0ELi1ELi0ELi0EELi0ELb0ELi0ELi0ELi0EEC2EiiPKiS9_PKvPvmhhhP15ncclDevWorkCollP14ncclDevWorkP2pii@rel32@hi+12
	s_delay_alu instid0(SALU_CYCLE_1) | instskip(SKIP_3) | instid1(SALU_CYCLE_1)
	v_dual_mov_b32 v0, s0 :: v_dual_mov_b32 v1, s1
	s_getpc_b64 s[2:3]
	s_add_u32 s2, s2, __assert_fail@rel32@lo+4
	s_addc_u32 s3, s3, __assert_fail@rel32@hi+12
	s_swappc_b64 s[30:31], s[2:3]
	; divergent unreachable
.LBB2_2415:
	s_or_b32 exec_lo, exec_lo, s21
	scratch_load_b32 v40, off, s33          ; 4-byte Folded Reload
	v_readlane_b32 s30, v41, 10
	v_readlane_b32 s31, v41, 11
	;; [unrolled: 1-line block ×13, first 2 shown]
	s_or_saveexec_b32 s1, -1
	s_clause 0x1
	scratch_load_b32 v41, off, s33 offset:4
	scratch_load_b32 v42, off, s33 offset:8
	s_mov_b32 exec_lo, s1
	s_add_i32 s32, s32, -16
	s_mov_b32 s33, s0
	s_waitcnt vmcnt(0) lgkmcnt(0)
	s_setpc_b64 s[30:31]
.LBB2_2416:
	s_trap 2
	s_sendmsg_rtn_b32 s0, sendmsg(MSG_RTN_GET_DOORBELL)
	s_mov_b32 ttmp2, m0
	s_waitcnt lgkmcnt(0)
	s_and_b32 s0, s0, 0x3ff
	s_delay_alu instid0(SALU_CYCLE_1) | instskip(NEXT) | instid1(SALU_CYCLE_1)
	s_bitset1_b32 s0, 10
	s_mov_b32 m0, s0
	s_sendmsg sendmsg(MSG_INTERRUPT)
	s_mov_b32 m0, ttmp2
.LBB2_2417:                             ; =>This Inner Loop Header: Depth=1
	s_sethalt 5
	s_branch .LBB2_2417
.LBB2_2418:
	s_trap 2
	s_sendmsg_rtn_b32 s0, sendmsg(MSG_RTN_GET_DOORBELL)
	s_mov_b32 ttmp2, m0
	s_waitcnt lgkmcnt(0)
	s_and_b32 s0, s0, 0x3ff
	s_delay_alu instid0(SALU_CYCLE_1) | instskip(NEXT) | instid1(SALU_CYCLE_1)
	s_bitset1_b32 s0, 10
	s_mov_b32 m0, s0
	s_sendmsg sendmsg(MSG_INTERRUPT)
	s_mov_b32 m0, ttmp2
.LBB2_2419:                             ; =>This Inner Loop Header: Depth=1
	s_sethalt 5
	s_branch .LBB2_2419
.LBB2_2420:
	s_trap 2
	s_sendmsg_rtn_b32 s0, sendmsg(MSG_RTN_GET_DOORBELL)
	s_mov_b32 ttmp2, m0
	s_waitcnt lgkmcnt(0)
	s_and_b32 s0, s0, 0x3ff
	s_delay_alu instid0(SALU_CYCLE_1) | instskip(NEXT) | instid1(SALU_CYCLE_1)
	s_bitset1_b32 s0, 10
	s_mov_b32 m0, s0
	s_sendmsg sendmsg(MSG_INTERRUPT)
	s_mov_b32 m0, ttmp2
.LBB2_2421:                             ; =>This Inner Loop Header: Depth=1
	s_sethalt 5
	s_branch .LBB2_2421
.LBB2_2422:
	s_trap 2
	s_sendmsg_rtn_b32 s0, sendmsg(MSG_RTN_GET_DOORBELL)
	s_mov_b32 ttmp2, m0
	s_waitcnt lgkmcnt(0)
	s_and_b32 s0, s0, 0x3ff
	s_delay_alu instid0(SALU_CYCLE_1) | instskip(NEXT) | instid1(SALU_CYCLE_1)
	s_bitset1_b32 s0, 10
	s_mov_b32 m0, s0
	s_sendmsg sendmsg(MSG_INTERRUPT)
	s_mov_b32 m0, ttmp2
.LBB2_2423:                             ; =>This Inner Loop Header: Depth=1
	s_sethalt 5
	s_branch .LBB2_2423
.LBB2_2424:
	s_trap 2
	s_sendmsg_rtn_b32 s0, sendmsg(MSG_RTN_GET_DOORBELL)
	s_mov_b32 ttmp2, m0
	s_waitcnt lgkmcnt(0)
	s_and_b32 s0, s0, 0x3ff
	s_delay_alu instid0(SALU_CYCLE_1) | instskip(NEXT) | instid1(SALU_CYCLE_1)
	s_bitset1_b32 s0, 10
	s_mov_b32 m0, s0
	s_sendmsg sendmsg(MSG_INTERRUPT)
	s_mov_b32 m0, ttmp2
.LBB2_2425:                             ; =>This Inner Loop Header: Depth=1
	s_sethalt 5
	s_branch .LBB2_2425
.LBB2_2426:
	s_trap 2
	s_sendmsg_rtn_b32 s0, sendmsg(MSG_RTN_GET_DOORBELL)
	s_mov_b32 ttmp2, m0
	s_waitcnt lgkmcnt(0)
	s_and_b32 s0, s0, 0x3ff
	s_delay_alu instid0(SALU_CYCLE_1) | instskip(NEXT) | instid1(SALU_CYCLE_1)
	s_bitset1_b32 s0, 10
	s_mov_b32 m0, s0
	s_sendmsg sendmsg(MSG_INTERRUPT)
	s_mov_b32 m0, ttmp2
.LBB2_2427:                             ; =>This Inner Loop Header: Depth=1
	s_sethalt 5
	s_branch .LBB2_2427
.LBB2_2428:
	s_trap 2
	s_sendmsg_rtn_b32 s0, sendmsg(MSG_RTN_GET_DOORBELL)
	s_mov_b32 ttmp2, m0
	s_waitcnt lgkmcnt(0)
	s_and_b32 s0, s0, 0x3ff
	s_delay_alu instid0(SALU_CYCLE_1) | instskip(NEXT) | instid1(SALU_CYCLE_1)
	s_bitset1_b32 s0, 10
	s_mov_b32 m0, s0
	s_sendmsg sendmsg(MSG_INTERRUPT)
	s_mov_b32 m0, ttmp2
.LBB2_2429:                             ; =>This Inner Loop Header: Depth=1
	s_sethalt 5
	s_branch .LBB2_2429
.LBB2_2430:
	s_trap 2
	s_sendmsg_rtn_b32 s0, sendmsg(MSG_RTN_GET_DOORBELL)
	s_mov_b32 ttmp2, m0
	s_waitcnt lgkmcnt(0)
	s_and_b32 s0, s0, 0x3ff
	s_delay_alu instid0(SALU_CYCLE_1) | instskip(NEXT) | instid1(SALU_CYCLE_1)
	s_bitset1_b32 s0, 10
	s_mov_b32 m0, s0
	s_sendmsg sendmsg(MSG_INTERRUPT)
	s_mov_b32 m0, ttmp2
.LBB2_2431:                             ; =>This Inner Loop Header: Depth=1
	s_sethalt 5
	s_branch .LBB2_2431
.LBB2_2432:
	s_trap 2
	s_sendmsg_rtn_b32 s0, sendmsg(MSG_RTN_GET_DOORBELL)
	s_mov_b32 ttmp2, m0
	s_waitcnt lgkmcnt(0)
	s_and_b32 s0, s0, 0x3ff
	s_delay_alu instid0(SALU_CYCLE_1) | instskip(NEXT) | instid1(SALU_CYCLE_1)
	s_bitset1_b32 s0, 10
	s_mov_b32 m0, s0
	s_sendmsg sendmsg(MSG_INTERRUPT)
	s_mov_b32 m0, ttmp2
.LBB2_2433:                             ; =>This Inner Loop Header: Depth=1
	s_sethalt 5
	s_branch .LBB2_2433
.LBB2_2434:
	s_trap 2
	s_sendmsg_rtn_b32 s0, sendmsg(MSG_RTN_GET_DOORBELL)
	s_mov_b32 ttmp2, m0
	s_waitcnt lgkmcnt(0)
	s_and_b32 s0, s0, 0x3ff
	s_delay_alu instid0(SALU_CYCLE_1) | instskip(NEXT) | instid1(SALU_CYCLE_1)
	s_bitset1_b32 s0, 10
	s_mov_b32 m0, s0
	s_sendmsg sendmsg(MSG_INTERRUPT)
	s_mov_b32 m0, ttmp2
.LBB2_2435:                             ; =>This Inner Loop Header: Depth=1
	s_sethalt 5
	s_branch .LBB2_2435
.LBB2_2436:
	s_trap 2
	s_sendmsg_rtn_b32 s0, sendmsg(MSG_RTN_GET_DOORBELL)
	s_mov_b32 ttmp2, m0
	s_waitcnt lgkmcnt(0)
	s_and_b32 s0, s0, 0x3ff
	s_delay_alu instid0(SALU_CYCLE_1) | instskip(NEXT) | instid1(SALU_CYCLE_1)
	s_bitset1_b32 s0, 10
	s_mov_b32 m0, s0
	s_sendmsg sendmsg(MSG_INTERRUPT)
	s_mov_b32 m0, ttmp2
.LBB2_2437:                             ; =>This Inner Loop Header: Depth=1
	s_sethalt 5
	s_branch .LBB2_2437
.LBB2_2438:
	s_trap 2
	s_sendmsg_rtn_b32 s0, sendmsg(MSG_RTN_GET_DOORBELL)
	s_mov_b32 ttmp2, m0
	s_waitcnt lgkmcnt(0)
	s_and_b32 s0, s0, 0x3ff
	s_delay_alu instid0(SALU_CYCLE_1) | instskip(NEXT) | instid1(SALU_CYCLE_1)
	s_bitset1_b32 s0, 10
	s_mov_b32 m0, s0
	s_sendmsg sendmsg(MSG_INTERRUPT)
	s_mov_b32 m0, ttmp2
.LBB2_2439:                             ; =>This Inner Loop Header: Depth=1
	s_sethalt 5
	s_branch .LBB2_2439
.LBB2_2440:
	s_trap 2
	s_sendmsg_rtn_b32 s0, sendmsg(MSG_RTN_GET_DOORBELL)
	s_mov_b32 ttmp2, m0
	s_waitcnt lgkmcnt(0)
	s_and_b32 s0, s0, 0x3ff
	s_delay_alu instid0(SALU_CYCLE_1) | instskip(NEXT) | instid1(SALU_CYCLE_1)
	s_bitset1_b32 s0, 10
	s_mov_b32 m0, s0
	s_sendmsg sendmsg(MSG_INTERRUPT)
	s_mov_b32 m0, ttmp2
.LBB2_2441:                             ; =>This Inner Loop Header: Depth=1
	s_sethalt 5
	s_branch .LBB2_2441
.LBB2_2442:
	s_trap 2
	s_sendmsg_rtn_b32 s0, sendmsg(MSG_RTN_GET_DOORBELL)
	s_mov_b32 ttmp2, m0
	s_waitcnt lgkmcnt(0)
	s_and_b32 s0, s0, 0x3ff
	s_delay_alu instid0(SALU_CYCLE_1) | instskip(NEXT) | instid1(SALU_CYCLE_1)
	s_bitset1_b32 s0, 10
	s_mov_b32 m0, s0
	s_sendmsg sendmsg(MSG_INTERRUPT)
	s_mov_b32 m0, ttmp2
.LBB2_2443:                             ; =>This Inner Loop Header: Depth=1
	s_sethalt 5
	s_branch .LBB2_2443
.LBB2_2444:
	s_trap 2
	s_sendmsg_rtn_b32 s0, sendmsg(MSG_RTN_GET_DOORBELL)
	s_mov_b32 ttmp2, m0
	s_waitcnt lgkmcnt(0)
	s_and_b32 s0, s0, 0x3ff
	s_delay_alu instid0(SALU_CYCLE_1) | instskip(NEXT) | instid1(SALU_CYCLE_1)
	s_bitset1_b32 s0, 10
	s_mov_b32 m0, s0
	s_sendmsg sendmsg(MSG_INTERRUPT)
	s_mov_b32 m0, ttmp2
.LBB2_2445:                             ; =>This Inner Loop Header: Depth=1
	s_sethalt 5
	s_branch .LBB2_2445
.LBB2_2446:
	s_trap 2
	s_sendmsg_rtn_b32 s0, sendmsg(MSG_RTN_GET_DOORBELL)
	s_mov_b32 ttmp2, m0
	s_waitcnt lgkmcnt(0)
	s_and_b32 s0, s0, 0x3ff
	s_delay_alu instid0(SALU_CYCLE_1) | instskip(NEXT) | instid1(SALU_CYCLE_1)
	s_bitset1_b32 s0, 10
	s_mov_b32 m0, s0
	s_sendmsg sendmsg(MSG_INTERRUPT)
	s_mov_b32 m0, ttmp2
.LBB2_2447:                             ; =>This Inner Loop Header: Depth=1
	s_sethalt 5
	s_branch .LBB2_2447
.LBB2_2448:
	s_trap 2
	s_sendmsg_rtn_b32 s0, sendmsg(MSG_RTN_GET_DOORBELL)
	s_mov_b32 ttmp2, m0
	s_waitcnt lgkmcnt(0)
	s_and_b32 s0, s0, 0x3ff
	s_delay_alu instid0(SALU_CYCLE_1) | instskip(NEXT) | instid1(SALU_CYCLE_1)
	s_bitset1_b32 s0, 10
	s_mov_b32 m0, s0
	s_sendmsg sendmsg(MSG_INTERRUPT)
	s_mov_b32 m0, ttmp2
.LBB2_2449:                             ; =>This Inner Loop Header: Depth=1
	s_sethalt 5
	s_branch .LBB2_2449
.LBB2_2450:
	s_trap 2
	s_sendmsg_rtn_b32 s0, sendmsg(MSG_RTN_GET_DOORBELL)
	s_mov_b32 ttmp2, m0
	s_waitcnt lgkmcnt(0)
	s_and_b32 s0, s0, 0x3ff
	s_delay_alu instid0(SALU_CYCLE_1) | instskip(NEXT) | instid1(SALU_CYCLE_1)
	s_bitset1_b32 s0, 10
	s_mov_b32 m0, s0
	s_sendmsg sendmsg(MSG_INTERRUPT)
	s_mov_b32 m0, ttmp2
.LBB2_2451:                             ; =>This Inner Loop Header: Depth=1
	s_sethalt 5
	s_branch .LBB2_2451
.LBB2_2452:
	s_trap 2
	s_sendmsg_rtn_b32 s0, sendmsg(MSG_RTN_GET_DOORBELL)
	s_mov_b32 ttmp2, m0
	s_waitcnt lgkmcnt(0)
	s_and_b32 s0, s0, 0x3ff
	s_delay_alu instid0(SALU_CYCLE_1) | instskip(NEXT) | instid1(SALU_CYCLE_1)
	s_bitset1_b32 s0, 10
	s_mov_b32 m0, s0
	s_sendmsg sendmsg(MSG_INTERRUPT)
	s_mov_b32 m0, ttmp2
.LBB2_2453:                             ; =>This Inner Loop Header: Depth=1
	s_sethalt 5
	s_branch .LBB2_2453
.LBB2_2454:
	s_trap 2
	s_sendmsg_rtn_b32 s0, sendmsg(MSG_RTN_GET_DOORBELL)
	s_mov_b32 ttmp2, m0
	s_waitcnt lgkmcnt(0)
	s_and_b32 s0, s0, 0x3ff
	s_delay_alu instid0(SALU_CYCLE_1) | instskip(NEXT) | instid1(SALU_CYCLE_1)
	s_bitset1_b32 s0, 10
	s_mov_b32 m0, s0
	s_sendmsg sendmsg(MSG_INTERRUPT)
	s_mov_b32 m0, ttmp2
.LBB2_2455:                             ; =>This Inner Loop Header: Depth=1
	s_sethalt 5
	s_branch .LBB2_2455
.LBB2_2456:
	s_trap 2
	s_sendmsg_rtn_b32 s0, sendmsg(MSG_RTN_GET_DOORBELL)
	s_mov_b32 ttmp2, m0
	s_waitcnt lgkmcnt(0)
	s_and_b32 s0, s0, 0x3ff
	s_delay_alu instid0(SALU_CYCLE_1) | instskip(NEXT) | instid1(SALU_CYCLE_1)
	s_bitset1_b32 s0, 10
	s_mov_b32 m0, s0
	s_sendmsg sendmsg(MSG_INTERRUPT)
	s_mov_b32 m0, ttmp2
.LBB2_2457:                             ; =>This Inner Loop Header: Depth=1
	s_sethalt 5
	s_branch .LBB2_2457
.LBB2_2458:
	s_trap 2
	s_sendmsg_rtn_b32 s0, sendmsg(MSG_RTN_GET_DOORBELL)
	s_mov_b32 ttmp2, m0
	s_waitcnt lgkmcnt(0)
	s_and_b32 s0, s0, 0x3ff
	s_delay_alu instid0(SALU_CYCLE_1) | instskip(NEXT) | instid1(SALU_CYCLE_1)
	s_bitset1_b32 s0, 10
	s_mov_b32 m0, s0
	s_sendmsg sendmsg(MSG_INTERRUPT)
	s_mov_b32 m0, ttmp2
.LBB2_2459:                             ; =>This Inner Loop Header: Depth=1
	s_sethalt 5
	s_branch .LBB2_2459
.LBB2_2460:
	s_trap 2
	s_sendmsg_rtn_b32 s0, sendmsg(MSG_RTN_GET_DOORBELL)
	s_mov_b32 ttmp2, m0
	s_waitcnt lgkmcnt(0)
	s_and_b32 s0, s0, 0x3ff
	s_delay_alu instid0(SALU_CYCLE_1) | instskip(NEXT) | instid1(SALU_CYCLE_1)
	s_bitset1_b32 s0, 10
	s_mov_b32 m0, s0
	s_sendmsg sendmsg(MSG_INTERRUPT)
	s_mov_b32 m0, ttmp2
.LBB2_2461:                             ; =>This Inner Loop Header: Depth=1
	s_sethalt 5
	s_branch .LBB2_2461
.LBB2_2462:
	s_trap 2
	s_sendmsg_rtn_b32 s0, sendmsg(MSG_RTN_GET_DOORBELL)
	s_mov_b32 ttmp2, m0
	s_waitcnt lgkmcnt(0)
	s_and_b32 s0, s0, 0x3ff
	s_delay_alu instid0(SALU_CYCLE_1) | instskip(NEXT) | instid1(SALU_CYCLE_1)
	s_bitset1_b32 s0, 10
	s_mov_b32 m0, s0
	s_sendmsg sendmsg(MSG_INTERRUPT)
	s_mov_b32 m0, ttmp2
.LBB2_2463:                             ; =>This Inner Loop Header: Depth=1
	s_sethalt 5
	s_branch .LBB2_2463
.LBB2_2464:
	s_trap 2
	s_sendmsg_rtn_b32 s0, sendmsg(MSG_RTN_GET_DOORBELL)
	s_mov_b32 ttmp2, m0
	s_waitcnt lgkmcnt(0)
	s_and_b32 s0, s0, 0x3ff
	s_delay_alu instid0(SALU_CYCLE_1) | instskip(NEXT) | instid1(SALU_CYCLE_1)
	s_bitset1_b32 s0, 10
	s_mov_b32 m0, s0
	s_sendmsg sendmsg(MSG_INTERRUPT)
	s_mov_b32 m0, ttmp2
.LBB2_2465:                             ; =>This Inner Loop Header: Depth=1
	s_sethalt 5
	s_branch .LBB2_2465
.LBB2_2466:
	s_trap 2
	s_sendmsg_rtn_b32 s0, sendmsg(MSG_RTN_GET_DOORBELL)
	s_mov_b32 ttmp2, m0
	s_waitcnt lgkmcnt(0)
	s_and_b32 s0, s0, 0x3ff
	s_delay_alu instid0(SALU_CYCLE_1) | instskip(NEXT) | instid1(SALU_CYCLE_1)
	s_bitset1_b32 s0, 10
	s_mov_b32 m0, s0
	s_sendmsg sendmsg(MSG_INTERRUPT)
	s_mov_b32 m0, ttmp2
.LBB2_2467:                             ; =>This Inner Loop Header: Depth=1
	s_sethalt 5
	s_branch .LBB2_2467
.LBB2_2468:
	s_trap 2
	s_sendmsg_rtn_b32 s0, sendmsg(MSG_RTN_GET_DOORBELL)
	s_mov_b32 ttmp2, m0
	s_waitcnt lgkmcnt(0)
	s_and_b32 s0, s0, 0x3ff
	s_delay_alu instid0(SALU_CYCLE_1) | instskip(NEXT) | instid1(SALU_CYCLE_1)
	s_bitset1_b32 s0, 10
	s_mov_b32 m0, s0
	s_sendmsg sendmsg(MSG_INTERRUPT)
	s_mov_b32 m0, ttmp2
.LBB2_2469:                             ; =>This Inner Loop Header: Depth=1
	s_sethalt 5
	s_branch .LBB2_2469
.LBB2_2470:
	s_trap 2
	s_sendmsg_rtn_b32 s0, sendmsg(MSG_RTN_GET_DOORBELL)
	s_mov_b32 ttmp2, m0
	s_waitcnt lgkmcnt(0)
	s_and_b32 s0, s0, 0x3ff
	s_delay_alu instid0(SALU_CYCLE_1) | instskip(NEXT) | instid1(SALU_CYCLE_1)
	s_bitset1_b32 s0, 10
	s_mov_b32 m0, s0
	s_sendmsg sendmsg(MSG_INTERRUPT)
	s_mov_b32 m0, ttmp2
.LBB2_2471:                             ; =>This Inner Loop Header: Depth=1
	s_sethalt 5
	s_branch .LBB2_2471
.LBB2_2472:
	s_trap 2
	s_sendmsg_rtn_b32 s0, sendmsg(MSG_RTN_GET_DOORBELL)
	s_mov_b32 ttmp2, m0
	s_waitcnt lgkmcnt(0)
	s_and_b32 s0, s0, 0x3ff
	s_delay_alu instid0(SALU_CYCLE_1) | instskip(NEXT) | instid1(SALU_CYCLE_1)
	s_bitset1_b32 s0, 10
	s_mov_b32 m0, s0
	s_sendmsg sendmsg(MSG_INTERRUPT)
	s_mov_b32 m0, ttmp2
.LBB2_2473:                             ; =>This Inner Loop Header: Depth=1
	s_sethalt 5
	s_branch .LBB2_2473
.LBB2_2474:
	s_trap 2
	s_sendmsg_rtn_b32 s0, sendmsg(MSG_RTN_GET_DOORBELL)
	s_mov_b32 ttmp2, m0
	s_waitcnt lgkmcnt(0)
	s_and_b32 s0, s0, 0x3ff
	s_delay_alu instid0(SALU_CYCLE_1) | instskip(NEXT) | instid1(SALU_CYCLE_1)
	s_bitset1_b32 s0, 10
	s_mov_b32 m0, s0
	s_sendmsg sendmsg(MSG_INTERRUPT)
	s_mov_b32 m0, ttmp2
.LBB2_2475:                             ; =>This Inner Loop Header: Depth=1
	s_sethalt 5
	s_branch .LBB2_2475
.LBB2_2476:
	s_trap 2
	s_sendmsg_rtn_b32 s0, sendmsg(MSG_RTN_GET_DOORBELL)
	s_mov_b32 ttmp2, m0
	s_waitcnt lgkmcnt(0)
	s_and_b32 s0, s0, 0x3ff
	s_delay_alu instid0(SALU_CYCLE_1) | instskip(NEXT) | instid1(SALU_CYCLE_1)
	s_bitset1_b32 s0, 10
	s_mov_b32 m0, s0
	s_sendmsg sendmsg(MSG_INTERRUPT)
	s_mov_b32 m0, ttmp2
.LBB2_2477:                             ; =>This Inner Loop Header: Depth=1
	s_sethalt 5
	s_branch .LBB2_2477
.LBB2_2478:
	s_trap 2
	s_sendmsg_rtn_b32 s0, sendmsg(MSG_RTN_GET_DOORBELL)
	s_mov_b32 ttmp2, m0
	s_waitcnt lgkmcnt(0)
	s_and_b32 s0, s0, 0x3ff
	s_delay_alu instid0(SALU_CYCLE_1) | instskip(NEXT) | instid1(SALU_CYCLE_1)
	s_bitset1_b32 s0, 10
	s_mov_b32 m0, s0
	s_sendmsg sendmsg(MSG_INTERRUPT)
	s_mov_b32 m0, ttmp2
.LBB2_2479:                             ; =>This Inner Loop Header: Depth=1
	s_sethalt 5
	s_branch .LBB2_2479
.LBB2_2480:
	s_trap 2
	s_sendmsg_rtn_b32 s0, sendmsg(MSG_RTN_GET_DOORBELL)
	s_mov_b32 ttmp2, m0
	s_waitcnt lgkmcnt(0)
	s_and_b32 s0, s0, 0x3ff
	s_delay_alu instid0(SALU_CYCLE_1) | instskip(NEXT) | instid1(SALU_CYCLE_1)
	s_bitset1_b32 s0, 10
	s_mov_b32 m0, s0
	s_sendmsg sendmsg(MSG_INTERRUPT)
	s_mov_b32 m0, ttmp2
.LBB2_2481:                             ; =>This Inner Loop Header: Depth=1
	s_sethalt 5
	s_branch .LBB2_2481
.LBB2_2482:
	s_trap 2
	s_sendmsg_rtn_b32 s0, sendmsg(MSG_RTN_GET_DOORBELL)
	s_mov_b32 ttmp2, m0
	s_waitcnt lgkmcnt(0)
	s_and_b32 s0, s0, 0x3ff
	s_delay_alu instid0(SALU_CYCLE_1) | instskip(NEXT) | instid1(SALU_CYCLE_1)
	s_bitset1_b32 s0, 10
	s_mov_b32 m0, s0
	s_sendmsg sendmsg(MSG_INTERRUPT)
	s_mov_b32 m0, ttmp2
.LBB2_2483:                             ; =>This Inner Loop Header: Depth=1
	s_sethalt 5
	s_branch .LBB2_2483
.LBB2_2484:
	s_trap 2
	s_sendmsg_rtn_b32 s0, sendmsg(MSG_RTN_GET_DOORBELL)
	s_mov_b32 ttmp2, m0
	s_waitcnt lgkmcnt(0)
	s_and_b32 s0, s0, 0x3ff
	s_delay_alu instid0(SALU_CYCLE_1) | instskip(NEXT) | instid1(SALU_CYCLE_1)
	s_bitset1_b32 s0, 10
	s_mov_b32 m0, s0
	s_sendmsg sendmsg(MSG_INTERRUPT)
	s_mov_b32 m0, ttmp2
.LBB2_2485:                             ; =>This Inner Loop Header: Depth=1
	s_sethalt 5
	s_branch .LBB2_2485
.LBB2_2486:
	s_trap 2
	s_sendmsg_rtn_b32 s0, sendmsg(MSG_RTN_GET_DOORBELL)
	s_mov_b32 ttmp2, m0
	s_waitcnt lgkmcnt(0)
	s_and_b32 s0, s0, 0x3ff
	s_delay_alu instid0(SALU_CYCLE_1) | instskip(NEXT) | instid1(SALU_CYCLE_1)
	s_bitset1_b32 s0, 10
	s_mov_b32 m0, s0
	s_sendmsg sendmsg(MSG_INTERRUPT)
	s_mov_b32 m0, ttmp2
.LBB2_2487:                             ; =>This Inner Loop Header: Depth=1
	s_sethalt 5
	s_branch .LBB2_2487
.LBB2_2488:
	s_trap 2
	s_sendmsg_rtn_b32 s0, sendmsg(MSG_RTN_GET_DOORBELL)
	s_mov_b32 ttmp2, m0
	s_waitcnt lgkmcnt(0)
	s_and_b32 s0, s0, 0x3ff
	s_delay_alu instid0(SALU_CYCLE_1) | instskip(NEXT) | instid1(SALU_CYCLE_1)
	s_bitset1_b32 s0, 10
	s_mov_b32 m0, s0
	s_sendmsg sendmsg(MSG_INTERRUPT)
	s_mov_b32 m0, ttmp2
.LBB2_2489:                             ; =>This Inner Loop Header: Depth=1
	s_sethalt 5
	s_branch .LBB2_2489
.LBB2_2490:
	s_trap 2
	s_sendmsg_rtn_b32 s0, sendmsg(MSG_RTN_GET_DOORBELL)
	s_mov_b32 ttmp2, m0
	s_waitcnt lgkmcnt(0)
	s_and_b32 s0, s0, 0x3ff
	s_delay_alu instid0(SALU_CYCLE_1) | instskip(NEXT) | instid1(SALU_CYCLE_1)
	s_bitset1_b32 s0, 10
	s_mov_b32 m0, s0
	s_sendmsg sendmsg(MSG_INTERRUPT)
	s_mov_b32 m0, ttmp2
.LBB2_2491:                             ; =>This Inner Loop Header: Depth=1
	s_sethalt 5
	s_branch .LBB2_2491
.LBB2_2492:
	s_trap 2
	s_sendmsg_rtn_b32 s0, sendmsg(MSG_RTN_GET_DOORBELL)
	s_mov_b32 ttmp2, m0
	s_waitcnt lgkmcnt(0)
	s_and_b32 s0, s0, 0x3ff
	s_delay_alu instid0(SALU_CYCLE_1) | instskip(NEXT) | instid1(SALU_CYCLE_1)
	s_bitset1_b32 s0, 10
	s_mov_b32 m0, s0
	s_sendmsg sendmsg(MSG_INTERRUPT)
	s_mov_b32 m0, ttmp2
.LBB2_2493:                             ; =>This Inner Loop Header: Depth=1
	s_sethalt 5
	s_branch .LBB2_2493
.LBB2_2494:
	s_trap 2
	s_sendmsg_rtn_b32 s0, sendmsg(MSG_RTN_GET_DOORBELL)
	s_mov_b32 ttmp2, m0
	s_waitcnt lgkmcnt(0)
	s_and_b32 s0, s0, 0x3ff
	s_delay_alu instid0(SALU_CYCLE_1) | instskip(NEXT) | instid1(SALU_CYCLE_1)
	s_bitset1_b32 s0, 10
	s_mov_b32 m0, s0
	s_sendmsg sendmsg(MSG_INTERRUPT)
	s_mov_b32 m0, ttmp2
.LBB2_2495:                             ; =>This Inner Loop Header: Depth=1
	s_sethalt 5
	s_branch .LBB2_2495
.LBB2_2496:
	s_trap 2
	s_sendmsg_rtn_b32 s0, sendmsg(MSG_RTN_GET_DOORBELL)
	s_mov_b32 ttmp2, m0
	s_waitcnt lgkmcnt(0)
	s_and_b32 s0, s0, 0x3ff
	s_delay_alu instid0(SALU_CYCLE_1) | instskip(NEXT) | instid1(SALU_CYCLE_1)
	s_bitset1_b32 s0, 10
	s_mov_b32 m0, s0
	s_sendmsg sendmsg(MSG_INTERRUPT)
	s_mov_b32 m0, ttmp2
.LBB2_2497:                             ; =>This Inner Loop Header: Depth=1
	s_sethalt 5
	s_branch .LBB2_2497
.LBB2_2498:
	s_trap 2
	s_sendmsg_rtn_b32 s0, sendmsg(MSG_RTN_GET_DOORBELL)
	s_mov_b32 ttmp2, m0
	s_waitcnt lgkmcnt(0)
	s_and_b32 s0, s0, 0x3ff
	s_delay_alu instid0(SALU_CYCLE_1) | instskip(NEXT) | instid1(SALU_CYCLE_1)
	s_bitset1_b32 s0, 10
	s_mov_b32 m0, s0
	s_sendmsg sendmsg(MSG_INTERRUPT)
	s_mov_b32 m0, ttmp2
.LBB2_2499:                             ; =>This Inner Loop Header: Depth=1
	s_sethalt 5
	s_branch .LBB2_2499
.LBB2_2500:
	s_trap 2
	s_sendmsg_rtn_b32 s0, sendmsg(MSG_RTN_GET_DOORBELL)
	s_mov_b32 ttmp2, m0
	s_waitcnt lgkmcnt(0)
	s_and_b32 s0, s0, 0x3ff
	s_delay_alu instid0(SALU_CYCLE_1) | instskip(NEXT) | instid1(SALU_CYCLE_1)
	s_bitset1_b32 s0, 10
	s_mov_b32 m0, s0
	s_sendmsg sendmsg(MSG_INTERRUPT)
	s_mov_b32 m0, ttmp2
.LBB2_2501:                             ; =>This Inner Loop Header: Depth=1
	s_sethalt 5
	s_branch .LBB2_2501
.LBB2_2502:
	s_trap 2
	s_sendmsg_rtn_b32 s0, sendmsg(MSG_RTN_GET_DOORBELL)
	s_mov_b32 ttmp2, m0
	s_waitcnt lgkmcnt(0)
	s_and_b32 s0, s0, 0x3ff
	s_delay_alu instid0(SALU_CYCLE_1) | instskip(NEXT) | instid1(SALU_CYCLE_1)
	s_bitset1_b32 s0, 10
	s_mov_b32 m0, s0
	s_sendmsg sendmsg(MSG_INTERRUPT)
	s_mov_b32 m0, ttmp2
.LBB2_2503:                             ; =>This Inner Loop Header: Depth=1
	s_sethalt 5
	s_branch .LBB2_2503
.LBB2_2504:
	s_trap 2
	s_sendmsg_rtn_b32 s0, sendmsg(MSG_RTN_GET_DOORBELL)
	s_mov_b32 ttmp2, m0
	s_waitcnt lgkmcnt(0)
	s_and_b32 s0, s0, 0x3ff
	s_delay_alu instid0(SALU_CYCLE_1) | instskip(NEXT) | instid1(SALU_CYCLE_1)
	s_bitset1_b32 s0, 10
	s_mov_b32 m0, s0
	s_sendmsg sendmsg(MSG_INTERRUPT)
	s_mov_b32 m0, ttmp2
.LBB2_2505:                             ; =>This Inner Loop Header: Depth=1
	s_sethalt 5
	s_branch .LBB2_2505
.LBB2_2506:
	s_trap 2
	s_sendmsg_rtn_b32 s0, sendmsg(MSG_RTN_GET_DOORBELL)
	s_mov_b32 ttmp2, m0
	s_waitcnt lgkmcnt(0)
	s_and_b32 s0, s0, 0x3ff
	s_delay_alu instid0(SALU_CYCLE_1) | instskip(NEXT) | instid1(SALU_CYCLE_1)
	s_bitset1_b32 s0, 10
	s_mov_b32 m0, s0
	s_sendmsg sendmsg(MSG_INTERRUPT)
	s_mov_b32 m0, ttmp2
.LBB2_2507:                             ; =>This Inner Loop Header: Depth=1
	s_sethalt 5
	s_branch .LBB2_2507
.LBB2_2508:
	s_trap 2
	s_sendmsg_rtn_b32 s0, sendmsg(MSG_RTN_GET_DOORBELL)
	s_mov_b32 ttmp2, m0
	s_waitcnt lgkmcnt(0)
	s_and_b32 s0, s0, 0x3ff
	s_delay_alu instid0(SALU_CYCLE_1) | instskip(NEXT) | instid1(SALU_CYCLE_1)
	s_bitset1_b32 s0, 10
	s_mov_b32 m0, s0
	s_sendmsg sendmsg(MSG_INTERRUPT)
	s_mov_b32 m0, ttmp2
.LBB2_2509:                             ; =>This Inner Loop Header: Depth=1
	s_sethalt 5
	s_branch .LBB2_2509
.LBB2_2510:
	s_trap 2
	s_sendmsg_rtn_b32 s0, sendmsg(MSG_RTN_GET_DOORBELL)
	s_mov_b32 ttmp2, m0
	s_waitcnt lgkmcnt(0)
	s_and_b32 s0, s0, 0x3ff
	s_delay_alu instid0(SALU_CYCLE_1) | instskip(NEXT) | instid1(SALU_CYCLE_1)
	s_bitset1_b32 s0, 10
	s_mov_b32 m0, s0
	s_sendmsg sendmsg(MSG_INTERRUPT)
	s_mov_b32 m0, ttmp2
.LBB2_2511:                             ; =>This Inner Loop Header: Depth=1
	s_sethalt 5
	s_branch .LBB2_2511
.LBB2_2512:
	s_trap 2
	s_sendmsg_rtn_b32 s0, sendmsg(MSG_RTN_GET_DOORBELL)
	s_mov_b32 ttmp2, m0
	s_waitcnt lgkmcnt(0)
	s_and_b32 s0, s0, 0x3ff
	s_delay_alu instid0(SALU_CYCLE_1) | instskip(NEXT) | instid1(SALU_CYCLE_1)
	s_bitset1_b32 s0, 10
	s_mov_b32 m0, s0
	s_sendmsg sendmsg(MSG_INTERRUPT)
	s_mov_b32 m0, ttmp2
.LBB2_2513:                             ; =>This Inner Loop Header: Depth=1
	s_sethalt 5
	s_branch .LBB2_2513
.LBB2_2514:
	s_trap 2
	s_sendmsg_rtn_b32 s0, sendmsg(MSG_RTN_GET_DOORBELL)
	s_mov_b32 ttmp2, m0
	s_waitcnt lgkmcnt(0)
	s_and_b32 s0, s0, 0x3ff
	s_delay_alu instid0(SALU_CYCLE_1) | instskip(NEXT) | instid1(SALU_CYCLE_1)
	s_bitset1_b32 s0, 10
	s_mov_b32 m0, s0
	s_sendmsg sendmsg(MSG_INTERRUPT)
	s_mov_b32 m0, ttmp2
.LBB2_2515:                             ; =>This Inner Loop Header: Depth=1
	s_sethalt 5
	s_branch .LBB2_2515
.LBB2_2516:
	s_trap 2
	s_sendmsg_rtn_b32 s0, sendmsg(MSG_RTN_GET_DOORBELL)
	s_mov_b32 ttmp2, m0
	s_waitcnt lgkmcnt(0)
	s_and_b32 s0, s0, 0x3ff
	s_delay_alu instid0(SALU_CYCLE_1) | instskip(NEXT) | instid1(SALU_CYCLE_1)
	s_bitset1_b32 s0, 10
	s_mov_b32 m0, s0
	s_sendmsg sendmsg(MSG_INTERRUPT)
	s_mov_b32 m0, ttmp2
.LBB2_2517:                             ; =>This Inner Loop Header: Depth=1
	s_sethalt 5
	s_branch .LBB2_2517
.LBB2_2518:
	s_trap 2
	s_sendmsg_rtn_b32 s0, sendmsg(MSG_RTN_GET_DOORBELL)
	s_mov_b32 ttmp2, m0
	s_waitcnt lgkmcnt(0)
	s_and_b32 s0, s0, 0x3ff
	s_delay_alu instid0(SALU_CYCLE_1) | instskip(NEXT) | instid1(SALU_CYCLE_1)
	s_bitset1_b32 s0, 10
	s_mov_b32 m0, s0
	s_sendmsg sendmsg(MSG_INTERRUPT)
	s_mov_b32 m0, ttmp2
.LBB2_2519:                             ; =>This Inner Loop Header: Depth=1
	s_sethalt 5
	s_branch .LBB2_2519
.LBB2_2520:
	s_trap 2
	s_sendmsg_rtn_b32 s0, sendmsg(MSG_RTN_GET_DOORBELL)
	s_mov_b32 ttmp2, m0
	s_waitcnt lgkmcnt(0)
	s_and_b32 s0, s0, 0x3ff
	s_delay_alu instid0(SALU_CYCLE_1) | instskip(NEXT) | instid1(SALU_CYCLE_1)
	s_bitset1_b32 s0, 10
	s_mov_b32 m0, s0
	s_sendmsg sendmsg(MSG_INTERRUPT)
	s_mov_b32 m0, ttmp2
.LBB2_2521:                             ; =>This Inner Loop Header: Depth=1
	s_sethalt 5
	s_branch .LBB2_2521
.LBB2_2522:
	s_trap 2
	s_sendmsg_rtn_b32 s0, sendmsg(MSG_RTN_GET_DOORBELL)
	s_mov_b32 ttmp2, m0
	s_waitcnt lgkmcnt(0)
	s_and_b32 s0, s0, 0x3ff
	s_delay_alu instid0(SALU_CYCLE_1) | instskip(NEXT) | instid1(SALU_CYCLE_1)
	s_bitset1_b32 s0, 10
	s_mov_b32 m0, s0
	s_sendmsg sendmsg(MSG_INTERRUPT)
	s_mov_b32 m0, ttmp2
.LBB2_2523:                             ; =>This Inner Loop Header: Depth=1
	s_sethalt 5
	s_branch .LBB2_2523
.LBB2_2524:
	s_trap 2
	s_sendmsg_rtn_b32 s0, sendmsg(MSG_RTN_GET_DOORBELL)
	s_mov_b32 ttmp2, m0
	s_waitcnt lgkmcnt(0)
	s_and_b32 s0, s0, 0x3ff
	s_delay_alu instid0(SALU_CYCLE_1) | instskip(NEXT) | instid1(SALU_CYCLE_1)
	s_bitset1_b32 s0, 10
	s_mov_b32 m0, s0
	s_sendmsg sendmsg(MSG_INTERRUPT)
	s_mov_b32 m0, ttmp2
.LBB2_2525:                             ; =>This Inner Loop Header: Depth=1
	s_sethalt 5
	s_branch .LBB2_2525
.LBB2_2526:
	s_trap 2
	s_sendmsg_rtn_b32 s0, sendmsg(MSG_RTN_GET_DOORBELL)
	s_mov_b32 ttmp2, m0
	s_waitcnt lgkmcnt(0)
	s_and_b32 s0, s0, 0x3ff
	s_delay_alu instid0(SALU_CYCLE_1) | instskip(NEXT) | instid1(SALU_CYCLE_1)
	s_bitset1_b32 s0, 10
	s_mov_b32 m0, s0
	s_sendmsg sendmsg(MSG_INTERRUPT)
	s_mov_b32 m0, ttmp2
.LBB2_2527:                             ; =>This Inner Loop Header: Depth=1
	s_sethalt 5
	s_branch .LBB2_2527
.LBB2_2528:
	s_trap 2
	s_sendmsg_rtn_b32 s0, sendmsg(MSG_RTN_GET_DOORBELL)
	s_mov_b32 ttmp2, m0
	s_waitcnt lgkmcnt(0)
	s_and_b32 s0, s0, 0x3ff
	s_delay_alu instid0(SALU_CYCLE_1) | instskip(NEXT) | instid1(SALU_CYCLE_1)
	s_bitset1_b32 s0, 10
	s_mov_b32 m0, s0
	s_sendmsg sendmsg(MSG_INTERRUPT)
	s_mov_b32 m0, ttmp2
.LBB2_2529:                             ; =>This Inner Loop Header: Depth=1
	s_sethalt 5
	s_branch .LBB2_2529
.LBB2_2530:
	s_trap 2
	s_sendmsg_rtn_b32 s0, sendmsg(MSG_RTN_GET_DOORBELL)
	s_mov_b32 ttmp2, m0
	s_waitcnt lgkmcnt(0)
	s_and_b32 s0, s0, 0x3ff
	s_delay_alu instid0(SALU_CYCLE_1) | instskip(NEXT) | instid1(SALU_CYCLE_1)
	s_bitset1_b32 s0, 10
	s_mov_b32 m0, s0
	s_sendmsg sendmsg(MSG_INTERRUPT)
	s_mov_b32 m0, ttmp2
.LBB2_2531:                             ; =>This Inner Loop Header: Depth=1
	s_sethalt 5
	s_branch .LBB2_2531
.LBB2_2532:
	s_trap 2
	s_sendmsg_rtn_b32 s0, sendmsg(MSG_RTN_GET_DOORBELL)
	s_mov_b32 ttmp2, m0
	s_waitcnt lgkmcnt(0)
	s_and_b32 s0, s0, 0x3ff
	s_delay_alu instid0(SALU_CYCLE_1) | instskip(NEXT) | instid1(SALU_CYCLE_1)
	s_bitset1_b32 s0, 10
	s_mov_b32 m0, s0
	s_sendmsg sendmsg(MSG_INTERRUPT)
	s_mov_b32 m0, ttmp2
.LBB2_2533:                             ; =>This Inner Loop Header: Depth=1
	s_sethalt 5
	s_branch .LBB2_2533
.LBB2_2534:
	s_trap 2
	s_sendmsg_rtn_b32 s0, sendmsg(MSG_RTN_GET_DOORBELL)
	s_mov_b32 ttmp2, m0
	s_waitcnt lgkmcnt(0)
	s_and_b32 s0, s0, 0x3ff
	s_delay_alu instid0(SALU_CYCLE_1) | instskip(NEXT) | instid1(SALU_CYCLE_1)
	s_bitset1_b32 s0, 10
	s_mov_b32 m0, s0
	s_sendmsg sendmsg(MSG_INTERRUPT)
	s_mov_b32 m0, ttmp2
.LBB2_2535:                             ; =>This Inner Loop Header: Depth=1
	s_sethalt 5
	s_branch .LBB2_2535
.LBB2_2536:
	s_trap 2
	s_sendmsg_rtn_b32 s0, sendmsg(MSG_RTN_GET_DOORBELL)
	s_mov_b32 ttmp2, m0
	s_waitcnt lgkmcnt(0)
	s_and_b32 s0, s0, 0x3ff
	s_delay_alu instid0(SALU_CYCLE_1) | instskip(NEXT) | instid1(SALU_CYCLE_1)
	s_bitset1_b32 s0, 10
	s_mov_b32 m0, s0
	s_sendmsg sendmsg(MSG_INTERRUPT)
	s_mov_b32 m0, ttmp2
.LBB2_2537:                             ; =>This Inner Loop Header: Depth=1
	s_sethalt 5
	s_branch .LBB2_2537
.LBB2_2538:
	s_trap 2
	s_sendmsg_rtn_b32 s0, sendmsg(MSG_RTN_GET_DOORBELL)
	s_mov_b32 ttmp2, m0
	s_waitcnt lgkmcnt(0)
	s_and_b32 s0, s0, 0x3ff
	s_delay_alu instid0(SALU_CYCLE_1) | instskip(NEXT) | instid1(SALU_CYCLE_1)
	s_bitset1_b32 s0, 10
	s_mov_b32 m0, s0
	s_sendmsg sendmsg(MSG_INTERRUPT)
	s_mov_b32 m0, ttmp2
.LBB2_2539:                             ; =>This Inner Loop Header: Depth=1
	s_sethalt 5
	s_branch .LBB2_2539
.LBB2_2540:
	s_trap 2
	s_sendmsg_rtn_b32 s0, sendmsg(MSG_RTN_GET_DOORBELL)
	s_mov_b32 ttmp2, m0
	s_waitcnt lgkmcnt(0)
	s_and_b32 s0, s0, 0x3ff
	s_delay_alu instid0(SALU_CYCLE_1) | instskip(NEXT) | instid1(SALU_CYCLE_1)
	s_bitset1_b32 s0, 10
	s_mov_b32 m0, s0
	s_sendmsg sendmsg(MSG_INTERRUPT)
	s_mov_b32 m0, ttmp2
.LBB2_2541:                             ; =>This Inner Loop Header: Depth=1
	s_sethalt 5
	s_branch .LBB2_2541
.LBB2_2542:
	s_trap 2
	s_sendmsg_rtn_b32 s0, sendmsg(MSG_RTN_GET_DOORBELL)
	s_mov_b32 ttmp2, m0
	s_waitcnt lgkmcnt(0)
	s_and_b32 s0, s0, 0x3ff
	s_delay_alu instid0(SALU_CYCLE_1) | instskip(NEXT) | instid1(SALU_CYCLE_1)
	s_bitset1_b32 s0, 10
	s_mov_b32 m0, s0
	s_sendmsg sendmsg(MSG_INTERRUPT)
	s_mov_b32 m0, ttmp2
.LBB2_2543:                             ; =>This Inner Loop Header: Depth=1
	s_sethalt 5
	s_branch .LBB2_2543
.LBB2_2544:
	s_trap 2
	s_sendmsg_rtn_b32 s0, sendmsg(MSG_RTN_GET_DOORBELL)
	s_mov_b32 ttmp2, m0
	s_waitcnt lgkmcnt(0)
	s_and_b32 s0, s0, 0x3ff
	s_delay_alu instid0(SALU_CYCLE_1) | instskip(NEXT) | instid1(SALU_CYCLE_1)
	s_bitset1_b32 s0, 10
	s_mov_b32 m0, s0
	s_sendmsg sendmsg(MSG_INTERRUPT)
	s_mov_b32 m0, ttmp2
.LBB2_2545:                             ; =>This Inner Loop Header: Depth=1
	s_sethalt 5
	s_branch .LBB2_2545
.LBB2_2546:
	s_trap 2
	s_sendmsg_rtn_b32 s0, sendmsg(MSG_RTN_GET_DOORBELL)
	s_mov_b32 ttmp2, m0
	s_waitcnt lgkmcnt(0)
	s_and_b32 s0, s0, 0x3ff
	s_delay_alu instid0(SALU_CYCLE_1) | instskip(NEXT) | instid1(SALU_CYCLE_1)
	s_bitset1_b32 s0, 10
	s_mov_b32 m0, s0
	s_sendmsg sendmsg(MSG_INTERRUPT)
	s_mov_b32 m0, ttmp2
.LBB2_2547:                             ; =>This Inner Loop Header: Depth=1
	s_sethalt 5
	s_branch .LBB2_2547
.LBB2_2548:
	s_trap 2
	s_sendmsg_rtn_b32 s0, sendmsg(MSG_RTN_GET_DOORBELL)
	s_mov_b32 ttmp2, m0
	s_waitcnt lgkmcnt(0)
	s_and_b32 s0, s0, 0x3ff
	s_delay_alu instid0(SALU_CYCLE_1) | instskip(NEXT) | instid1(SALU_CYCLE_1)
	s_bitset1_b32 s0, 10
	s_mov_b32 m0, s0
	s_sendmsg sendmsg(MSG_INTERRUPT)
	s_mov_b32 m0, ttmp2
.LBB2_2549:                             ; =>This Inner Loop Header: Depth=1
	s_sethalt 5
	s_branch .LBB2_2549
.LBB2_2550:
	s_trap 2
	s_sendmsg_rtn_b32 s0, sendmsg(MSG_RTN_GET_DOORBELL)
	s_mov_b32 ttmp2, m0
	s_waitcnt lgkmcnt(0)
	s_and_b32 s0, s0, 0x3ff
	s_delay_alu instid0(SALU_CYCLE_1) | instskip(NEXT) | instid1(SALU_CYCLE_1)
	s_bitset1_b32 s0, 10
	s_mov_b32 m0, s0
	s_sendmsg sendmsg(MSG_INTERRUPT)
	s_mov_b32 m0, ttmp2
.LBB2_2551:                             ; =>This Inner Loop Header: Depth=1
	s_sethalt 5
	s_branch .LBB2_2551
.LBB2_2552:
	s_trap 2
	s_sendmsg_rtn_b32 s0, sendmsg(MSG_RTN_GET_DOORBELL)
	s_mov_b32 ttmp2, m0
	s_waitcnt lgkmcnt(0)
	s_and_b32 s0, s0, 0x3ff
	s_delay_alu instid0(SALU_CYCLE_1) | instskip(NEXT) | instid1(SALU_CYCLE_1)
	s_bitset1_b32 s0, 10
	s_mov_b32 m0, s0
	s_sendmsg sendmsg(MSG_INTERRUPT)
	s_mov_b32 m0, ttmp2
.LBB2_2553:                             ; =>This Inner Loop Header: Depth=1
	s_sethalt 5
	s_branch .LBB2_2553
.LBB2_2554:
	s_trap 2
	s_sendmsg_rtn_b32 s0, sendmsg(MSG_RTN_GET_DOORBELL)
	s_mov_b32 ttmp2, m0
	s_waitcnt lgkmcnt(0)
	s_and_b32 s0, s0, 0x3ff
	s_delay_alu instid0(SALU_CYCLE_1) | instskip(NEXT) | instid1(SALU_CYCLE_1)
	s_bitset1_b32 s0, 10
	s_mov_b32 m0, s0
	s_sendmsg sendmsg(MSG_INTERRUPT)
	s_mov_b32 m0, ttmp2
.LBB2_2555:                             ; =>This Inner Loop Header: Depth=1
	s_sethalt 5
	s_branch .LBB2_2555
.LBB2_2556:
	s_trap 2
	s_sendmsg_rtn_b32 s0, sendmsg(MSG_RTN_GET_DOORBELL)
	s_mov_b32 ttmp2, m0
	s_waitcnt lgkmcnt(0)
	s_and_b32 s0, s0, 0x3ff
	s_delay_alu instid0(SALU_CYCLE_1) | instskip(NEXT) | instid1(SALU_CYCLE_1)
	s_bitset1_b32 s0, 10
	s_mov_b32 m0, s0
	s_sendmsg sendmsg(MSG_INTERRUPT)
	s_mov_b32 m0, ttmp2
.LBB2_2557:                             ; =>This Inner Loop Header: Depth=1
	s_sethalt 5
	s_branch .LBB2_2557
.LBB2_2558:
	s_trap 2
	s_sendmsg_rtn_b32 s0, sendmsg(MSG_RTN_GET_DOORBELL)
	s_mov_b32 ttmp2, m0
	s_waitcnt lgkmcnt(0)
	s_and_b32 s0, s0, 0x3ff
	s_delay_alu instid0(SALU_CYCLE_1) | instskip(NEXT) | instid1(SALU_CYCLE_1)
	s_bitset1_b32 s0, 10
	s_mov_b32 m0, s0
	s_sendmsg sendmsg(MSG_INTERRUPT)
	s_mov_b32 m0, ttmp2
.LBB2_2559:                             ; =>This Inner Loop Header: Depth=1
	s_sethalt 5
	s_branch .LBB2_2559
.LBB2_2560:
	s_trap 2
	s_sendmsg_rtn_b32 s0, sendmsg(MSG_RTN_GET_DOORBELL)
	s_mov_b32 ttmp2, m0
	s_waitcnt lgkmcnt(0)
	s_and_b32 s0, s0, 0x3ff
	s_delay_alu instid0(SALU_CYCLE_1) | instskip(NEXT) | instid1(SALU_CYCLE_1)
	s_bitset1_b32 s0, 10
	s_mov_b32 m0, s0
	s_sendmsg sendmsg(MSG_INTERRUPT)
	s_mov_b32 m0, ttmp2
.LBB2_2561:                             ; =>This Inner Loop Header: Depth=1
	s_sethalt 5
	s_branch .LBB2_2561
.LBB2_2562:
	s_trap 2
	s_sendmsg_rtn_b32 s0, sendmsg(MSG_RTN_GET_DOORBELL)
	s_mov_b32 ttmp2, m0
	s_waitcnt lgkmcnt(0)
	s_and_b32 s0, s0, 0x3ff
	s_delay_alu instid0(SALU_CYCLE_1) | instskip(NEXT) | instid1(SALU_CYCLE_1)
	s_bitset1_b32 s0, 10
	s_mov_b32 m0, s0
	s_sendmsg sendmsg(MSG_INTERRUPT)
	s_mov_b32 m0, ttmp2
.LBB2_2563:                             ; =>This Inner Loop Header: Depth=1
	s_sethalt 5
	s_branch .LBB2_2563
.LBB2_2564:
	s_trap 2
	s_sendmsg_rtn_b32 s0, sendmsg(MSG_RTN_GET_DOORBELL)
	s_mov_b32 ttmp2, m0
	s_waitcnt lgkmcnt(0)
	s_and_b32 s0, s0, 0x3ff
	s_delay_alu instid0(SALU_CYCLE_1) | instskip(NEXT) | instid1(SALU_CYCLE_1)
	s_bitset1_b32 s0, 10
	s_mov_b32 m0, s0
	s_sendmsg sendmsg(MSG_INTERRUPT)
	s_mov_b32 m0, ttmp2
.LBB2_2565:                             ; =>This Inner Loop Header: Depth=1
	s_sethalt 5
	s_branch .LBB2_2565
.LBB2_2566:
	s_trap 2
	s_sendmsg_rtn_b32 s0, sendmsg(MSG_RTN_GET_DOORBELL)
	s_mov_b32 ttmp2, m0
	s_waitcnt lgkmcnt(0)
	s_and_b32 s0, s0, 0x3ff
	s_delay_alu instid0(SALU_CYCLE_1) | instskip(NEXT) | instid1(SALU_CYCLE_1)
	s_bitset1_b32 s0, 10
	s_mov_b32 m0, s0
	s_sendmsg sendmsg(MSG_INTERRUPT)
	s_mov_b32 m0, ttmp2
.LBB2_2567:                             ; =>This Inner Loop Header: Depth=1
	s_sethalt 5
	s_branch .LBB2_2567
.LBB2_2568:
	s_trap 2
	s_sendmsg_rtn_b32 s0, sendmsg(MSG_RTN_GET_DOORBELL)
	s_mov_b32 ttmp2, m0
	s_waitcnt lgkmcnt(0)
	s_and_b32 s0, s0, 0x3ff
	s_delay_alu instid0(SALU_CYCLE_1) | instskip(NEXT) | instid1(SALU_CYCLE_1)
	s_bitset1_b32 s0, 10
	s_mov_b32 m0, s0
	s_sendmsg sendmsg(MSG_INTERRUPT)
	s_mov_b32 m0, ttmp2
.LBB2_2569:                             ; =>This Inner Loop Header: Depth=1
	s_sethalt 5
	s_branch .LBB2_2569
.LBB2_2570:
	s_trap 2
	s_sendmsg_rtn_b32 s0, sendmsg(MSG_RTN_GET_DOORBELL)
	s_mov_b32 ttmp2, m0
	s_waitcnt lgkmcnt(0)
	s_and_b32 s0, s0, 0x3ff
	s_delay_alu instid0(SALU_CYCLE_1) | instskip(NEXT) | instid1(SALU_CYCLE_1)
	s_bitset1_b32 s0, 10
	s_mov_b32 m0, s0
	s_sendmsg sendmsg(MSG_INTERRUPT)
	s_mov_b32 m0, ttmp2
.LBB2_2571:                             ; =>This Inner Loop Header: Depth=1
	s_sethalt 5
	s_branch .LBB2_2571
.LBB2_2572:
	s_trap 2
	s_sendmsg_rtn_b32 s0, sendmsg(MSG_RTN_GET_DOORBELL)
	s_mov_b32 ttmp2, m0
	s_waitcnt lgkmcnt(0)
	s_and_b32 s0, s0, 0x3ff
	s_delay_alu instid0(SALU_CYCLE_1) | instskip(NEXT) | instid1(SALU_CYCLE_1)
	s_bitset1_b32 s0, 10
	s_mov_b32 m0, s0
	s_sendmsg sendmsg(MSG_INTERRUPT)
	s_mov_b32 m0, ttmp2
.LBB2_2573:                             ; =>This Inner Loop Header: Depth=1
	s_sethalt 5
	s_branch .LBB2_2573
.LBB2_2574:
	s_trap 2
	s_sendmsg_rtn_b32 s0, sendmsg(MSG_RTN_GET_DOORBELL)
	s_mov_b32 ttmp2, m0
	s_waitcnt lgkmcnt(0)
	s_and_b32 s0, s0, 0x3ff
	s_delay_alu instid0(SALU_CYCLE_1) | instskip(NEXT) | instid1(SALU_CYCLE_1)
	s_bitset1_b32 s0, 10
	s_mov_b32 m0, s0
	s_sendmsg sendmsg(MSG_INTERRUPT)
	s_mov_b32 m0, ttmp2
.LBB2_2575:                             ; =>This Inner Loop Header: Depth=1
	s_sethalt 5
	s_branch .LBB2_2575
.LBB2_2576:
	s_trap 2
	s_sendmsg_rtn_b32 s0, sendmsg(MSG_RTN_GET_DOORBELL)
	s_mov_b32 ttmp2, m0
	s_waitcnt lgkmcnt(0)
	s_and_b32 s0, s0, 0x3ff
	s_delay_alu instid0(SALU_CYCLE_1) | instskip(NEXT) | instid1(SALU_CYCLE_1)
	s_bitset1_b32 s0, 10
	s_mov_b32 m0, s0
	s_sendmsg sendmsg(MSG_INTERRUPT)
	s_mov_b32 m0, ttmp2
.LBB2_2577:                             ; =>This Inner Loop Header: Depth=1
	s_sethalt 5
	s_branch .LBB2_2577
.LBB2_2578:
	s_trap 2
	s_sendmsg_rtn_b32 s0, sendmsg(MSG_RTN_GET_DOORBELL)
	s_mov_b32 ttmp2, m0
	s_waitcnt lgkmcnt(0)
	s_and_b32 s0, s0, 0x3ff
	s_delay_alu instid0(SALU_CYCLE_1) | instskip(NEXT) | instid1(SALU_CYCLE_1)
	s_bitset1_b32 s0, 10
	s_mov_b32 m0, s0
	s_sendmsg sendmsg(MSG_INTERRUPT)
	s_mov_b32 m0, ttmp2
.LBB2_2579:                             ; =>This Inner Loop Header: Depth=1
	s_sethalt 5
	s_branch .LBB2_2579
.LBB2_2580:
	s_trap 2
	s_sendmsg_rtn_b32 s0, sendmsg(MSG_RTN_GET_DOORBELL)
	s_mov_b32 ttmp2, m0
	s_waitcnt lgkmcnt(0)
	s_and_b32 s0, s0, 0x3ff
	s_delay_alu instid0(SALU_CYCLE_1) | instskip(NEXT) | instid1(SALU_CYCLE_1)
	s_bitset1_b32 s0, 10
	s_mov_b32 m0, s0
	s_sendmsg sendmsg(MSG_INTERRUPT)
	s_mov_b32 m0, ttmp2
.LBB2_2581:                             ; =>This Inner Loop Header: Depth=1
	s_sethalt 5
	s_branch .LBB2_2581
.LBB2_2582:
	s_trap 2
	s_sendmsg_rtn_b32 s0, sendmsg(MSG_RTN_GET_DOORBELL)
	s_mov_b32 ttmp2, m0
	s_waitcnt lgkmcnt(0)
	s_and_b32 s0, s0, 0x3ff
	s_delay_alu instid0(SALU_CYCLE_1) | instskip(NEXT) | instid1(SALU_CYCLE_1)
	s_bitset1_b32 s0, 10
	s_mov_b32 m0, s0
	s_sendmsg sendmsg(MSG_INTERRUPT)
	s_mov_b32 m0, ttmp2
.LBB2_2583:                             ; =>This Inner Loop Header: Depth=1
	s_sethalt 5
	s_branch .LBB2_2583
.LBB2_2584:
	s_trap 2
	s_sendmsg_rtn_b32 s0, sendmsg(MSG_RTN_GET_DOORBELL)
	s_mov_b32 ttmp2, m0
	s_waitcnt lgkmcnt(0)
	s_and_b32 s0, s0, 0x3ff
	s_delay_alu instid0(SALU_CYCLE_1) | instskip(NEXT) | instid1(SALU_CYCLE_1)
	s_bitset1_b32 s0, 10
	s_mov_b32 m0, s0
	s_sendmsg sendmsg(MSG_INTERRUPT)
	s_mov_b32 m0, ttmp2
.LBB2_2585:                             ; =>This Inner Loop Header: Depth=1
	s_sethalt 5
	s_branch .LBB2_2585
.LBB2_2586:
	s_trap 2
	s_sendmsg_rtn_b32 s0, sendmsg(MSG_RTN_GET_DOORBELL)
	s_mov_b32 ttmp2, m0
	s_waitcnt lgkmcnt(0)
	s_and_b32 s0, s0, 0x3ff
	s_delay_alu instid0(SALU_CYCLE_1) | instskip(NEXT) | instid1(SALU_CYCLE_1)
	s_bitset1_b32 s0, 10
	s_mov_b32 m0, s0
	s_sendmsg sendmsg(MSG_INTERRUPT)
	s_mov_b32 m0, ttmp2
.LBB2_2587:                             ; =>This Inner Loop Header: Depth=1
	s_sethalt 5
	s_branch .LBB2_2587
.LBB2_2588:
	s_trap 2
	s_sendmsg_rtn_b32 s0, sendmsg(MSG_RTN_GET_DOORBELL)
	s_mov_b32 ttmp2, m0
	s_waitcnt lgkmcnt(0)
	s_and_b32 s0, s0, 0x3ff
	s_delay_alu instid0(SALU_CYCLE_1) | instskip(NEXT) | instid1(SALU_CYCLE_1)
	s_bitset1_b32 s0, 10
	s_mov_b32 m0, s0
	s_sendmsg sendmsg(MSG_INTERRUPT)
	s_mov_b32 m0, ttmp2
.LBB2_2589:                             ; =>This Inner Loop Header: Depth=1
	s_sethalt 5
	s_branch .LBB2_2589
.LBB2_2590:
	s_trap 2
	s_sendmsg_rtn_b32 s0, sendmsg(MSG_RTN_GET_DOORBELL)
	s_mov_b32 ttmp2, m0
	s_waitcnt lgkmcnt(0)
	s_and_b32 s0, s0, 0x3ff
	s_delay_alu instid0(SALU_CYCLE_1) | instskip(NEXT) | instid1(SALU_CYCLE_1)
	s_bitset1_b32 s0, 10
	s_mov_b32 m0, s0
	s_sendmsg sendmsg(MSG_INTERRUPT)
	s_mov_b32 m0, ttmp2
.LBB2_2591:                             ; =>This Inner Loop Header: Depth=1
	s_sethalt 5
	s_branch .LBB2_2591
.LBB2_2592:
	s_trap 2
	s_sendmsg_rtn_b32 s0, sendmsg(MSG_RTN_GET_DOORBELL)
	s_mov_b32 ttmp2, m0
	s_waitcnt lgkmcnt(0)
	s_and_b32 s0, s0, 0x3ff
	s_delay_alu instid0(SALU_CYCLE_1) | instskip(NEXT) | instid1(SALU_CYCLE_1)
	s_bitset1_b32 s0, 10
	s_mov_b32 m0, s0
	s_sendmsg sendmsg(MSG_INTERRUPT)
	s_mov_b32 m0, ttmp2
.LBB2_2593:                             ; =>This Inner Loop Header: Depth=1
	s_sethalt 5
	s_branch .LBB2_2593
.LBB2_2594:
	s_trap 2
	s_sendmsg_rtn_b32 s0, sendmsg(MSG_RTN_GET_DOORBELL)
	s_mov_b32 ttmp2, m0
	s_waitcnt lgkmcnt(0)
	s_and_b32 s0, s0, 0x3ff
	s_delay_alu instid0(SALU_CYCLE_1) | instskip(NEXT) | instid1(SALU_CYCLE_1)
	s_bitset1_b32 s0, 10
	s_mov_b32 m0, s0
	s_sendmsg sendmsg(MSG_INTERRUPT)
	s_mov_b32 m0, ttmp2
.LBB2_2595:                             ; =>This Inner Loop Header: Depth=1
	s_sethalt 5
	s_branch .LBB2_2595
.LBB2_2596:
	s_trap 2
	s_sendmsg_rtn_b32 s0, sendmsg(MSG_RTN_GET_DOORBELL)
	s_mov_b32 ttmp2, m0
	s_waitcnt lgkmcnt(0)
	s_and_b32 s0, s0, 0x3ff
	s_delay_alu instid0(SALU_CYCLE_1) | instskip(NEXT) | instid1(SALU_CYCLE_1)
	s_bitset1_b32 s0, 10
	s_mov_b32 m0, s0
	s_sendmsg sendmsg(MSG_INTERRUPT)
	s_mov_b32 m0, ttmp2
.LBB2_2597:                             ; =>This Inner Loop Header: Depth=1
	s_sethalt 5
	s_branch .LBB2_2597
.LBB2_2598:
	s_trap 2
	s_sendmsg_rtn_b32 s0, sendmsg(MSG_RTN_GET_DOORBELL)
	s_mov_b32 ttmp2, m0
	s_waitcnt lgkmcnt(0)
	s_and_b32 s0, s0, 0x3ff
	s_delay_alu instid0(SALU_CYCLE_1) | instskip(NEXT) | instid1(SALU_CYCLE_1)
	s_bitset1_b32 s0, 10
	s_mov_b32 m0, s0
	s_sendmsg sendmsg(MSG_INTERRUPT)
	s_mov_b32 m0, ttmp2
.LBB2_2599:                             ; =>This Inner Loop Header: Depth=1
	s_sethalt 5
	s_branch .LBB2_2599
.LBB2_2600:
	s_trap 2
	s_sendmsg_rtn_b32 s0, sendmsg(MSG_RTN_GET_DOORBELL)
	s_mov_b32 ttmp2, m0
	s_waitcnt lgkmcnt(0)
	s_and_b32 s0, s0, 0x3ff
	s_delay_alu instid0(SALU_CYCLE_1) | instskip(NEXT) | instid1(SALU_CYCLE_1)
	s_bitset1_b32 s0, 10
	s_mov_b32 m0, s0
	s_sendmsg sendmsg(MSG_INTERRUPT)
	s_mov_b32 m0, ttmp2
.LBB2_2601:                             ; =>This Inner Loop Header: Depth=1
	s_sethalt 5
	s_branch .LBB2_2601
.LBB2_2602:
	s_trap 2
	s_sendmsg_rtn_b32 s0, sendmsg(MSG_RTN_GET_DOORBELL)
	s_mov_b32 ttmp2, m0
	s_waitcnt lgkmcnt(0)
	s_and_b32 s0, s0, 0x3ff
	s_delay_alu instid0(SALU_CYCLE_1) | instskip(NEXT) | instid1(SALU_CYCLE_1)
	s_bitset1_b32 s0, 10
	s_mov_b32 m0, s0
	s_sendmsg sendmsg(MSG_INTERRUPT)
	s_mov_b32 m0, ttmp2
.LBB2_2603:                             ; =>This Inner Loop Header: Depth=1
	s_sethalt 5
	s_branch .LBB2_2603
.LBB2_2604:
	s_trap 2
	s_sendmsg_rtn_b32 s0, sendmsg(MSG_RTN_GET_DOORBELL)
	s_mov_b32 ttmp2, m0
	s_waitcnt lgkmcnt(0)
	s_and_b32 s0, s0, 0x3ff
	s_delay_alu instid0(SALU_CYCLE_1) | instskip(NEXT) | instid1(SALU_CYCLE_1)
	s_bitset1_b32 s0, 10
	s_mov_b32 m0, s0
	s_sendmsg sendmsg(MSG_INTERRUPT)
	s_mov_b32 m0, ttmp2
.LBB2_2605:                             ; =>This Inner Loop Header: Depth=1
	s_sethalt 5
	s_branch .LBB2_2605
.LBB2_2606:
	s_trap 2
	s_sendmsg_rtn_b32 s0, sendmsg(MSG_RTN_GET_DOORBELL)
	s_mov_b32 ttmp2, m0
	s_waitcnt lgkmcnt(0)
	s_and_b32 s0, s0, 0x3ff
	s_delay_alu instid0(SALU_CYCLE_1) | instskip(NEXT) | instid1(SALU_CYCLE_1)
	s_bitset1_b32 s0, 10
	s_mov_b32 m0, s0
	s_sendmsg sendmsg(MSG_INTERRUPT)
	s_mov_b32 m0, ttmp2
.LBB2_2607:                             ; =>This Inner Loop Header: Depth=1
	s_sethalt 5
	s_branch .LBB2_2607
.LBB2_2608:
	s_trap 2
	s_sendmsg_rtn_b32 s0, sendmsg(MSG_RTN_GET_DOORBELL)
	s_mov_b32 ttmp2, m0
	s_waitcnt lgkmcnt(0)
	s_and_b32 s0, s0, 0x3ff
	s_delay_alu instid0(SALU_CYCLE_1) | instskip(NEXT) | instid1(SALU_CYCLE_1)
	s_bitset1_b32 s0, 10
	s_mov_b32 m0, s0
	s_sendmsg sendmsg(MSG_INTERRUPT)
	s_mov_b32 m0, ttmp2
.LBB2_2609:                             ; =>This Inner Loop Header: Depth=1
	s_sethalt 5
	s_branch .LBB2_2609
.LBB2_2610:
	s_trap 2
	s_sendmsg_rtn_b32 s0, sendmsg(MSG_RTN_GET_DOORBELL)
	s_mov_b32 ttmp2, m0
	s_waitcnt lgkmcnt(0)
	s_and_b32 s0, s0, 0x3ff
	s_delay_alu instid0(SALU_CYCLE_1) | instskip(NEXT) | instid1(SALU_CYCLE_1)
	s_bitset1_b32 s0, 10
	s_mov_b32 m0, s0
	s_sendmsg sendmsg(MSG_INTERRUPT)
	s_mov_b32 m0, ttmp2
.LBB2_2611:                             ; =>This Inner Loop Header: Depth=1
	s_sethalt 5
	s_branch .LBB2_2611
.LBB2_2612:
	s_trap 2
	s_sendmsg_rtn_b32 s0, sendmsg(MSG_RTN_GET_DOORBELL)
	s_mov_b32 ttmp2, m0
	s_waitcnt lgkmcnt(0)
	s_and_b32 s0, s0, 0x3ff
	s_delay_alu instid0(SALU_CYCLE_1) | instskip(NEXT) | instid1(SALU_CYCLE_1)
	s_bitset1_b32 s0, 10
	s_mov_b32 m0, s0
	s_sendmsg sendmsg(MSG_INTERRUPT)
	s_mov_b32 m0, ttmp2
.LBB2_2613:                             ; =>This Inner Loop Header: Depth=1
	s_sethalt 5
	s_branch .LBB2_2613
.LBB2_2614:
	s_trap 2
	s_sendmsg_rtn_b32 s0, sendmsg(MSG_RTN_GET_DOORBELL)
	s_mov_b32 ttmp2, m0
	s_waitcnt lgkmcnt(0)
	s_and_b32 s0, s0, 0x3ff
	s_delay_alu instid0(SALU_CYCLE_1) | instskip(NEXT) | instid1(SALU_CYCLE_1)
	s_bitset1_b32 s0, 10
	s_mov_b32 m0, s0
	s_sendmsg sendmsg(MSG_INTERRUPT)
	s_mov_b32 m0, ttmp2
.LBB2_2615:                             ; =>This Inner Loop Header: Depth=1
	s_sethalt 5
	s_branch .LBB2_2615
.LBB2_2616:
	s_trap 2
	s_sendmsg_rtn_b32 s0, sendmsg(MSG_RTN_GET_DOORBELL)
	s_mov_b32 ttmp2, m0
	s_waitcnt lgkmcnt(0)
	s_and_b32 s0, s0, 0x3ff
	s_delay_alu instid0(SALU_CYCLE_1) | instskip(NEXT) | instid1(SALU_CYCLE_1)
	s_bitset1_b32 s0, 10
	s_mov_b32 m0, s0
	s_sendmsg sendmsg(MSG_INTERRUPT)
	s_mov_b32 m0, ttmp2
.LBB2_2617:                             ; =>This Inner Loop Header: Depth=1
	s_sethalt 5
	s_branch .LBB2_2617
.LBB2_2618:
	s_trap 2
	s_sendmsg_rtn_b32 s0, sendmsg(MSG_RTN_GET_DOORBELL)
	s_mov_b32 ttmp2, m0
	s_waitcnt lgkmcnt(0)
	s_and_b32 s0, s0, 0x3ff
	s_delay_alu instid0(SALU_CYCLE_1) | instskip(NEXT) | instid1(SALU_CYCLE_1)
	s_bitset1_b32 s0, 10
	s_mov_b32 m0, s0
	s_sendmsg sendmsg(MSG_INTERRUPT)
	s_mov_b32 m0, ttmp2
.LBB2_2619:                             ; =>This Inner Loop Header: Depth=1
	s_sethalt 5
	s_branch .LBB2_2619
.LBB2_2620:
	s_trap 2
	s_sendmsg_rtn_b32 s0, sendmsg(MSG_RTN_GET_DOORBELL)
	s_mov_b32 ttmp2, m0
	s_waitcnt lgkmcnt(0)
	s_and_b32 s0, s0, 0x3ff
	s_delay_alu instid0(SALU_CYCLE_1) | instskip(NEXT) | instid1(SALU_CYCLE_1)
	s_bitset1_b32 s0, 10
	s_mov_b32 m0, s0
	s_sendmsg sendmsg(MSG_INTERRUPT)
	s_mov_b32 m0, ttmp2
.LBB2_2621:                             ; =>This Inner Loop Header: Depth=1
	s_sethalt 5
	s_branch .LBB2_2621
.LBB2_2622:
	s_trap 2
	s_sendmsg_rtn_b32 s0, sendmsg(MSG_RTN_GET_DOORBELL)
	s_mov_b32 ttmp2, m0
	s_waitcnt lgkmcnt(0)
	s_and_b32 s0, s0, 0x3ff
	s_delay_alu instid0(SALU_CYCLE_1) | instskip(NEXT) | instid1(SALU_CYCLE_1)
	s_bitset1_b32 s0, 10
	s_mov_b32 m0, s0
	s_sendmsg sendmsg(MSG_INTERRUPT)
	s_mov_b32 m0, ttmp2
.LBB2_2623:                             ; =>This Inner Loop Header: Depth=1
	s_sethalt 5
	s_branch .LBB2_2623
.LBB2_2624:
	s_trap 2
	s_sendmsg_rtn_b32 s0, sendmsg(MSG_RTN_GET_DOORBELL)
	s_mov_b32 ttmp2, m0
	s_waitcnt lgkmcnt(0)
	s_and_b32 s0, s0, 0x3ff
	s_delay_alu instid0(SALU_CYCLE_1) | instskip(NEXT) | instid1(SALU_CYCLE_1)
	s_bitset1_b32 s0, 10
	s_mov_b32 m0, s0
	s_sendmsg sendmsg(MSG_INTERRUPT)
	s_mov_b32 m0, ttmp2
.LBB2_2625:                             ; =>This Inner Loop Header: Depth=1
	s_sethalt 5
	s_branch .LBB2_2625
.LBB2_2626:
	s_trap 2
	s_sendmsg_rtn_b32 s0, sendmsg(MSG_RTN_GET_DOORBELL)
	s_mov_b32 ttmp2, m0
	s_waitcnt lgkmcnt(0)
	s_and_b32 s0, s0, 0x3ff
	s_delay_alu instid0(SALU_CYCLE_1) | instskip(NEXT) | instid1(SALU_CYCLE_1)
	s_bitset1_b32 s0, 10
	s_mov_b32 m0, s0
	s_sendmsg sendmsg(MSG_INTERRUPT)
	s_mov_b32 m0, ttmp2
.LBB2_2627:                             ; =>This Inner Loop Header: Depth=1
	s_sethalt 5
	s_branch .LBB2_2627
.LBB2_2628:
	s_trap 2
	s_sendmsg_rtn_b32 s0, sendmsg(MSG_RTN_GET_DOORBELL)
	s_mov_b32 ttmp2, m0
	s_waitcnt lgkmcnt(0)
	s_and_b32 s0, s0, 0x3ff
	s_delay_alu instid0(SALU_CYCLE_1) | instskip(NEXT) | instid1(SALU_CYCLE_1)
	s_bitset1_b32 s0, 10
	s_mov_b32 m0, s0
	s_sendmsg sendmsg(MSG_INTERRUPT)
	s_mov_b32 m0, ttmp2
.LBB2_2629:                             ; =>This Inner Loop Header: Depth=1
	s_sethalt 5
	s_branch .LBB2_2629
.LBB2_2630:
	s_trap 2
	s_sendmsg_rtn_b32 s0, sendmsg(MSG_RTN_GET_DOORBELL)
	s_mov_b32 ttmp2, m0
	s_waitcnt lgkmcnt(0)
	s_and_b32 s0, s0, 0x3ff
	s_delay_alu instid0(SALU_CYCLE_1) | instskip(NEXT) | instid1(SALU_CYCLE_1)
	s_bitset1_b32 s0, 10
	s_mov_b32 m0, s0
	s_sendmsg sendmsg(MSG_INTERRUPT)
	s_mov_b32 m0, ttmp2
.LBB2_2631:                             ; =>This Inner Loop Header: Depth=1
	s_sethalt 5
	s_branch .LBB2_2631
.LBB2_2632:
	s_trap 2
	s_sendmsg_rtn_b32 s0, sendmsg(MSG_RTN_GET_DOORBELL)
	s_mov_b32 ttmp2, m0
	s_waitcnt lgkmcnt(0)
	s_and_b32 s0, s0, 0x3ff
	s_delay_alu instid0(SALU_CYCLE_1) | instskip(NEXT) | instid1(SALU_CYCLE_1)
	s_bitset1_b32 s0, 10
	s_mov_b32 m0, s0
	s_sendmsg sendmsg(MSG_INTERRUPT)
	s_mov_b32 m0, ttmp2
.LBB2_2633:                             ; =>This Inner Loop Header: Depth=1
	s_sethalt 5
	s_branch .LBB2_2633
.LBB2_2634:
	s_trap 2
	s_sendmsg_rtn_b32 s0, sendmsg(MSG_RTN_GET_DOORBELL)
	s_mov_b32 ttmp2, m0
	s_waitcnt lgkmcnt(0)
	s_and_b32 s0, s0, 0x3ff
	s_delay_alu instid0(SALU_CYCLE_1) | instskip(NEXT) | instid1(SALU_CYCLE_1)
	s_bitset1_b32 s0, 10
	s_mov_b32 m0, s0
	s_sendmsg sendmsg(MSG_INTERRUPT)
	s_mov_b32 m0, ttmp2
.LBB2_2635:                             ; =>This Inner Loop Header: Depth=1
	s_sethalt 5
	s_branch .LBB2_2635
.LBB2_2636:
	s_trap 2
	s_sendmsg_rtn_b32 s0, sendmsg(MSG_RTN_GET_DOORBELL)
	s_mov_b32 ttmp2, m0
	s_waitcnt lgkmcnt(0)
	s_and_b32 s0, s0, 0x3ff
	s_delay_alu instid0(SALU_CYCLE_1) | instskip(NEXT) | instid1(SALU_CYCLE_1)
	s_bitset1_b32 s0, 10
	s_mov_b32 m0, s0
	s_sendmsg sendmsg(MSG_INTERRUPT)
	s_mov_b32 m0, ttmp2
.LBB2_2637:                             ; =>This Inner Loop Header: Depth=1
	s_sethalt 5
	s_branch .LBB2_2637
.LBB2_2638:
	s_trap 2
	s_sendmsg_rtn_b32 s0, sendmsg(MSG_RTN_GET_DOORBELL)
	s_mov_b32 ttmp2, m0
	s_waitcnt lgkmcnt(0)
	s_and_b32 s0, s0, 0x3ff
	s_delay_alu instid0(SALU_CYCLE_1) | instskip(NEXT) | instid1(SALU_CYCLE_1)
	s_bitset1_b32 s0, 10
	s_mov_b32 m0, s0
	s_sendmsg sendmsg(MSG_INTERRUPT)
	s_mov_b32 m0, ttmp2
.LBB2_2639:                             ; =>This Inner Loop Header: Depth=1
	s_sethalt 5
	s_branch .LBB2_2639
.LBB2_2640:
	s_trap 2
	s_sendmsg_rtn_b32 s0, sendmsg(MSG_RTN_GET_DOORBELL)
	s_mov_b32 ttmp2, m0
	s_waitcnt lgkmcnt(0)
	s_and_b32 s0, s0, 0x3ff
	s_delay_alu instid0(SALU_CYCLE_1) | instskip(NEXT) | instid1(SALU_CYCLE_1)
	s_bitset1_b32 s0, 10
	s_mov_b32 m0, s0
	s_sendmsg sendmsg(MSG_INTERRUPT)
	s_mov_b32 m0, ttmp2
.LBB2_2641:                             ; =>This Inner Loop Header: Depth=1
	s_sethalt 5
	s_branch .LBB2_2641
.LBB2_2642:
	s_trap 2
	s_sendmsg_rtn_b32 s0, sendmsg(MSG_RTN_GET_DOORBELL)
	s_mov_b32 ttmp2, m0
	s_waitcnt lgkmcnt(0)
	s_and_b32 s0, s0, 0x3ff
	s_delay_alu instid0(SALU_CYCLE_1) | instskip(NEXT) | instid1(SALU_CYCLE_1)
	s_bitset1_b32 s0, 10
	s_mov_b32 m0, s0
	s_sendmsg sendmsg(MSG_INTERRUPT)
	s_mov_b32 m0, ttmp2
.LBB2_2643:                             ; =>This Inner Loop Header: Depth=1
	s_sethalt 5
	s_branch .LBB2_2643
.LBB2_2644:
	s_trap 2
	s_sendmsg_rtn_b32 s0, sendmsg(MSG_RTN_GET_DOORBELL)
	s_mov_b32 ttmp2, m0
	s_waitcnt lgkmcnt(0)
	s_and_b32 s0, s0, 0x3ff
	s_delay_alu instid0(SALU_CYCLE_1) | instskip(NEXT) | instid1(SALU_CYCLE_1)
	s_bitset1_b32 s0, 10
	s_mov_b32 m0, s0
	s_sendmsg sendmsg(MSG_INTERRUPT)
	s_mov_b32 m0, ttmp2
.LBB2_2645:                             ; =>This Inner Loop Header: Depth=1
	s_sethalt 5
	s_branch .LBB2_2645
.LBB2_2646:
	s_trap 2
	s_sendmsg_rtn_b32 s0, sendmsg(MSG_RTN_GET_DOORBELL)
	s_mov_b32 ttmp2, m0
	s_waitcnt lgkmcnt(0)
	s_and_b32 s0, s0, 0x3ff
	s_delay_alu instid0(SALU_CYCLE_1) | instskip(NEXT) | instid1(SALU_CYCLE_1)
	s_bitset1_b32 s0, 10
	s_mov_b32 m0, s0
	s_sendmsg sendmsg(MSG_INTERRUPT)
	s_mov_b32 m0, ttmp2
.LBB2_2647:                             ; =>This Inner Loop Header: Depth=1
	s_sethalt 5
	s_branch .LBB2_2647
.LBB2_2648:
	s_trap 2
	s_sendmsg_rtn_b32 s0, sendmsg(MSG_RTN_GET_DOORBELL)
	s_mov_b32 ttmp2, m0
	s_waitcnt lgkmcnt(0)
	s_and_b32 s0, s0, 0x3ff
	s_delay_alu instid0(SALU_CYCLE_1) | instskip(NEXT) | instid1(SALU_CYCLE_1)
	s_bitset1_b32 s0, 10
	s_mov_b32 m0, s0
	s_sendmsg sendmsg(MSG_INTERRUPT)
	s_mov_b32 m0, ttmp2
.LBB2_2649:                             ; =>This Inner Loop Header: Depth=1
	s_sethalt 5
	s_branch .LBB2_2649
.LBB2_2650:
	s_trap 2
	s_sendmsg_rtn_b32 s0, sendmsg(MSG_RTN_GET_DOORBELL)
	s_mov_b32 ttmp2, m0
	s_waitcnt lgkmcnt(0)
	s_and_b32 s0, s0, 0x3ff
	s_delay_alu instid0(SALU_CYCLE_1) | instskip(NEXT) | instid1(SALU_CYCLE_1)
	s_bitset1_b32 s0, 10
	s_mov_b32 m0, s0
	s_sendmsg sendmsg(MSG_INTERRUPT)
	s_mov_b32 m0, ttmp2
.LBB2_2651:                             ; =>This Inner Loop Header: Depth=1
	s_sethalt 5
	s_branch .LBB2_2651
.LBB2_2652:
	s_trap 2
	s_sendmsg_rtn_b32 s0, sendmsg(MSG_RTN_GET_DOORBELL)
	s_mov_b32 ttmp2, m0
	s_waitcnt lgkmcnt(0)
	s_and_b32 s0, s0, 0x3ff
	s_delay_alu instid0(SALU_CYCLE_1) | instskip(NEXT) | instid1(SALU_CYCLE_1)
	s_bitset1_b32 s0, 10
	s_mov_b32 m0, s0
	s_sendmsg sendmsg(MSG_INTERRUPT)
	s_mov_b32 m0, ttmp2
.LBB2_2653:                             ; =>This Inner Loop Header: Depth=1
	s_sethalt 5
	s_branch .LBB2_2653
.LBB2_2654:
	s_trap 2
	s_sendmsg_rtn_b32 s0, sendmsg(MSG_RTN_GET_DOORBELL)
	s_mov_b32 ttmp2, m0
	s_waitcnt lgkmcnt(0)
	s_and_b32 s0, s0, 0x3ff
	s_delay_alu instid0(SALU_CYCLE_1) | instskip(NEXT) | instid1(SALU_CYCLE_1)
	s_bitset1_b32 s0, 10
	s_mov_b32 m0, s0
	s_sendmsg sendmsg(MSG_INTERRUPT)
	s_mov_b32 m0, ttmp2
.LBB2_2655:                             ; =>This Inner Loop Header: Depth=1
	s_sethalt 5
	s_branch .LBB2_2655
.LBB2_2656:
	s_trap 2
	s_sendmsg_rtn_b32 s0, sendmsg(MSG_RTN_GET_DOORBELL)
	s_mov_b32 ttmp2, m0
	s_waitcnt lgkmcnt(0)
	s_and_b32 s0, s0, 0x3ff
	s_delay_alu instid0(SALU_CYCLE_1) | instskip(NEXT) | instid1(SALU_CYCLE_1)
	s_bitset1_b32 s0, 10
	s_mov_b32 m0, s0
	s_sendmsg sendmsg(MSG_INTERRUPT)
	s_mov_b32 m0, ttmp2
.LBB2_2657:                             ; =>This Inner Loop Header: Depth=1
	s_sethalt 5
	s_branch .LBB2_2657
.LBB2_2658:
	s_trap 2
	s_sendmsg_rtn_b32 s0, sendmsg(MSG_RTN_GET_DOORBELL)
	s_mov_b32 ttmp2, m0
	s_waitcnt lgkmcnt(0)
	s_and_b32 s0, s0, 0x3ff
	s_delay_alu instid0(SALU_CYCLE_1) | instskip(NEXT) | instid1(SALU_CYCLE_1)
	s_bitset1_b32 s0, 10
	s_mov_b32 m0, s0
	s_sendmsg sendmsg(MSG_INTERRUPT)
	s_mov_b32 m0, ttmp2
.LBB2_2659:                             ; =>This Inner Loop Header: Depth=1
	s_sethalt 5
	s_branch .LBB2_2659
.LBB2_2660:
	s_trap 2
	s_sendmsg_rtn_b32 s0, sendmsg(MSG_RTN_GET_DOORBELL)
	s_mov_b32 ttmp2, m0
	s_waitcnt lgkmcnt(0)
	s_and_b32 s0, s0, 0x3ff
	s_delay_alu instid0(SALU_CYCLE_1) | instskip(NEXT) | instid1(SALU_CYCLE_1)
	s_bitset1_b32 s0, 10
	s_mov_b32 m0, s0
	s_sendmsg sendmsg(MSG_INTERRUPT)
	s_mov_b32 m0, ttmp2
.LBB2_2661:                             ; =>This Inner Loop Header: Depth=1
	s_sethalt 5
	s_branch .LBB2_2661
.LBB2_2662:
	s_trap 2
	s_sendmsg_rtn_b32 s0, sendmsg(MSG_RTN_GET_DOORBELL)
	s_mov_b32 ttmp2, m0
	s_waitcnt lgkmcnt(0)
	s_and_b32 s0, s0, 0x3ff
	s_delay_alu instid0(SALU_CYCLE_1) | instskip(NEXT) | instid1(SALU_CYCLE_1)
	s_bitset1_b32 s0, 10
	s_mov_b32 m0, s0
	s_sendmsg sendmsg(MSG_INTERRUPT)
	s_mov_b32 m0, ttmp2
.LBB2_2663:                             ; =>This Inner Loop Header: Depth=1
	s_sethalt 5
	s_branch .LBB2_2663
.LBB2_2664:
	s_trap 2
	s_sendmsg_rtn_b32 s0, sendmsg(MSG_RTN_GET_DOORBELL)
	s_mov_b32 ttmp2, m0
	s_waitcnt lgkmcnt(0)
	s_and_b32 s0, s0, 0x3ff
	s_delay_alu instid0(SALU_CYCLE_1) | instskip(NEXT) | instid1(SALU_CYCLE_1)
	s_bitset1_b32 s0, 10
	s_mov_b32 m0, s0
	s_sendmsg sendmsg(MSG_INTERRUPT)
	s_mov_b32 m0, ttmp2
.LBB2_2665:                             ; =>This Inner Loop Header: Depth=1
	s_sethalt 5
	s_branch .LBB2_2665
.LBB2_2666:
	s_trap 2
	s_sendmsg_rtn_b32 s0, sendmsg(MSG_RTN_GET_DOORBELL)
	s_mov_b32 ttmp2, m0
	s_waitcnt lgkmcnt(0)
	s_and_b32 s0, s0, 0x3ff
	s_delay_alu instid0(SALU_CYCLE_1) | instskip(NEXT) | instid1(SALU_CYCLE_1)
	s_bitset1_b32 s0, 10
	s_mov_b32 m0, s0
	s_sendmsg sendmsg(MSG_INTERRUPT)
	s_mov_b32 m0, ttmp2
.LBB2_2667:                             ; =>This Inner Loop Header: Depth=1
	s_sethalt 5
	s_branch .LBB2_2667
.LBB2_2668:
	s_trap 2
	s_sendmsg_rtn_b32 s0, sendmsg(MSG_RTN_GET_DOORBELL)
	s_mov_b32 ttmp2, m0
	s_waitcnt lgkmcnt(0)
	s_and_b32 s0, s0, 0x3ff
	s_delay_alu instid0(SALU_CYCLE_1) | instskip(NEXT) | instid1(SALU_CYCLE_1)
	s_bitset1_b32 s0, 10
	s_mov_b32 m0, s0
	s_sendmsg sendmsg(MSG_INTERRUPT)
	s_mov_b32 m0, ttmp2
.LBB2_2669:                             ; =>This Inner Loop Header: Depth=1
	s_sethalt 5
	s_branch .LBB2_2669
.LBB2_2670:
	s_trap 2
	s_sendmsg_rtn_b32 s0, sendmsg(MSG_RTN_GET_DOORBELL)
	s_mov_b32 ttmp2, m0
	s_waitcnt lgkmcnt(0)
	s_and_b32 s0, s0, 0x3ff
	s_delay_alu instid0(SALU_CYCLE_1) | instskip(NEXT) | instid1(SALU_CYCLE_1)
	s_bitset1_b32 s0, 10
	s_mov_b32 m0, s0
	s_sendmsg sendmsg(MSG_INTERRUPT)
	s_mov_b32 m0, ttmp2
.LBB2_2671:                             ; =>This Inner Loop Header: Depth=1
	s_sethalt 5
	s_branch .LBB2_2671
.LBB2_2672:
	s_trap 2
	s_sendmsg_rtn_b32 s0, sendmsg(MSG_RTN_GET_DOORBELL)
	s_mov_b32 ttmp2, m0
	s_waitcnt lgkmcnt(0)
	s_and_b32 s0, s0, 0x3ff
	s_delay_alu instid0(SALU_CYCLE_1) | instskip(NEXT) | instid1(SALU_CYCLE_1)
	s_bitset1_b32 s0, 10
	s_mov_b32 m0, s0
	s_sendmsg sendmsg(MSG_INTERRUPT)
	s_mov_b32 m0, ttmp2
.LBB2_2673:                             ; =>This Inner Loop Header: Depth=1
	s_sethalt 5
	s_branch .LBB2_2673
.LBB2_2674:
	s_trap 2
	s_sendmsg_rtn_b32 s0, sendmsg(MSG_RTN_GET_DOORBELL)
	s_mov_b32 ttmp2, m0
	s_waitcnt lgkmcnt(0)
	s_and_b32 s0, s0, 0x3ff
	s_delay_alu instid0(SALU_CYCLE_1) | instskip(NEXT) | instid1(SALU_CYCLE_1)
	s_bitset1_b32 s0, 10
	s_mov_b32 m0, s0
	s_sendmsg sendmsg(MSG_INTERRUPT)
	s_mov_b32 m0, ttmp2
.LBB2_2675:                             ; =>This Inner Loop Header: Depth=1
	s_sethalt 5
	s_branch .LBB2_2675
.LBB2_2676:
	s_trap 2
	s_sendmsg_rtn_b32 s0, sendmsg(MSG_RTN_GET_DOORBELL)
	s_mov_b32 ttmp2, m0
	s_waitcnt lgkmcnt(0)
	s_and_b32 s0, s0, 0x3ff
	s_delay_alu instid0(SALU_CYCLE_1) | instskip(NEXT) | instid1(SALU_CYCLE_1)
	s_bitset1_b32 s0, 10
	s_mov_b32 m0, s0
	s_sendmsg sendmsg(MSG_INTERRUPT)
	s_mov_b32 m0, ttmp2
.LBB2_2677:                             ; =>This Inner Loop Header: Depth=1
	s_sethalt 5
	s_branch .LBB2_2677
.LBB2_2678:
	s_trap 2
	s_sendmsg_rtn_b32 s0, sendmsg(MSG_RTN_GET_DOORBELL)
	s_mov_b32 ttmp2, m0
	s_waitcnt lgkmcnt(0)
	s_and_b32 s0, s0, 0x3ff
	s_delay_alu instid0(SALU_CYCLE_1) | instskip(NEXT) | instid1(SALU_CYCLE_1)
	s_bitset1_b32 s0, 10
	s_mov_b32 m0, s0
	s_sendmsg sendmsg(MSG_INTERRUPT)
	s_mov_b32 m0, ttmp2
.LBB2_2679:                             ; =>This Inner Loop Header: Depth=1
	s_sethalt 5
	s_branch .LBB2_2679
.LBB2_2680:
	s_trap 2
	s_sendmsg_rtn_b32 s0, sendmsg(MSG_RTN_GET_DOORBELL)
	s_mov_b32 ttmp2, m0
	s_waitcnt lgkmcnt(0)
	s_and_b32 s0, s0, 0x3ff
	s_delay_alu instid0(SALU_CYCLE_1) | instskip(NEXT) | instid1(SALU_CYCLE_1)
	s_bitset1_b32 s0, 10
	s_mov_b32 m0, s0
	s_sendmsg sendmsg(MSG_INTERRUPT)
	s_mov_b32 m0, ttmp2
.LBB2_2681:                             ; =>This Inner Loop Header: Depth=1
	s_sethalt 5
	s_branch .LBB2_2681
.LBB2_2682:
	s_trap 2
	s_sendmsg_rtn_b32 s0, sendmsg(MSG_RTN_GET_DOORBELL)
	s_mov_b32 ttmp2, m0
	s_waitcnt lgkmcnt(0)
	s_and_b32 s0, s0, 0x3ff
	s_delay_alu instid0(SALU_CYCLE_1) | instskip(NEXT) | instid1(SALU_CYCLE_1)
	s_bitset1_b32 s0, 10
	s_mov_b32 m0, s0
	s_sendmsg sendmsg(MSG_INTERRUPT)
	s_mov_b32 m0, ttmp2
.LBB2_2683:                             ; =>This Inner Loop Header: Depth=1
	s_sethalt 5
	s_branch .LBB2_2683
.LBB2_2684:
	s_trap 2
	s_sendmsg_rtn_b32 s0, sendmsg(MSG_RTN_GET_DOORBELL)
	s_mov_b32 ttmp2, m0
	s_waitcnt lgkmcnt(0)
	s_and_b32 s0, s0, 0x3ff
	s_delay_alu instid0(SALU_CYCLE_1) | instskip(NEXT) | instid1(SALU_CYCLE_1)
	s_bitset1_b32 s0, 10
	s_mov_b32 m0, s0
	s_sendmsg sendmsg(MSG_INTERRUPT)
	s_mov_b32 m0, ttmp2
.LBB2_2685:                             ; =>This Inner Loop Header: Depth=1
	s_sethalt 5
	s_branch .LBB2_2685
.LBB2_2686:
	s_trap 2
	s_sendmsg_rtn_b32 s0, sendmsg(MSG_RTN_GET_DOORBELL)
	s_mov_b32 ttmp2, m0
	s_waitcnt lgkmcnt(0)
	s_and_b32 s0, s0, 0x3ff
	s_delay_alu instid0(SALU_CYCLE_1) | instskip(NEXT) | instid1(SALU_CYCLE_1)
	s_bitset1_b32 s0, 10
	s_mov_b32 m0, s0
	s_sendmsg sendmsg(MSG_INTERRUPT)
	s_mov_b32 m0, ttmp2
.LBB2_2687:                             ; =>This Inner Loop Header: Depth=1
	s_sethalt 5
	s_branch .LBB2_2687
.LBB2_2688:
	s_trap 2
	s_sendmsg_rtn_b32 s0, sendmsg(MSG_RTN_GET_DOORBELL)
	s_mov_b32 ttmp2, m0
	s_waitcnt lgkmcnt(0)
	s_and_b32 s0, s0, 0x3ff
	s_delay_alu instid0(SALU_CYCLE_1) | instskip(NEXT) | instid1(SALU_CYCLE_1)
	s_bitset1_b32 s0, 10
	s_mov_b32 m0, s0
	s_sendmsg sendmsg(MSG_INTERRUPT)
	s_mov_b32 m0, ttmp2
.LBB2_2689:                             ; =>This Inner Loop Header: Depth=1
	s_sethalt 5
	s_branch .LBB2_2689
.LBB2_2690:
	s_trap 2
	s_sendmsg_rtn_b32 s0, sendmsg(MSG_RTN_GET_DOORBELL)
	s_mov_b32 ttmp2, m0
	s_waitcnt lgkmcnt(0)
	s_and_b32 s0, s0, 0x3ff
	s_delay_alu instid0(SALU_CYCLE_1) | instskip(NEXT) | instid1(SALU_CYCLE_1)
	s_bitset1_b32 s0, 10
	s_mov_b32 m0, s0
	s_sendmsg sendmsg(MSG_INTERRUPT)
	s_mov_b32 m0, ttmp2
.LBB2_2691:                             ; =>This Inner Loop Header: Depth=1
	s_sethalt 5
	s_branch .LBB2_2691
.LBB2_2692:
	s_trap 2
	s_sendmsg_rtn_b32 s0, sendmsg(MSG_RTN_GET_DOORBELL)
	s_mov_b32 ttmp2, m0
	s_waitcnt lgkmcnt(0)
	s_and_b32 s0, s0, 0x3ff
	s_delay_alu instid0(SALU_CYCLE_1) | instskip(NEXT) | instid1(SALU_CYCLE_1)
	s_bitset1_b32 s0, 10
	s_mov_b32 m0, s0
	s_sendmsg sendmsg(MSG_INTERRUPT)
	s_mov_b32 m0, ttmp2
.LBB2_2693:                             ; =>This Inner Loop Header: Depth=1
	s_sethalt 5
	s_branch .LBB2_2693
.LBB2_2694:
	s_trap 2
	s_sendmsg_rtn_b32 s0, sendmsg(MSG_RTN_GET_DOORBELL)
	s_mov_b32 ttmp2, m0
	s_waitcnt lgkmcnt(0)
	s_and_b32 s0, s0, 0x3ff
	s_delay_alu instid0(SALU_CYCLE_1) | instskip(NEXT) | instid1(SALU_CYCLE_1)
	s_bitset1_b32 s0, 10
	s_mov_b32 m0, s0
	s_sendmsg sendmsg(MSG_INTERRUPT)
	s_mov_b32 m0, ttmp2
.LBB2_2695:                             ; =>This Inner Loop Header: Depth=1
	s_sethalt 5
	s_branch .LBB2_2695
.LBB2_2696:
	s_trap 2
	s_sendmsg_rtn_b32 s0, sendmsg(MSG_RTN_GET_DOORBELL)
	s_mov_b32 ttmp2, m0
	s_waitcnt lgkmcnt(0)
	s_and_b32 s0, s0, 0x3ff
	s_delay_alu instid0(SALU_CYCLE_1) | instskip(NEXT) | instid1(SALU_CYCLE_1)
	s_bitset1_b32 s0, 10
	s_mov_b32 m0, s0
	s_sendmsg sendmsg(MSG_INTERRUPT)
	s_mov_b32 m0, ttmp2
.LBB2_2697:                             ; =>This Inner Loop Header: Depth=1
	s_sethalt 5
	s_branch .LBB2_2697
.LBB2_2698:
	s_trap 2
	s_sendmsg_rtn_b32 s0, sendmsg(MSG_RTN_GET_DOORBELL)
	s_mov_b32 ttmp2, m0
	s_waitcnt lgkmcnt(0)
	s_and_b32 s0, s0, 0x3ff
	s_delay_alu instid0(SALU_CYCLE_1) | instskip(NEXT) | instid1(SALU_CYCLE_1)
	s_bitset1_b32 s0, 10
	s_mov_b32 m0, s0
	s_sendmsg sendmsg(MSG_INTERRUPT)
	s_mov_b32 m0, ttmp2
.LBB2_2699:                             ; =>This Inner Loop Header: Depth=1
	s_sethalt 5
	s_branch .LBB2_2699
.Lfunc_end2:
	.size	_ZN12_GLOBAL__N_17runRingI6__half10FuncMinMaxIS1_E11ProtoSimpleILi2ELi2ELi0ELi1ELi0ELi0EELi0ELi0ELi1ELi0EEEviiP15ncclDevWorkColl, .Lfunc_end2-_ZN12_GLOBAL__N_17runRingI6__half10FuncMinMaxIS1_E11ProtoSimpleILi2ELi2ELi0ELi1ELi0ELi0EELi0ELi0ELi1ELi0EEEviiP15ncclDevWorkColl
                                        ; -- End function
	.section	.AMDGPU.csdata,"",@progbits
; Function info:
; codeLenInByte = 75148
; NumSgprs: 46
; NumVgprs: 163
; ScratchSize: 80
; MemoryBound: 1
	.text
	.p2align	2                               ; -- Begin function _Z50ncclDevFunc_AllReduce_RING_SIMPLE_MinMax_f16_0_0_1v
	.type	_Z50ncclDevFunc_AllReduce_RING_SIMPLE_MinMax_f16_0_0_1v,@function
_Z50ncclDevFunc_AllReduce_RING_SIMPLE_MinMax_f16_0_0_1v: ; @_Z50ncclDevFunc_AllReduce_RING_SIMPLE_MinMax_f16_0_0_1v
; %bb.0:
	s_waitcnt vmcnt(0) expcnt(0) lgkmcnt(0)
	s_mov_b32 s0, s33
	s_mov_b32 s33, s32
	s_or_saveexec_b32 s1, -1
	scratch_store_b32 off, v40, s33 offset:8 ; 4-byte Folded Spill
	s_mov_b32 exec_lo, s1
	v_writelane_b32 v40, s0, 18
	s_add_i32 s32, s32, 16
	s_clause 0x1
	scratch_store_b32 off, v41, s33 offset:4
	; meta instruction
	scratch_store_b32 off, v42, s33
	v_writelane_b32 v40, s34, 0
	v_writelane_b32 v40, s35, 1
	;; [unrolled: 1-line block ×18, first 2 shown]
	s_cbranch_execnz .LBB3_7
; %bb.1:
	ds_load_b32 v0, v0
	v_and_b32_e32 v163, 0x3ff, v31
	s_mov_b32 s0, exec_lo
	s_waitcnt lgkmcnt(0)
	s_delay_alu instid0(VALU_DEP_1)
	v_cmpx_lt_i32_e64 v163, v0
	s_cbranch_execz .LBB3_9
; %bb.2:
	s_load_b32 s1, s[8:9], 0x0
	v_mov_b32_e32 v1, 0
	s_waitcnt lgkmcnt(0)
	s_cmp_lt_u32 s12, s1
	s_cselect_b32 s1, 12, 18
	s_delay_alu instid0(SALU_CYCLE_1)
	s_add_u32 s2, s8, s1
	s_addc_u32 s3, s9, 0
	s_mov_b32 s1, 0
	global_load_u16 v1, v1, s[2:3]
	s_cbranch_execnz .LBB3_24
; %bb.3:
	ds_load_b32 v2, v0
	v_mov_b32_e32 v3, v163
	s_mov_b32 s2, 0
                                        ; implicit-def: $vgpr4
	s_waitcnt vmcnt(0) lgkmcnt(0)
	v_mul_lo_u32 v2, v2, v1
	s_branch .LBB3_5
	.p2align	6
.LBB3_4:                                ;   in Loop: Header=BB3_5 Depth=1
	s_or_b32 exec_lo, exec_lo, s3
	v_add_nc_u32_e32 v3, v3, v1
	v_add_nc_u32_e32 v4, v4, v2
	s_delay_alu instid0(VALU_DEP_2) | instskip(SKIP_1) | instid1(SALU_CYCLE_1)
	v_cmp_ge_i32_e32 vcc_lo, v3, v0
	s_or_b32 s1, vcc_lo, s1
	s_and_not1_b32 exec_lo, exec_lo, s1
	s_cbranch_execz .LBB3_9
.LBB3_5:                                ; =>This Inner Loop Header: Depth=1
	ds_load_b32 v5, v4
	s_mov_b32 s3, exec_lo
	s_waitcnt lgkmcnt(0)
	v_and_b32_e32 v5, 0x1000000, v5
	s_delay_alu instid0(VALU_DEP_1)
	v_cmpx_ne_u32_e32 0, v5
	s_cbranch_execz .LBB3_4
; %bb.6:                                ;   in Loop: Header=BB3_5 Depth=1
	ds_load_b64 v[5:6], v4 offset:104
	s_waitcnt lgkmcnt(0)
	flat_load_u16 v5, v[5:6]
	s_waitcnt vmcnt(0) lgkmcnt(0)
	v_dual_mov_b32 v6, s2 :: v_dual_and_b32 v5, 0xffff, v5
	ds_store_b64 v4, v[5:6] offset:104
	s_branch .LBB3_4
.LBB3_7:
	s_trap 2
	s_sendmsg_rtn_b32 s0, sendmsg(MSG_RTN_GET_DOORBELL)
	s_mov_b32 ttmp2, m0
	s_waitcnt lgkmcnt(0)
	s_and_b32 s0, s0, 0x3ff
	s_delay_alu instid0(SALU_CYCLE_1) | instskip(NEXT) | instid1(SALU_CYCLE_1)
	s_bitset1_b32 s0, 10
	s_mov_b32 m0, s0
	s_sendmsg sendmsg(MSG_INTERRUPT)
	s_mov_b32 m0, ttmp2
.LBB3_8:                                ; =>This Inner Loop Header: Depth=1
	s_sethalt 5
	s_branch .LBB3_8
.LBB3_9:
	s_or_b32 exec_lo, exec_lo, s0
	s_waitcnt lgkmcnt(0)
	s_waitcnt_vscnt null, 0x0
	s_barrier
	buffer_gl0_inv
	s_cbranch_execnz .LBB3_22
; %bb.10:
	ds_load_b32 v0, v0
	s_waitcnt lgkmcnt(0)
	v_cmp_gt_i32_e32 vcc_lo, 1, v0
	s_cbranch_vccnz .LBB3_21
; %bb.11:
	s_mov_b32 s48, 0
	s_mov_b64 s[46:47], src_shared_base
.LBB3_12:                               ; =>This Inner Loop Header: Depth=1
	s_cbranch_execnz .LBB3_26
; %bb.13:                               ;   in Loop: Header=BB3_12 Depth=1
	ds_load_b32 v0, v0
	s_cmp_eq_u32 s48, 0
	s_cbranch_scc1 .LBB3_17
; %bb.14:                               ;   in Loop: Header=BB3_12 Depth=1
	s_cbranch_execnz .LBB3_30
; %bb.15:                               ;   in Loop: Header=BB3_12 Depth=1
	s_waitcnt lgkmcnt(0)
	ds_load_b32 v1, v0
	s_waitcnt lgkmcnt(0)
	v_xor_b32_e32 v1, v1, v0
	s_delay_alu instid0(VALU_DEP_1) | instskip(NEXT) | instid1(VALU_DEP_1)
	v_and_b32_e32 v1, 0xff0000, v1
	v_cmp_eq_u32_e32 vcc_lo, 0, v1
	s_cbranch_vccnz .LBB3_17
; %bb.16:                               ;   in Loop: Header=BB3_12 Depth=1
	s_waitcnt_vscnt null, 0x0
	s_barrier
	buffer_gl0_inv
	ds_load_b32 v0, v0
.LBB3_17:                               ;   in Loop: Header=BB3_12 Depth=1
	s_waitcnt lgkmcnt(0)
	v_lshrrev_b32_e32 v0, 11, v0
	s_mov_b32 s49, exec_lo
	s_delay_alu instid0(VALU_DEP_1) | instskip(NEXT) | instid1(VALU_DEP_1)
	v_and_b32_e32 v1, 0x1fe0, v0
	v_cmpx_lt_u32_e64 v163, v1
	s_cbranch_execz .LBB3_19
; %bb.18:                               ;   in Loop: Header=BB3_12 Depth=1
	v_dual_mov_b32 v164, v31 :: v_dual_mov_b32 v3, s47
	v_mov_b32_e32 v0, v163
	s_getpc_b64 s[0:1]
	s_add_u32 s0, s0, _ZN12_GLOBAL__N_17runRingI6__half10FuncMinMaxIS1_E11ProtoSimpleILi2ELi2ELi0ELi1ELi0ELi0EELi0ELi0ELi1ELi0EEEviiP15ncclDevWorkColl@rel32@lo+4
	s_addc_u32 s1, s1, _ZN12_GLOBAL__N_17runRingI6__half10FuncMinMaxIS1_E11ProtoSimpleILi2ELi2ELi0ELi1ELi0ELi0EELi0ELi0ELi1ELi0EEEviiP15ncclDevWorkColl@rel32@hi+12
	s_mov_b64 s[44:45], s[8:9]
	s_mov_b32 s46, s12
	s_swappc_b64 s[30:31], s[0:1]
	v_mov_b32_e32 v31, v164
	s_mov_b32 s12, s46
	s_mov_b64 s[8:9], s[44:45]
.LBB3_19:                               ;   in Loop: Header=BB3_12 Depth=1
	s_or_b32 exec_lo, exec_lo, s49
	s_cbranch_execnz .LBB3_28
; %bb.20:                               ;   in Loop: Header=BB3_12 Depth=1
	ds_load_b32 v0, v0
	s_add_i32 s48, s48, 1
	s_waitcnt lgkmcnt(0)
	v_cmp_lt_i32_e32 vcc_lo, s48, v0
	s_cbranch_vccnz .LBB3_12
.LBB3_21:
	s_clause 0x1
	scratch_load_b32 v42, off, s33
	scratch_load_b32 v41, off, s33 offset:4
	v_readlane_b32 s30, v40, 16
	v_readlane_b32 s31, v40, 17
	;; [unrolled: 1-line block ×19, first 2 shown]
	s_or_saveexec_b32 s1, -1
	scratch_load_b32 v40, off, s33 offset:8 ; 4-byte Folded Reload
	s_mov_b32 exec_lo, s1
	s_add_i32 s32, s32, -16
	s_mov_b32 s33, s0
	s_waitcnt vmcnt(0)
	s_setpc_b64 s[30:31]
.LBB3_22:
	s_trap 2
	s_sendmsg_rtn_b32 s0, sendmsg(MSG_RTN_GET_DOORBELL)
	s_mov_b32 ttmp2, m0
	s_waitcnt lgkmcnt(0)
	s_and_b32 s0, s0, 0x3ff
	s_delay_alu instid0(SALU_CYCLE_1) | instskip(NEXT) | instid1(SALU_CYCLE_1)
	s_bitset1_b32 s0, 10
	s_mov_b32 m0, s0
	s_sendmsg sendmsg(MSG_INTERRUPT)
	s_mov_b32 m0, ttmp2
.LBB3_23:                               ; =>This Inner Loop Header: Depth=1
	s_sethalt 5
	s_branch .LBB3_23
.LBB3_24:
	s_trap 2
	s_sendmsg_rtn_b32 s0, sendmsg(MSG_RTN_GET_DOORBELL)
	s_mov_b32 ttmp2, m0
	s_waitcnt lgkmcnt(0)
	s_and_b32 s0, s0, 0x3ff
	s_delay_alu instid0(SALU_CYCLE_1) | instskip(NEXT) | instid1(SALU_CYCLE_1)
	s_bitset1_b32 s0, 10
	s_mov_b32 m0, s0
	s_sendmsg sendmsg(MSG_INTERRUPT)
	s_mov_b32 m0, ttmp2
.LBB3_25:                               ; =>This Inner Loop Header: Depth=1
	s_sethalt 5
	s_branch .LBB3_25
.LBB3_26:
	s_trap 2
	s_sendmsg_rtn_b32 s0, sendmsg(MSG_RTN_GET_DOORBELL)
	s_mov_b32 ttmp2, m0
	s_waitcnt lgkmcnt(0)
	s_and_b32 s0, s0, 0x3ff
	s_delay_alu instid0(SALU_CYCLE_1) | instskip(NEXT) | instid1(SALU_CYCLE_1)
	s_bitset1_b32 s0, 10
	s_mov_b32 m0, s0
	s_sendmsg sendmsg(MSG_INTERRUPT)
	s_mov_b32 m0, ttmp2
.LBB3_27:                               ; =>This Inner Loop Header: Depth=1
	s_sethalt 5
	s_branch .LBB3_27
.LBB3_28:
	s_trap 2
	s_sendmsg_rtn_b32 s0, sendmsg(MSG_RTN_GET_DOORBELL)
	s_mov_b32 ttmp2, m0
	s_waitcnt lgkmcnt(0)
	s_and_b32 s0, s0, 0x3ff
	s_delay_alu instid0(SALU_CYCLE_1) | instskip(NEXT) | instid1(SALU_CYCLE_1)
	s_bitset1_b32 s0, 10
	s_mov_b32 m0, s0
	s_sendmsg sendmsg(MSG_INTERRUPT)
	s_mov_b32 m0, ttmp2
.LBB3_29:                               ; =>This Inner Loop Header: Depth=1
	s_sethalt 5
	s_branch .LBB3_29
.LBB3_30:
	s_trap 2
	s_sendmsg_rtn_b32 s0, sendmsg(MSG_RTN_GET_DOORBELL)
	s_mov_b32 ttmp2, m0
	s_waitcnt lgkmcnt(0)
	s_and_b32 s0, s0, 0x3ff
	s_delay_alu instid0(SALU_CYCLE_1) | instskip(NEXT) | instid1(SALU_CYCLE_1)
	s_bitset1_b32 s0, 10
	s_mov_b32 m0, s0
	s_sendmsg sendmsg(MSG_INTERRUPT)
	s_mov_b32 m0, ttmp2
.LBB3_31:                               ; =>This Inner Loop Header: Depth=1
	s_sethalt 5
	s_branch .LBB3_31
.Lfunc_end3:
	.size	_Z50ncclDevFunc_AllReduce_RING_SIMPLE_MinMax_f16_0_0_1v, .Lfunc_end3-_Z50ncclDevFunc_AllReduce_RING_SIMPLE_MinMax_f16_0_0_1v
                                        ; -- End function
	.section	.AMDGPU.csdata,"",@progbits
; Function info:
; codeLenInByte = 1232
; NumSgprs: 52
; NumVgprs: 165
; ScratchSize: 96
; MemoryBound: 0
	.text
	.p2align	2                               ; -- Begin function _ZN12_GLOBAL__N_17runRingI6__half10FuncMinMaxIS1_E11ProtoSimpleILi2ELi2ELi0ELi2ELi0ELi0EELi0ELi0ELi2ELi0EEEviiP15ncclDevWorkColl
	.type	_ZN12_GLOBAL__N_17runRingI6__half10FuncMinMaxIS1_E11ProtoSimpleILi2ELi2ELi0ELi2ELi0ELi0EELi0ELi0ELi2ELi0EEEviiP15ncclDevWorkColl,@function
_ZN12_GLOBAL__N_17runRingI6__half10FuncMinMaxIS1_E11ProtoSimpleILi2ELi2ELi0ELi2ELi0ELi0EELi0ELi0ELi2ELi0EEEviiP15ncclDevWorkColl: ; @_ZN12_GLOBAL__N_17runRingI6__half10FuncMinMaxIS1_E11ProtoSimpleILi2ELi2ELi0ELi2ELi0ELi0EELi0ELi0ELi2ELi0EEEviiP15ncclDevWorkColl
; %bb.0:
	s_waitcnt vmcnt(0) expcnt(0) lgkmcnt(0)
	s_mov_b32 s0, s33
	s_mov_b32 s33, s32
	s_or_saveexec_b32 s1, -1
	s_clause 0x1
	scratch_store_b32 off, v41, s33 offset:4
	; meta instruction
	scratch_store_b32 off, v42, s33 offset:8
	s_mov_b32 exec_lo, s1
	v_writelane_b32 v41, s0, 14
	s_add_i32 s32, s32, 16
	scratch_store_b32 off, v40, s33         ; 4-byte Folded Spill
	v_writelane_b32 v41, s34, 0
	v_writelane_b32 v41, s35, 1
	v_writelane_b32 v41, s36, 2
	v_writelane_b32 v41, s37, 3
	v_writelane_b32 v41, s38, 4
	v_writelane_b32 v41, s39, 5
	v_writelane_b32 v41, s40, 6
	v_writelane_b32 v41, s41, 7
	v_writelane_b32 v41, s42, 8
	v_writelane_b32 v41, s43, 9
	v_writelane_b32 v41, s44, 10
	v_writelane_b32 v41, s45, 11
	v_writelane_b32 v41, s30, 12
	v_writelane_b32 v41, s31, 13
	s_cbranch_execnz .LBB4_2588
; %bb.1:
	flat_load_b32 v7, v[2:3]
	ds_load_b32 v6, v0
	s_mov_b32 s0, exec_lo
                                        ; implicit-def: $vgpr14_vgpr15
                                        ; implicit-def: $vgpr24_vgpr25
                                        ; implicit-def: $vgpr4_vgpr5
	s_waitcnt lgkmcnt(0)
	v_readfirstlane_b32 s19, v6
	s_waitcnt vmcnt(0)
	v_and_b32_e32 v8, 0xff, v7
	s_delay_alu instid0(VALU_DEP_1)
	v_cmpx_ne_u32_e64 v8, v6
	s_xor_b32 s0, exec_lo, s0
	s_cbranch_execnz .LBB4_2590
; %bb.2:
	s_and_not1_saveexec_b32 s0, s0
	s_cbranch_execnz .LBB4_2595
.LBB4_3:
	s_or_b32 exec_lo, exec_lo, s0
	s_cbranch_execnz .LBB4_2596
.LBB4_4:
	ds_load_b64 v[6:7], v0
	s_mov_b32 s1, exec_lo
	s_waitcnt lgkmcnt(0)
	v_cmp_ne_u32_e32 vcc_lo, -1, v6
	v_cndmask_b32_e64 v17, 0, 1, vcc_lo
	v_cmp_ne_u32_e32 vcc_lo, -1, v7
	s_delay_alu instid0(VALU_DEP_2) | instskip(NEXT) | instid1(VALU_DEP_1)
	v_add_co_ci_u32_e64 v8, s0, 0, v17, vcc_lo
	v_lshlrev_b32_e32 v6, 1, v8
	s_delay_alu instid0(VALU_DEP_1)
	v_cmpx_le_i32_e64 v6, v1
	s_xor_b32 s18, exec_lo, s1
	s_cbranch_execz .LBB4_2841
; %bb.5:
	s_clause 0x3
	flat_load_b64 v[15:16], v[2:3] offset:104
	flat_load_b128 v[10:13], v[2:3] offset:16
	flat_load_u16 v7, v[2:3] offset:8
	flat_load_b32 v6, v[2:3] offset:4
	s_cbranch_execnz .LBB4_2598
; %bb.6:
	s_load_b32 s0, s[8:9], 0x0
	v_dual_mov_b32 v9, 0 :: v_dual_mov_b32 v30, 4
	s_waitcnt lgkmcnt(0)
	s_cmp_lt_u32 s12, s0
	s_cselect_b32 s0, 12, 18
	s_delay_alu instid0(SALU_CYCLE_1)
	s_add_u32 s0, s8, s0
	s_addc_u32 s1, s9, 0
	global_load_u16 v18, v9, s[0:1]
	ds_load_b32 v9, v0
	s_mov_b32 s1, exec_lo
	s_waitcnt lgkmcnt(0)
	v_readfirstlane_b32 s2, v9
	v_cmpx_ge_i32_e64 v0, v17
	s_cbranch_execz .LBB4_16
; %bb.7:
	v_cmp_le_u32_e64 s0, v8, v0
                                        ; implicit-def: $vgpr30
	s_delay_alu instid0(VALU_DEP_1) | instskip(NEXT) | instid1(SALU_CYCLE_1)
	s_and_saveexec_b32 s3, s0
	s_xor_b32 s0, exec_lo, s3
	s_cbranch_execz .LBB4_13
; %bb.8:
	v_cndmask_b32_e64 v9, 0, 1, vcc_lo
	s_mov_b32 s3, exec_lo
                                        ; implicit-def: $sgpr4
	s_delay_alu instid0(VALU_DEP_1) | instskip(NEXT) | instid1(VALU_DEP_1)
	v_sub_nc_u32_e32 v9, v1, v9
	v_cmpx_ge_u32_e64 v0, v9
	s_xor_b32 s3, exec_lo, s3
; %bb.9:
	s_mov_b32 s4, 16
                                        ; implicit-def: $vgpr8
; %bb.10:
	s_or_saveexec_b32 s3, s3
	v_mov_b32_e32 v30, s4
	s_xor_b32 exec_lo, exec_lo, s3
; %bb.11:
	v_sub_nc_u32_e32 v8, v1, v8
	s_delay_alu instid0(VALU_DEP_1) | instskip(SKIP_1) | instid1(VALU_DEP_1)
	v_cmp_ge_i32_e32 vcc_lo, v0, v8
	v_cndmask_b32_e64 v8, 0, 1, vcc_lo
	v_lshlrev_b32_e32 v30, 5, v8
; %bb.12:
	s_or_b32 exec_lo, exec_lo, s3
.LBB4_13:
	s_and_not1_saveexec_b32 s0, s0
; %bb.14:
	v_mov_b32_e32 v30, 8
; %bb.15:
	s_or_b32 exec_lo, exec_lo, s0
.LBB4_16:
	s_delay_alu instid0(SALU_CYCLE_1) | instskip(NEXT) | instid1(VALU_DEP_1)
	s_or_b32 exec_lo, exec_lo, s1
	v_and_b32_e32 v8, 36, v30
	s_delay_alu instid0(VALU_DEP_1)
	v_cmp_ne_u32_e32 vcc_lo, 0, v8
	v_mov_b32_e32 v8, -1
	s_and_saveexec_b32 s0, vcc_lo
	s_cbranch_execz .LBB4_19
; %bb.17:
	s_cbranch_execnz .LBB4_2600
; %bb.18:
	ds_load_b32 v8, v0
.LBB4_19:
	s_or_b32 exec_lo, exec_lo, s0
	v_and_b32_e32 v9, 24, v30
	s_mov_b32 s1, exec_lo
	s_delay_alu instid0(VALU_DEP_1)
	v_cmpx_ne_u32_e32 0, v9
	s_cbranch_execz .LBB4_22
; %bb.20:
	s_cbranch_execnz .LBB4_2602
; %bb.21:
	s_waitcnt lgkmcnt(0)
	ds_load_b32 v8, v0
.LBB4_22:
	s_or_b32 exec_lo, exec_lo, s1
	s_waitcnt vmcnt(1)
	v_lshrrev_b64 v[6:7], 31, v[6:7]
	v_mov_b32_e32 v28, 0
	v_mov_b32_e32 v29, 0
                                        ; implicit-def: $vgpr26_vgpr27
                                        ; implicit-def: $vgpr101
                                        ; implicit-def: $vgpr34_vgpr35
                                        ; implicit-def: $vgpr36_vgpr37
                                        ; implicit-def: $vgpr50_vgpr51
                                        ; implicit-def: $vgpr32_vgpr33
	s_delay_alu instid0(VALU_DEP_2) | instskip(NEXT) | instid1(VALU_DEP_2)
	v_dual_mov_b32 v6, v28 :: v_dual_and_b32 v19, 3, v6
	v_mov_b32_e32 v7, v29
	s_and_saveexec_b32 s0, vcc_lo
	s_cbranch_execz .LBB4_35
; %bb.23:
	s_cbranch_execnz .LBB4_2604
; %bb.24:
	ds_load_b64 v[6:7], v0
	s_waitcnt lgkmcnt(1)
	v_ashrrev_i32_e32 v9, 31, v8
	s_mov_b32 s1, exec_lo
                                        ; implicit-def: $vgpr26_vgpr27
	s_delay_alu instid0(VALU_DEP_1) | instskip(SKIP_2) | instid1(VALU_DEP_2)
	v_lshlrev_b64 v[20:21], 3, v[8:9]
	v_and_b32_e32 v9, 0xffff, v19
	s_waitcnt lgkmcnt(0)
	v_add_co_u32 v6, vcc_lo, v6, v20
	s_delay_alu instid0(VALU_DEP_3)
	v_add_co_ci_u32_e32 v7, vcc_lo, v7, v21, vcc_lo
	flat_load_b64 v[6:7], v[6:7]
	s_waitcnt vmcnt(0) lgkmcnt(0)
	v_mad_u64_u32 v[20:21], null, 0xa8, v9, v[6:7]
	flat_load_b32 v6, v[20:21] offset:640
	v_add_co_u32 v28, vcc_lo, 0x1f8, v20
	v_add_co_ci_u32_e32 v29, vcc_lo, 0, v21, vcc_lo
	s_waitcnt vmcnt(0) lgkmcnt(0)
	v_cmpx_eq_u32_e32 1, v6
	s_cbranch_execz .LBB4_27
; %bb.25:
	flat_load_b64 v[26:27], v[28:29] offset:144
	s_waitcnt vmcnt(0) lgkmcnt(0)
	flat_load_b64 v[6:7], v[26:27]
	s_cbranch_execnz .LBB4_2612
; %bb.26:
	s_waitcnt vmcnt(0) lgkmcnt(0)
	ds_store_b64 v0, v[6:7]
	flat_load_b64 v[6:7], v[26:27] offset:8
	v_or_b32_e32 v30, 0x2000, v30
	s_waitcnt vmcnt(0) lgkmcnt(0)
	ds_store_b64 v0, v[6:7]
	flat_load_b64 v[6:7], v[26:27] offset:16
	s_waitcnt vmcnt(0) lgkmcnt(0)
	ds_store_b64 v0, v[6:7]
.LBB4_27:
	s_or_b32 exec_lo, exec_lo, s1
	flat_load_b64 v[6:7], v[28:29] offset:104
	v_and_b32_e32 v9, 32, v30
	s_mov_b32 s1, exec_lo
                                        ; implicit-def: $vgpr32_vgpr33
	s_waitcnt vmcnt(0) lgkmcnt(0)
	v_add_co_u32 v6, vcc_lo, v6, 3
	v_add_co_ci_u32_e32 v35, vcc_lo, 0, v7, vcc_lo
	s_delay_alu instid0(VALU_DEP_2)
	v_and_b32_e32 v34, -4, v6
	v_cmpx_ne_u32_e32 0, v9
	s_cbranch_execz .LBB4_29
; %bb.28:
	flat_load_b64 v[32:33], v[28:29] offset:56
	s_waitcnt vmcnt(0) lgkmcnt(0)
	s_waitcnt_vscnt null, 0x0
	flat_store_b64 v[32:33], v[34:35]
.LBB4_29:
	s_or_b32 exec_lo, exec_lo, s1
	v_dual_mov_b32 v6, 0 :: v_dual_and_b32 v9, 4, v30
	v_mov_b32_e32 v7, 0
	s_mov_b32 s1, exec_lo
                                        ; implicit-def: $vgpr101
                                        ; implicit-def: $vgpr36_vgpr37
                                        ; implicit-def: $vgpr50_vgpr51
	s_delay_alu instid0(VALU_DEP_2)
	v_cmpx_ne_u32_e32 0, v9
	s_cbranch_execz .LBB4_34
; %bb.30:
	v_and_b32_e32 v6, 0x800, v30
	s_mov_b32 s3, exec_lo
	s_delay_alu instid0(VALU_DEP_1)
	v_cmpx_eq_u32_e32 0, v6
	s_cbranch_execz .LBB4_33
; %bb.31:
	s_cbranch_execnz .LBB4_2614
; %bb.32:
	ds_store_b64 v0, v[28:29]
.LBB4_33:
	s_or_b32 exec_lo, exec_lo, s3
	flat_load_b64 v[32:33], v[28:29] offset:48
	v_or_b32_e32 v20, 0x100, v30
	s_waitcnt vmcnt(0) lgkmcnt(0)
	flat_load_b64 v[50:51], v[32:33] glc
	s_clause 0x2
	flat_load_b32 v9, v[28:29] offset:72
	flat_load_b64 v[6:7], v[28:29] offset:96
	flat_load_b64 v[36:37], v[28:29] offset:16
	s_waitcnt vmcnt(2) lgkmcnt(2)
	v_ashrrev_i32_e32 v101, 1, v9
	s_waitcnt vmcnt(1) lgkmcnt(1)
	v_cmp_eq_u64_e32 vcc_lo, 0, v[6:7]
	v_cndmask_b32_e32 v30, v20, v30, vcc_lo
.LBB4_34:
	s_or_b32 exec_lo, exec_lo, s1
.LBB4_35:
	s_delay_alu instid0(SALU_CYCLE_1) | instskip(NEXT) | instid1(VALU_DEP_1)
	s_or_b32 exec_lo, exec_lo, s0
	v_and_b32_e32 v9, 24, v30
	s_mov_b32 s0, exec_lo
                                        ; implicit-def: $vgpr38_vgpr39
	s_delay_alu instid0(VALU_DEP_1)
	v_cmpx_ne_u32_e32 0, v9
	s_cbranch_execz .LBB4_45
; %bb.36:
	s_cbranch_execnz .LBB4_2606
; %bb.37:
	ds_load_b64 v[6:7], v0
	s_waitcnt lgkmcnt(1)
	v_ashrrev_i32_e32 v9, 31, v8
	s_mov_b32 s1, exec_lo
                                        ; implicit-def: $vgpr38_vgpr39
	s_delay_alu instid0(VALU_DEP_1) | instskip(SKIP_1) | instid1(VALU_DEP_1)
	v_lshlrev_b64 v[8:9], 3, v[8:9]
	s_waitcnt lgkmcnt(0)
	v_add_co_u32 v6, vcc_lo, v6, v8
	s_delay_alu instid0(VALU_DEP_2)
	v_add_co_ci_u32_e32 v7, vcc_lo, v7, v9, vcc_lo
	v_and_b32_e32 v8, 0xffff, v19
	v_or_b32_e32 v19, 0x100, v30
	flat_load_b64 v[6:7], v[6:7]
	s_waitcnt vmcnt(0) lgkmcnt(0)
	v_mad_u64_u32 v[28:29], null, 0xa8, v8, v[6:7]
	flat_load_b128 v[6:9], v[28:29] offset:96
	s_waitcnt vmcnt(0) lgkmcnt(0)
	v_cmp_eq_u64_e32 vcc_lo, 0, v[6:7]
	v_cndmask_b32_e32 v30, v19, v30, vcc_lo
	s_delay_alu instid0(VALU_DEP_1) | instskip(NEXT) | instid1(VALU_DEP_1)
	v_and_b32_e32 v19, 16, v30
	v_cmpx_ne_u32_e32 0, v19
; %bb.38:
	s_clause 0x2
	flat_load_b64 v[38:39], v[28:29] offset:120
	flat_load_b64 v[32:33], v[28:29] offset:48
	;; [unrolled: 1-line block ×3, first 2 shown]
; %bb.39:
	s_or_b32 exec_lo, exec_lo, s1
	v_and_b32_e32 v19, 8, v30
	s_mov_b32 s1, exec_lo
	s_delay_alu instid0(VALU_DEP_1)
	v_cmpx_ne_u32_e32 0, v19
	s_cbranch_execz .LBB4_44
; %bb.40:
	v_and_b32_e32 v19, 0x800, v30
	s_mov_b32 s3, exec_lo
	s_delay_alu instid0(VALU_DEP_1)
	v_cmpx_eq_u32_e32 0, v19
	s_cbranch_execz .LBB4_43
; %bb.41:
	s_cbranch_execnz .LBB4_2616
; %bb.42:
	ds_store_b64 v0, v[28:29]
.LBB4_43:
	s_or_b32 exec_lo, exec_lo, s3
	s_waitcnt vmcnt(1) lgkmcnt(1)
	flat_load_b64 v[32:33], v[28:29] offset:56
	s_waitcnt vmcnt(0) lgkmcnt(0)
	flat_load_b64 v[50:51], v[32:33] glc
	s_clause 0x1
	flat_load_b32 v19, v[28:29] offset:72
	flat_load_b64 v[36:37], v[28:29] offset:16
	s_waitcnt vmcnt(1) lgkmcnt(1)
	v_ashrrev_i32_e32 v101, 1, v19
.LBB4_44:
	s_or_b32 exec_lo, exec_lo, s1
	v_add_co_u32 v8, vcc_lo, v8, 3
	v_add_co_ci_u32_e32 v35, vcc_lo, 0, v9, vcc_lo
	s_delay_alu instid0(VALU_DEP_2)
	v_and_b32_e32 v34, -4, v8
.LBB4_45:
	s_or_b32 exec_lo, exec_lo, s0
	v_cmp_eq_u32_e64 s0, 0, v0
	s_delay_alu instid0(VALU_DEP_1)
	s_and_saveexec_b32 s1, s0
	s_cbranch_execz .LBB4_48
; %bb.46:
	s_waitcnt lgkmcnt(0)
	flat_load_b64 v[8:9], v[2:3] offset:32
	ds_store_2addr_b64 v0, v[12:13], v[10:11] offset1:1
	s_cbranch_execnz .LBB4_2608
; %bb.47:
	s_waitcnt vmcnt(0) lgkmcnt(1)
	ds_store_b64 v0, v[8:9]
	ds_store_b64 v0, v[15:16]
.LBB4_48:
	s_or_b32 exec_lo, exec_lo, s1
	v_mov_b32_e32 v48, 0
	s_waitcnt vmcnt(0)
	v_dual_mov_b32 v49, 0 :: v_dual_and_b32 v100, 0xffff, v18
	s_mov_b32 s20, exec_lo
	v_cmpx_lt_i64_e32 0, v[4:5]
	s_cbranch_execz .LBB4_2582
; %bb.49:
	s_waitcnt lgkmcnt(0)
	flat_load_b32 v8, v[2:3] offset:4
	v_dual_mov_b32 v3, 0 :: v_dual_and_b32 v2, 31, v31
	s_ashr_i32 s21, s19, 31
	s_add_u32 s22, s19, -1
	s_addc_u32 s23, s21, -1
	s_not_b32 s3, s19
	v_cmp_ge_i32_e32 vcc_lo, v0, v1
	v_cmp_eq_u32_e64 s1, 0, v2
	s_cmp_gt_i32 s19, 0
	s_mov_b32 s24, 0
	s_cselect_b32 s26, s3, -1
	s_cbranch_execnz .LBB4_2610
; %bb.50:
	v_ashrrev_i32_e32 v9, 31, v0
	v_and_b32_e32 v2, 0x1fffff00, v14
	v_lshrrev_b32_e32 v113, 5, v1
	s_ashr_i32 s3, s2, 31
	s_waitcnt vmcnt(0) lgkmcnt(0)
	v_and_b32_e32 v8, 1, v8
	v_lshrrev_b32_e32 v9, 27, v9
	s_lshr_b32 s3, s3, 29
	s_add_i32 s25, s19, s19
	s_add_i32 s2, s2, s3
	;; [unrolled: 1-line block ×3, first 2 shown]
	v_dual_mov_b32 v54, 0 :: v_dual_add_nc_u32 v9, v0, v9
	v_mov_b32_e32 v55, 0
	v_lshlrev_b32_e32 v115, 9, v113
	v_lshlrev_b32_e32 v118, 6, v113
	s_delay_alu instid0(VALU_DEP_4) | instskip(SKIP_1) | instid1(VALU_DEP_4)
	v_dual_mov_b32 v65, v3 :: v_dual_and_b32 v10, 0xffffffe0, v9
	v_ashrrev_i32_e32 v103, 5, v9
	v_dual_mov_b32 v64, v2 :: v_dual_add_nc_u32 v117, 0xfffffe00, v115
	v_mov_b32_e32 v48, v54
	s_delay_alu instid0(VALU_DEP_4) | instskip(NEXT) | instid1(VALU_DEP_4)
	v_sub_nc_u32_e32 v112, v0, v10
	v_dual_mov_b32 v148, 1 :: v_dual_lshlrev_b32 v9, 11, v103
	v_mov_b32_e32 v49, v55
	v_subrev_nc_u32_e32 v130, 64, v118
	v_ashrrev_i32_e32 v129, 31, v117
	s_delay_alu instid0(VALU_DEP_4)
	v_lshl_add_u32 v114, v112, 4, v9
	v_lshl_add_u32 v9, v113, 11, 0xfffff800
	s_ashr_i32 s3, s2, 31
	v_ashrrev_i32_e32 v133, 31, v130
	s_ashr_i32 s2, s2, 4
	s_lshr_b32 s3, s3, 28
	v_ashrrev_i32_e32 v10, 31, v9
	v_add_co_u32 v119, s7, 0x800, v9
	s_add_i32 s2, s2, s3
	s_ashr_i32 s27, s26, 31
	s_delay_alu instid0(VALU_DEP_2) | instskip(SKIP_1) | instid1(VALU_DEP_1)
	v_add_co_ci_u32_e64 v128, s7, 0, v10, s7
	v_add_co_u32 v131, s7, 0x200, v117
	v_add_co_ci_u32_e64 v132, s7, 0, v129, s7
	v_add_co_u32 v134, s7, v130, 64
	s_delay_alu instid0(VALU_DEP_1)
	v_add_co_ci_u32_e64 v135, s7, 0, v133, s7
	v_cmp_eq_u32_e64 s7, 1, v8
	v_lshlrev_b32_e32 v8, 10, v103
	s_ashr_i32 s28, s2, 4
	s_cmp_gt_i32 s19, 2
	v_mad_i64_i32 v[52:53], null, v2, s19, 0
	s_delay_alu instid0(VALU_DEP_2)
	v_sub_nc_u32_e32 v144, v114, v8
	v_lshl_add_u32 v8, v113, 10, 0xfffffc00
	s_cselect_b32 s29, -1, 0
	s_add_i32 s13, s19, 1
	s_xor_b32 vcc_hi, s7, -1
	s_cmp_le_i32 s19, s13
	v_ashrrev_i32_e32 v9, 31, v8
	s_cselect_b32 s14, s19, 0
	v_cmp_eq_u64_e64 s10, 0, v[38:39]
	s_sub_i32 s14, s13, s14
	v_add_co_u32 v146, s13, 0x400, v8
	v_cmp_ne_u64_e64 s11, 0, v[38:39]
	v_ashrrev_i32_e32 v102, 31, v101
	v_cmp_eq_u32_e64 s2, 32, v1
	v_cmp_ne_u32_e64 s3, 32, v1
	v_cmp_ne_u32_e64 s4, v100, v1
	v_cmp_gt_i32_e64 s5, 1, v112
	v_cmp_lt_i32_e64 s6, v112, v17
	v_ashrrev_i32_e32 v116, 31, v114
	v_cmp_le_i32_e64 s12, v112, v17
	v_ashrrev_i32_e32 v145, 31, v144
	v_add_co_ci_u32_e64 v147, s13, 0, v9, s13
	s_ashr_i32 s31, s14, 31
	s_add_i32 s34, s19, -2
	s_xor_b32 s16, vcc_lo, -1
	s_sub_i32 s35, 0, s19
.LBB4_51:                               ; =>This Loop Header: Depth=1
                                        ;     Child Loop BB4_59 Depth 2
                                        ;       Child Loop BB4_68 Depth 3
                                        ;       Child Loop BB4_97 Depth 3
                                        ;       Child Loop BB4_120 Depth 3
                                        ;       Child Loop BB4_144 Depth 3
                                        ;       Child Loop BB4_150 Depth 3
                                        ;       Child Loop BB4_160 Depth 3
                                        ;       Child Loop BB4_166 Depth 3
                                        ;       Child Loop BB4_178 Depth 3
                                        ;       Child Loop BB4_204 Depth 3
                                        ;     Child Loop BB4_225 Depth 2
                                        ;       Child Loop BB4_231 Depth 3
                                        ;       Child Loop BB4_260 Depth 3
	;; [unrolled: 1-line block ×3, first 2 shown]
                                        ;     Child Loop BB4_308 Depth 2
                                        ;       Child Loop BB4_310 Depth 3
                                        ;         Child Loop BB4_319 Depth 4
                                        ;         Child Loop BB4_349 Depth 4
                                        ;         Child Loop BB4_372 Depth 4
                                        ;         Child Loop BB4_400 Depth 4
                                        ;         Child Loop BB4_598 Depth 4
                                        ;         Child Loop BB4_704 Depth 4
                                        ;         Child Loop BB4_806 Depth 4
                                        ;         Child Loop BB4_827 Depth 4
                                        ;         Child Loop BB4_853 Depth 4
                                        ;       Child Loop BB4_874 Depth 3
                                        ;         Child Loop BB4_880 Depth 4
                                        ;         Child Loop BB4_912 Depth 4
	;; [unrolled: 1-line block ×3, first 2 shown]
                                        ;     Child Loop BB4_961 Depth 2
                                        ;       Child Loop BB4_970 Depth 3
                                        ;       Child Loop BB4_1000 Depth 3
	;; [unrolled: 1-line block ×5, first 2 shown]
                                        ;         Child Loop BB4_1343 Depth 4
                                        ;       Child Loop BB4_1357 Depth 3
                                        ;       Child Loop BB4_1456 Depth 3
                                        ;         Child Loop BB4_1469 Depth 4
                                        ;       Child Loop BB4_1486 Depth 3
                                        ;       Child Loop BB4_1684 Depth 3
	;; [unrolled: 1-line block ×6, first 2 shown]
                                        ;     Child Loop BB4_1960 Depth 2
                                        ;       Child Loop BB4_1966 Depth 3
                                        ;       Child Loop BB4_1996 Depth 3
	;; [unrolled: 1-line block ×3, first 2 shown]
                                        ;     Child Loop BB4_2044 Depth 2
                                        ;       Child Loop BB4_2046 Depth 3
                                        ;         Child Loop BB4_2055 Depth 4
                                        ;         Child Loop BB4_2085 Depth 4
	;; [unrolled: 1-line block ×5, first 2 shown]
                                        ;           Child Loop BB4_2140 Depth 5
                                        ;         Child Loop BB4_2151 Depth 4
                                        ;         Child Loop BB4_2157 Depth 4
                                        ;           Child Loop BB4_2158 Depth 5
                                        ;         Child Loop BB4_2172 Depth 4
                                        ;         Child Loop BB4_2178 Depth 4
	;; [unrolled: 1-line block ×6, first 2 shown]
                                        ;       Child Loop BB4_2253 Depth 3
                                        ;         Child Loop BB4_2259 Depth 4
                                        ;         Child Loop BB4_2291 Depth 4
	;; [unrolled: 1-line block ×3, first 2 shown]
                                        ;     Child Loop BB4_2341 Depth 2
                                        ;       Child Loop BB4_2350 Depth 3
                                        ;       Child Loop BB4_2377 Depth 3
                                        ;       Child Loop BB4_2400 Depth 3
                                        ;       Child Loop BB4_2424 Depth 3
                                        ;       Child Loop BB4_2430 Depth 3
                                        ;       Child Loop BB4_2440 Depth 3
                                        ;       Child Loop BB4_2446 Depth 3
                                        ;       Child Loop BB4_2458 Depth 3
                                        ;       Child Loop BB4_2484 Depth 3
                                        ;     Child Loop BB4_2503 Depth 2
                                        ;       Child Loop BB4_2509 Depth 3
                                        ;       Child Loop BB4_2536 Depth 3
	;; [unrolled: 1-line block ×3, first 2 shown]
	v_sub_co_u32 v66, vcc_lo, v4, v54
	v_sub_co_ci_u32_e32 v67, vcc_lo, v5, v55, vcc_lo
	s_mov_b32 s30, exec_lo
	s_delay_alu instid0(VALU_DEP_1)
	v_cmpx_lt_i64_e64 v[66:67], v[52:53]
	s_cbranch_execz .LBB4_57
; %bb.52:                               ;   in Loop: Header=BB4_51 Depth=1
	v_add_co_u32 v2, vcc_lo, s22, v66
	v_add_co_ci_u32_e32 v10, vcc_lo, s23, v67, vcc_lo
	v_mov_b32_e32 v8, v3
	s_delay_alu instid0(VALU_DEP_2) | instskip(NEXT) | instid1(VALU_DEP_1)
	v_or_b32_e32 v9, s21, v10
	v_cmp_ne_u64_e32 vcc_lo, 0, v[8:9]
                                        ; implicit-def: $vgpr8_vgpr9
	s_and_saveexec_b32 s13, vcc_lo
	s_delay_alu instid0(SALU_CYCLE_1)
	s_xor_b32 s36, exec_lo, s13
	s_cbranch_execz .LBB4_54
; %bb.53:                               ;   in Loop: Header=BB4_51 Depth=1
	s_mov_b32 s38, s16
	s_add_u32 s16, s19, s21
	s_mov_b32 s37, s14
	s_mov_b32 s14, s21
	;; [unrolled: 1-line block ×3, first 2 shown]
	s_addc_u32 s17, s21, s21
	s_delay_alu instid0(SALU_CYCLE_1) | instskip(NEXT) | instid1(SALU_CYCLE_1)
	s_xor_b64 s[16:17], s[16:17], s[14:15]
	v_cvt_f32_u32_e32 v8, s16
	v_cvt_f32_u32_e32 v9, s17
	s_sub_u32 s13, 0, s16
	s_subb_u32 s39, 0, s17
	s_delay_alu instid0(VALU_DEP_1) | instskip(NEXT) | instid1(VALU_DEP_1)
	v_fmac_f32_e32 v8, 0x4f800000, v9
	v_rcp_f32_e32 v8, v8
	s_waitcnt_depctr 0xfff
	v_mul_f32_e32 v8, 0x5f7ffffc, v8
	s_delay_alu instid0(VALU_DEP_1) | instskip(NEXT) | instid1(VALU_DEP_1)
	v_mul_f32_e32 v9, 0x2f800000, v8
	v_trunc_f32_e32 v9, v9
	s_delay_alu instid0(VALU_DEP_1) | instskip(SKIP_1) | instid1(VALU_DEP_2)
	v_fmac_f32_e32 v8, 0xcf800000, v9
	v_cvt_u32_f32_e32 v9, v9
	v_cvt_u32_f32_e32 v8, v8
	s_delay_alu instid0(VALU_DEP_2) | instskip(NEXT) | instid1(VALU_DEP_2)
	v_mul_lo_u32 v11, s13, v9
	v_mul_hi_u32 v12, s13, v8
	v_mul_lo_u32 v13, s39, v8
	s_delay_alu instid0(VALU_DEP_2) | instskip(SKIP_1) | instid1(VALU_DEP_2)
	v_add_nc_u32_e32 v11, v12, v11
	v_mul_lo_u32 v12, s13, v8
	v_add_nc_u32_e32 v11, v11, v13
	s_delay_alu instid0(VALU_DEP_2) | instskip(NEXT) | instid1(VALU_DEP_2)
	v_mul_hi_u32 v13, v8, v12
	v_mul_lo_u32 v14, v8, v11
	v_mul_hi_u32 v15, v8, v11
	v_mul_hi_u32 v16, v9, v12
	v_mul_lo_u32 v12, v9, v12
	v_mul_hi_u32 v17, v9, v11
	v_mul_lo_u32 v11, v9, v11
	v_add_co_u32 v13, vcc_lo, v13, v14
	v_add_co_ci_u32_e32 v14, vcc_lo, 0, v15, vcc_lo
	s_delay_alu instid0(VALU_DEP_2) | instskip(NEXT) | instid1(VALU_DEP_2)
	v_add_co_u32 v12, vcc_lo, v13, v12
	v_add_co_ci_u32_e32 v12, vcc_lo, v14, v16, vcc_lo
	v_add_co_ci_u32_e32 v13, vcc_lo, 0, v17, vcc_lo
	v_ashrrev_i32_e32 v16, 31, v10
	s_delay_alu instid0(VALU_DEP_3) | instskip(NEXT) | instid1(VALU_DEP_3)
	v_add_co_u32 v11, vcc_lo, v12, v11
	v_add_co_ci_u32_e32 v12, vcc_lo, 0, v13, vcc_lo
	s_delay_alu instid0(VALU_DEP_2) | instskip(NEXT) | instid1(VALU_DEP_2)
	v_add_co_u32 v8, vcc_lo, v8, v11
	v_add_co_ci_u32_e32 v9, vcc_lo, v9, v12, vcc_lo
	s_delay_alu instid0(VALU_DEP_2) | instskip(SKIP_1) | instid1(VALU_DEP_3)
	v_mul_hi_u32 v11, s13, v8
	v_mul_lo_u32 v13, s39, v8
	v_mul_lo_u32 v12, s13, v9
	s_delay_alu instid0(VALU_DEP_1) | instskip(SKIP_1) | instid1(VALU_DEP_2)
	v_add_nc_u32_e32 v11, v11, v12
	v_mul_lo_u32 v12, s13, v8
	v_add_nc_u32_e32 v11, v11, v13
	s_delay_alu instid0(VALU_DEP_2) | instskip(NEXT) | instid1(VALU_DEP_2)
	v_mul_hi_u32 v13, v8, v12
	v_mul_lo_u32 v14, v8, v11
	v_mul_hi_u32 v15, v8, v11
	v_mul_hi_u32 v17, v9, v12
	v_mul_lo_u32 v12, v9, v12
	v_mul_hi_u32 v18, v9, v11
	v_mul_lo_u32 v11, v9, v11
	v_add_co_u32 v13, vcc_lo, v13, v14
	v_add_co_ci_u32_e32 v14, vcc_lo, 0, v15, vcc_lo
	s_delay_alu instid0(VALU_DEP_2) | instskip(NEXT) | instid1(VALU_DEP_2)
	v_add_co_u32 v12, vcc_lo, v13, v12
	v_add_co_ci_u32_e32 v12, vcc_lo, v14, v17, vcc_lo
	v_add_co_ci_u32_e32 v13, vcc_lo, 0, v18, vcc_lo
	v_add_co_u32 v2, vcc_lo, v2, v16
	v_add_co_ci_u32_e32 v10, vcc_lo, v10, v16, vcc_lo
	s_delay_alu instid0(VALU_DEP_4) | instskip(NEXT) | instid1(VALU_DEP_4)
	v_add_co_u32 v11, vcc_lo, v12, v11
	v_add_co_ci_u32_e32 v12, vcc_lo, 0, v13, vcc_lo
	s_delay_alu instid0(VALU_DEP_4) | instskip(NEXT) | instid1(VALU_DEP_3)
	v_xor_b32_e32 v2, v2, v16
	v_add_co_u32 v13, vcc_lo, v8, v11
	s_delay_alu instid0(VALU_DEP_3) | instskip(SKIP_1) | instid1(VALU_DEP_3)
	v_add_co_ci_u32_e32 v14, vcc_lo, v9, v12, vcc_lo
	v_xor_b32_e32 v15, v10, v16
	v_mul_hi_u32 v17, v2, v13
	s_delay_alu instid0(VALU_DEP_3) | instskip(NEXT) | instid1(VALU_DEP_3)
	v_mad_u64_u32 v[8:9], null, v2, v14, 0
	v_mad_u64_u32 v[10:11], null, v15, v13, 0
	v_mad_u64_u32 v[12:13], null, v15, v14, 0
	s_delay_alu instid0(VALU_DEP_3) | instskip(NEXT) | instid1(VALU_DEP_4)
	v_add_co_u32 v8, vcc_lo, v17, v8
	v_add_co_ci_u32_e32 v9, vcc_lo, 0, v9, vcc_lo
	s_delay_alu instid0(VALU_DEP_2) | instskip(NEXT) | instid1(VALU_DEP_2)
	v_add_co_u32 v8, vcc_lo, v8, v10
	v_add_co_ci_u32_e32 v8, vcc_lo, v9, v11, vcc_lo
	v_add_co_ci_u32_e32 v9, vcc_lo, 0, v13, vcc_lo
	s_delay_alu instid0(VALU_DEP_2) | instskip(NEXT) | instid1(VALU_DEP_2)
	v_add_co_u32 v10, vcc_lo, v8, v12
	v_add_co_ci_u32_e32 v11, vcc_lo, 0, v9, vcc_lo
	s_delay_alu instid0(VALU_DEP_2) | instskip(SKIP_1) | instid1(VALU_DEP_3)
	v_mul_lo_u32 v12, s17, v10
	v_mad_u64_u32 v[8:9], null, s16, v10, 0
	v_mul_lo_u32 v13, s16, v11
	s_delay_alu instid0(VALU_DEP_2) | instskip(NEXT) | instid1(VALU_DEP_2)
	v_sub_co_u32 v2, vcc_lo, v2, v8
	v_add3_u32 v9, v9, v13, v12
	s_delay_alu instid0(VALU_DEP_1) | instskip(NEXT) | instid1(VALU_DEP_1)
	v_sub_nc_u32_e32 v12, v15, v9
	v_subrev_co_ci_u32_e64 v8, s13, s17, v12, vcc_lo
	v_add_co_u32 v12, s13, v10, 2
	s_delay_alu instid0(VALU_DEP_1) | instskip(SKIP_3) | instid1(VALU_DEP_3)
	v_add_co_ci_u32_e64 v13, s13, 0, v11, s13
	v_sub_co_u32 v14, s13, v2, s16
	v_sub_co_ci_u32_e32 v9, vcc_lo, v15, v9, vcc_lo
	v_subrev_co_ci_u32_e64 v8, s13, 0, v8, s13
	v_cmp_le_u32_e32 vcc_lo, s16, v14
	s_delay_alu instid0(VALU_DEP_3) | instskip(SKIP_1) | instid1(VALU_DEP_4)
	v_cmp_eq_u32_e64 s13, s17, v9
	v_cndmask_b32_e64 v14, 0, -1, vcc_lo
	v_cmp_le_u32_e32 vcc_lo, s17, v8
	v_cndmask_b32_e64 v15, 0, -1, vcc_lo
	v_cmp_le_u32_e32 vcc_lo, s16, v2
	s_mov_b32 s16, s38
	v_cndmask_b32_e64 v2, 0, -1, vcc_lo
	v_cmp_le_u32_e32 vcc_lo, s17, v9
	v_cndmask_b32_e64 v17, 0, -1, vcc_lo
	v_cmp_eq_u32_e32 vcc_lo, s17, v8
	s_delay_alu instid0(VALU_DEP_2) | instskip(SKIP_3) | instid1(VALU_DEP_3)
	v_cndmask_b32_e64 v2, v17, v2, s13
	v_cndmask_b32_e32 v8, v15, v14, vcc_lo
	v_add_co_u32 v14, vcc_lo, v10, 1
	v_add_co_ci_u32_e32 v15, vcc_lo, 0, v11, vcc_lo
	v_cmp_ne_u32_e32 vcc_lo, 0, v8
	s_delay_alu instid0(VALU_DEP_2) | instskip(SKIP_3) | instid1(VALU_DEP_3)
	v_dual_cndmask_b32 v8, v15, v13 :: v_dual_cndmask_b32 v9, v14, v12
	v_cmp_ne_u32_e32 vcc_lo, 0, v2
	v_xor_b32_e32 v2, s14, v16
	s_mov_b32 s14, s37
	v_dual_cndmask_b32 v8, v11, v8 :: v_dual_cndmask_b32 v9, v10, v9
	v_xor_b32_e32 v10, s15, v16
	s_delay_alu instid0(VALU_DEP_2) | instskip(NEXT) | instid1(VALU_DEP_2)
	v_xor_b32_e32 v9, v9, v2
	v_xor_b32_e32 v11, v8, v10
	s_delay_alu instid0(VALU_DEP_2) | instskip(NEXT) | instid1(VALU_DEP_2)
	v_sub_co_u32 v8, vcc_lo, v9, v2
	v_sub_co_ci_u32_e32 v9, vcc_lo, v11, v10, vcc_lo
                                        ; implicit-def: $vgpr2
.LBB4_54:                               ;   in Loop: Header=BB4_51 Depth=1
	s_and_not1_saveexec_b32 s13, s36
	s_cbranch_execz .LBB4_56
; %bb.55:                               ;   in Loop: Header=BB4_51 Depth=1
	v_cvt_f32_u32_e32 v8, s19
	s_delay_alu instid0(VALU_DEP_1) | instskip(SKIP_2) | instid1(VALU_DEP_1)
	v_rcp_iflag_f32_e32 v8, v8
	s_waitcnt_depctr 0xfff
	v_mul_f32_e32 v8, 0x4f7ffffe, v8
	v_cvt_u32_f32_e32 v8, v8
	s_delay_alu instid0(VALU_DEP_1) | instskip(NEXT) | instid1(VALU_DEP_1)
	v_mul_lo_u32 v9, s35, v8
	v_mul_hi_u32 v9, v8, v9
	s_delay_alu instid0(VALU_DEP_1) | instskip(NEXT) | instid1(VALU_DEP_1)
	v_add_nc_u32_e32 v8, v8, v9
	v_mul_hi_u32 v8, v2, v8
	s_delay_alu instid0(VALU_DEP_1) | instskip(NEXT) | instid1(VALU_DEP_1)
	v_mul_lo_u32 v9, v8, s19
	v_sub_nc_u32_e32 v2, v2, v9
	s_delay_alu instid0(VALU_DEP_1) | instskip(SKIP_1) | instid1(VALU_DEP_2)
	v_subrev_nc_u32_e32 v10, s19, v2
	v_cmp_le_u32_e32 vcc_lo, s19, v2
	v_dual_cndmask_b32 v2, v2, v10 :: v_dual_add_nc_u32 v9, 1, v8
	s_delay_alu instid0(VALU_DEP_1) | instskip(NEXT) | instid1(VALU_DEP_2)
	v_cndmask_b32_e32 v8, v8, v9, vcc_lo
	v_cmp_le_u32_e32 vcc_lo, s19, v2
	s_delay_alu instid0(VALU_DEP_2) | instskip(NEXT) | instid1(VALU_DEP_1)
	v_add_nc_u32_e32 v9, 1, v8
	v_cndmask_b32_e32 v2, v8, v9, vcc_lo
	s_delay_alu instid0(VALU_DEP_1)
	v_dual_mov_b32 v9, v3 :: v_dual_mov_b32 v8, v2
.LBB4_56:                               ;   in Loop: Header=BB4_51 Depth=1
	s_or_b32 exec_lo, exec_lo, s13
	s_delay_alu instid0(VALU_DEP_1) | instskip(NEXT) | instid1(VALU_DEP_2)
	v_add_co_u32 v2, vcc_lo, v8, 7
	v_add_co_ci_u32_e32 v65, vcc_lo, 0, v9, vcc_lo
	s_delay_alu instid0(VALU_DEP_2)
	v_and_b32_e32 v64, -8, v2
.LBB4_57:                               ;   in Loop: Header=BB4_51 Depth=1
	s_or_b32 exec_lo, exec_lo, s30
	s_delay_alu instid0(VALU_DEP_2) | instskip(NEXT) | instid1(VALU_DEP_2)
	v_mul_lo_u32 v2, v65, s26
	v_mul_lo_u32 v8, v64, s27
	v_mad_u64_u32 v[11:12], null, v64, s26, 0
	v_mov_b32_e32 v10, 0
	s_mov_b32 s17, 0
	s_delay_alu instid0(VALU_DEP_2) | instskip(NEXT) | instid1(VALU_DEP_3)
	v_add3_u32 v12, v12, v8, v2
	v_sub_co_u32 v8, vcc_lo, v66, v11
	s_delay_alu instid0(VALU_DEP_2) | instskip(NEXT) | instid1(VALU_DEP_1)
	v_sub_co_ci_u32_e32 v9, vcc_lo, v67, v12, vcc_lo
	v_cmp_lt_i64_e32 vcc_lo, v[64:65], v[8:9]
	v_cndmask_b32_e32 v8, v8, v64, vcc_lo
	v_add_co_u32 v68, vcc_lo, v54, v24
	v_add_co_ci_u32_e32 v69, vcc_lo, v55, v25, vcc_lo
	s_delay_alu instid0(VALU_DEP_3) | instskip(NEXT) | instid1(VALU_DEP_1)
	v_max_i32_e32 v20, 0, v8
	v_add_nc_u32_e32 v2, 31, v20
	s_delay_alu instid0(VALU_DEP_1) | instskip(NEXT) | instid1(VALU_DEP_1)
	v_lshrrev_b32_e32 v2, 1, v2
	v_and_b32_e32 v9, 0x3ffffff0, v2
	v_cmp_lt_i32_e32 vcc_lo, 0, v8
	v_mov_b32_e32 v2, 0
	s_delay_alu instid0(VALU_DEP_3) | instskip(SKIP_1) | instid1(SALU_CYCLE_1)
	v_max_i32_e32 v8, s28, v9
	s_and_b32 s13, s16, vcc_lo
	s_and_saveexec_b32 s15, s13
	s_cbranch_execz .LBB4_223
; %bb.58:                               ;   in Loop: Header=BB4_51 Depth=1
	v_lshlrev_b64 v[12:13], 1, v[11:12]
	v_mov_b32_e32 v10, 0
	s_mov_b32 s36, 1
	s_mov_b32 s30, -1
.LBB4_59:                               ;   Parent Loop BB4_51 Depth=1
                                        ; =>  This Loop Header: Depth=2
                                        ;       Child Loop BB4_68 Depth 3
                                        ;       Child Loop BB4_97 Depth 3
	;; [unrolled: 1-line block ×9, first 2 shown]
	s_and_saveexec_b32 s13, s0
	s_cbranch_execz .LBB4_62
; %bb.60:                               ;   in Loop: Header=BB4_59 Depth=2
	s_cbranch_execnz .LBB4_2633
; %bb.61:                               ;   in Loop: Header=BB4_59 Depth=2
	ds_load_b64 v[14:15], v0
	v_lshlrev_b64 v[16:17], 1, v[68:69]
	v_ashrrev_i32_e32 v11, 31, v10
	s_waitcnt lgkmcnt(0)
	s_delay_alu instid0(VALU_DEP_2) | instskip(NEXT) | instid1(VALU_DEP_3)
	v_add_co_u32 v2, vcc_lo, v14, v16
	v_add_co_ci_u32_e32 v9, vcc_lo, v15, v17, vcc_lo
	s_delay_alu instid0(VALU_DEP_3) | instskip(NEXT) | instid1(VALU_DEP_3)
	v_lshlrev_b64 v[14:15], 1, v[10:11]
	v_add_co_u32 v2, vcc_lo, v2, v12
	s_delay_alu instid0(VALU_DEP_3) | instskip(NEXT) | instid1(VALU_DEP_2)
	v_add_co_ci_u32_e32 v9, vcc_lo, v9, v13, vcc_lo
	v_add_co_u32 v14, vcc_lo, v2, v14
	s_delay_alu instid0(VALU_DEP_2)
	v_add_co_ci_u32_e32 v15, vcc_lo, v9, v15, vcc_lo
	v_mov_b32_e32 v2, v3
	ds_store_b64 v0, v[14:15]
	ds_store_b64 v0, v[2:3]
.LBB4_62:                               ;   in Loop: Header=BB4_59 Depth=2
	s_or_b32 exec_lo, exec_lo, s13
	v_and_b32_e32 v2, 8, v30
	s_mov_b32 s37, -1
	s_mov_b32 s13, exec_lo
	s_delay_alu instid0(VALU_DEP_1)
	v_cmpx_ne_u32_e32 0, v2
	s_cbranch_execz .LBB4_76
; %bb.63:                               ;   in Loop: Header=BB4_59 Depth=2
	v_add_co_u32 v16, vcc_lo, v50, 8
	v_add_co_ci_u32_e32 v17, vcc_lo, 0, v51, vcc_lo
	v_add_co_u32 v14, vcc_lo, v34, 2
	v_add_co_ci_u32_e32 v15, vcc_lo, 0, v35, vcc_lo
	v_mov_b32_e32 v2, 1
	s_mov_b32 s37, exec_lo
	s_delay_alu instid0(VALU_DEP_2)
	v_cmpx_lt_u64_e64 v[16:17], v[14:15]
	s_cbranch_execz .LBB4_75
; %bb.64:                               ;   in Loop: Header=BB4_59 Depth=2
	v_mov_b32_e32 v2, 0
	s_mov_b32 s38, 0
                                        ; implicit-def: $sgpr39
	s_branch .LBB4_68
.LBB4_65:                               ;   in Loop: Header=BB4_68 Depth=3
	s_or_b32 exec_lo, exec_lo, s43
	v_mov_b32_e32 v9, 0
	s_or_not1_b32 s42, s42, exec_lo
.LBB4_66:                               ;   in Loop: Header=BB4_68 Depth=3
	s_or_b32 exec_lo, exec_lo, s41
	s_delay_alu instid0(VALU_DEP_1) | instskip(SKIP_2) | instid1(SALU_CYCLE_1)
	v_mov_b32_e32 v2, v9
	s_and_not1_b32 vcc_lo, s39, exec_lo
	s_and_b32 s39, s42, exec_lo
	s_or_b32 s39, vcc_lo, s39
.LBB4_67:                               ;   in Loop: Header=BB4_68 Depth=3
	s_or_b32 exec_lo, exec_lo, s40
	s_waitcnt vmcnt(0) lgkmcnt(0)
	v_add_co_u32 v16, vcc_lo, v50, 8
	v_add_co_ci_u32_e32 v17, vcc_lo, 0, v51, vcc_lo
	s_xor_b32 s40, s39, -1
	s_delay_alu instid0(VALU_DEP_1) | instskip(SKIP_1) | instid1(SALU_CYCLE_1)
	v_cmp_ge_u64_e32 vcc_lo, v[16:17], v[14:15]
	s_or_b32 vcc_lo, s40, vcc_lo
	s_and_b32 vcc_lo, exec_lo, vcc_lo
	s_delay_alu instid0(SALU_CYCLE_1) | instskip(NEXT) | instid1(SALU_CYCLE_1)
	s_or_b32 s38, vcc_lo, s38
	s_and_not1_b32 exec_lo, exec_lo, s38
	s_cbranch_execz .LBB4_74
.LBB4_68:                               ;   Parent Loop BB4_51 Depth=1
                                        ;     Parent Loop BB4_59 Depth=2
                                        ; =>    This Inner Loop Header: Depth=3
	s_sleep 1
	flat_load_b64 v[50:51], v[32:33] glc
	v_and_b32_e32 v9, 64, v30
	s_and_not1_b32 s39, s39, exec_lo
	s_mov_b32 s40, exec_lo
	s_delay_alu instid0(VALU_DEP_1)
	v_cmpx_eq_u32_e32 0, v9
	s_cbranch_execz .LBB4_67
; %bb.69:                               ;   in Loop: Header=BB4_68 Depth=3
	v_add_nc_u32_e32 v9, 1, v2
	s_mov_b32 s42, -1
	s_mov_b32 s41, exec_lo
	v_cmpx_lt_i32_e32 0x270e, v2
	s_cbranch_execz .LBB4_66
; %bb.70:                               ;   in Loop: Header=BB4_68 Depth=3
	s_cbranch_execnz .LBB4_2655
; %bb.71:                               ;   in Loop: Header=BB4_68 Depth=3
	ds_load_b64 v[16:17], v0
	s_mov_b32 s43, exec_lo
	s_waitcnt vmcnt(0) lgkmcnt(0)
	s_waitcnt_vscnt null, 0x0
	flat_load_b32 v2, v[16:17] glc
	s_waitcnt vmcnt(0) lgkmcnt(0)
	buffer_gl1_inv
	buffer_gl0_inv
	v_cmpx_ne_u32_e32 0, v2
	s_cbranch_execz .LBB4_65
; %bb.72:                               ;   in Loop: Header=BB4_68 Depth=3
	ds_store_b32 v0, v2
	s_cbranch_execnz .LBB4_2674
; %bb.73:                               ;   in Loop: Header=BB4_68 Depth=3
	v_or_b32_e32 v30, 64, v30
	s_xor_b32 s42, exec_lo, -1
	s_branch .LBB4_65
.LBB4_74:                               ;   in Loop: Header=BB4_59 Depth=2
	s_or_b32 exec_lo, exec_lo, s38
	v_and_b32_e32 v2, 8, v30
.LBB4_75:                               ;   in Loop: Header=BB4_59 Depth=2
	s_or_b32 exec_lo, exec_lo, s37
	s_delay_alu instid0(VALU_DEP_1)
	v_cmp_eq_u32_e32 vcc_lo, 0, v2
	;;#ASMSTART
	s_wakeup
	;;#ASMEND
	s_or_not1_b32 s37, vcc_lo, exec_lo
.LBB4_76:                               ;   in Loop: Header=BB4_59 Depth=2
	s_or_b32 exec_lo, exec_lo, s13
	v_sub_nc_u32_e32 v2, v20, v10
	s_xor_b32 vcc_lo, s37, -1
	s_delay_alu instid0(VALU_DEP_1)
	v_min_i32_e32 v8, v8, v2
	s_and_saveexec_b32 s13, vcc_lo
	s_cbranch_execz .LBB4_84
; %bb.77:                               ;   in Loop: Header=BB4_59 Depth=2
	v_and_b32_e32 v2, 0x100, v30
	s_mov_b32 s38, 0
	s_mov_b32 s37, exec_lo
                                        ; implicit-def: $vgpr16_vgpr17
	s_delay_alu instid0(VALU_DEP_1)
	v_cmpx_ne_u32_e32 0, v2
	s_xor_b32 s37, exec_lo, s37
                                        ; implicit-def: $vgpr14_vgpr15
	s_cbranch_execnz .LBB4_92
; %bb.78:                               ;   in Loop: Header=BB4_59 Depth=2
	s_and_not1_saveexec_b32 vcc_lo, s37
	s_cbranch_execnz .LBB4_95
.LBB4_79:                               ;   in Loop: Header=BB4_59 Depth=2
	s_or_b32 exec_lo, exec_lo, vcc_lo
	s_and_saveexec_b32 vcc_lo, s38
.LBB4_80:                               ;   in Loop: Header=BB4_59 Depth=2
	v_mul_lo_u32 v2, v3, v101
	v_mul_lo_u32 v9, v14, v102
	v_mad_u64_u32 v[16:17], null, v14, v101, 0
	s_delay_alu instid0(VALU_DEP_1)
	v_add3_u32 v17, v17, v9, v2
.LBB4_81:                               ;   in Loop: Header=BB4_59 Depth=2
	s_or_b32 exec_lo, exec_lo, vcc_lo
	s_delay_alu instid0(VALU_DEP_1) | instskip(SKIP_2) | instid1(VALU_DEP_2)
	v_lshlrev_b64 v[14:15], 1, v[16:17]
	v_and_b32_e32 v2, 0x2000, v30
	s_mov_b32 s37, exec_lo
	v_add_co_u32 v14, vcc_lo, v36, v14
	s_delay_alu instid0(VALU_DEP_3)
	v_add_co_ci_u32_e32 v15, vcc_lo, v37, v15, vcc_lo
	ds_store_b64 v0, v[14:15] offset:784
	v_cmpx_ne_u32_e32 0, v2
	s_cbranch_execz .LBB4_83
; %bb.82:                               ;   in Loop: Header=BB4_59 Depth=2
	ds_load_b64 v[14:15], v0 offset:584
	s_waitcnt lgkmcnt(0)
	v_add_co_u32 v14, vcc_lo, v14, 1
	v_add_co_ci_u32_e32 v15, vcc_lo, 0, v15, vcc_lo
	ds_store_b64 v0, v[14:15] offset:584
.LBB4_83:                               ;   in Loop: Header=BB4_59 Depth=2
	s_or_b32 exec_lo, exec_lo, s37
	v_add_co_u32 v34, vcc_lo, v34, 2
	v_add_co_ci_u32_e32 v35, vcc_lo, 0, v35, vcc_lo
.LBB4_84:                               ;   in Loop: Header=BB4_59 Depth=2
	s_or_b32 exec_lo, exec_lo, s13
	s_and_saveexec_b32 s13, s3
	s_cbranch_execz .LBB4_110
; %bb.85:                               ;   in Loop: Header=BB4_59 Depth=2
	s_and_saveexec_b32 vcc_lo, s4
	s_delay_alu instid0(SALU_CYCLE_1)
	s_xor_b32 s37, exec_lo, vcc_lo
	s_cbranch_execz .LBB4_107
; %bb.86:                               ;   in Loop: Header=BB4_59 Depth=2
	s_and_saveexec_b32 s38, s1
	s_cbranch_execz .LBB4_106
; %bb.87:                               ;   in Loop: Header=BB4_59 Depth=2
	s_mov_b32 s40, exec_lo
	s_mov_b32 s39, exec_lo
	v_mbcnt_lo_u32_b32 v2, s40, 0
	s_waitcnt lgkmcnt(0)
	s_waitcnt_vscnt null, 0x0
	buffer_gl1_inv
	buffer_gl0_inv
	v_cmpx_eq_u32_e32 0, v2
	s_cbranch_execz .LBB4_89
; %bb.88:                               ;   in Loop: Header=BB4_59 Depth=2
	s_bcnt1_i32_b32 vcc_lo, s40
	s_delay_alu instid0(SALU_CYCLE_1)
	v_mov_b32_e32 v2, vcc_lo
	ds_add_u64 v0, v[2:3]
	s_cbranch_execnz .LBB4_2700
.LBB4_89:                               ;   in Loop: Header=BB4_59 Depth=2
	s_or_b32 exec_lo, exec_lo, s39
	s_cbranch_execnz .LBB4_2680
; %bb.90:                               ;   in Loop: Header=BB4_59 Depth=2
	ds_load_b64 v[14:15], v0
	v_add_co_u32 v48, vcc_lo, v48, v113
	v_add_co_ci_u32_e32 v49, vcc_lo, 0, v49, vcc_lo
	s_mov_b32 s39, exec_lo
	s_waitcnt lgkmcnt(0)
	s_delay_alu instid0(VALU_DEP_1)
	v_cmpx_lt_u64_e64 v[14:15], v[48:49]
	s_cbranch_execz .LBB4_105
; %bb.91:                               ;   in Loop: Header=BB4_59 Depth=2
	s_mov_b32 s40, 0
	s_mov_b32 s43, 0
                                        ; implicit-def: $sgpr41
                                        ; implicit-def: $sgpr42
	s_branch .LBB4_97
.LBB4_92:                               ;   in Loop: Header=BB4_59 Depth=2
	v_and_b32_e32 v14, 7, v34
	v_ashrrev_i32_e32 v9, 31, v8
	s_mov_b32 s38, -1
	s_mov_b32 s39, exec_lo
	s_delay_alu instid0(VALU_DEP_2) | instskip(NEXT) | instid1(VALU_DEP_2)
	v_mad_u64_u32 v[18:19], null, v14, 24, v[6:7]
	v_lshlrev_b64 v[15:16], 1, v[8:9]
	flat_load_b32 v2, v[18:19]
	flat_store_b64 v[18:19], v[15:16] offset:8
                                        ; implicit-def: $vgpr16_vgpr17
	s_waitcnt vmcnt(0) lgkmcnt(1)
	v_cmpx_eq_u32_e32 1, v2
	s_cbranch_execz .LBB4_94
; %bb.93:                               ;   in Loop: Header=BB4_59 Depth=2
	flat_load_b32 v14, v[18:19] offset:4 glc
	s_xor_b32 s38, exec_lo, -1
	s_waitcnt vmcnt(0) lgkmcnt(0)
	v_ashrrev_i32_e32 v15, 31, v14
	s_delay_alu instid0(VALU_DEP_1)
	v_lshrrev_b64 v[16:17], 1, v[14:15]
                                        ; implicit-def: $vgpr14_vgpr15
.LBB4_94:                               ;   in Loop: Header=BB4_59 Depth=2
	s_or_b32 exec_lo, exec_lo, s39
	s_delay_alu instid0(SALU_CYCLE_1)
	s_and_b32 s38, s38, exec_lo
	s_and_not1_saveexec_b32 vcc_lo, s37
	s_cbranch_execz .LBB4_79
.LBB4_95:                               ;   in Loop: Header=BB4_59 Depth=2
	v_and_b32_e32 v14, 7, v34
	s_or_b32 s38, s38, exec_lo
                                        ; implicit-def: $vgpr16_vgpr17
	s_or_b32 exec_lo, exec_lo, vcc_lo
	s_and_saveexec_b32 vcc_lo, s38
	s_cbranch_execnz .LBB4_80
	s_branch .LBB4_81
.LBB4_96:                               ;   in Loop: Header=BB4_97 Depth=3
	s_or_b32 exec_lo, exec_lo, s45
	s_delay_alu instid0(SALU_CYCLE_1) | instskip(NEXT) | instid1(SALU_CYCLE_1)
	s_and_b32 vcc_lo, exec_lo, vcc_lo
	s_or_b32 s40, vcc_lo, s40
	s_and_not1_b32 vcc_lo, s41, exec_lo
	s_and_b32 s41, s42, exec_lo
	s_delay_alu instid0(SALU_CYCLE_1)
	s_or_b32 s41, vcc_lo, s41
	s_and_not1_b32 exec_lo, exec_lo, s40
	s_cbranch_execz .LBB4_103
.LBB4_97:                               ;   Parent Loop BB4_51 Depth=1
                                        ;     Parent Loop BB4_59 Depth=2
                                        ; =>    This Inner Loop Header: Depth=3
	s_add_i32 s43, s43, 1
                                        ; implicit-def: $sgpr45
	s_delay_alu instid0(SALU_CYCLE_1) | instskip(SKIP_1) | instid1(SALU_CYCLE_1)
	s_cmpk_lg_i32 s43, 0x2710
	s_cselect_b32 s44, -1, 0
	s_and_b32 vcc_lo, exec_lo, s44
	s_cbranch_vccz .LBB4_101
.LBB4_98:                               ;   in Loop: Header=BB4_97 Depth=3
	s_and_not1_b32 s42, s42, exec_lo
	s_and_b32 s45, s45, exec_lo
	s_mov_b32 vcc_lo, -1
	s_or_b32 s42, s42, s45
	s_and_saveexec_b32 s45, s44
	s_cbranch_execz .LBB4_96
; %bb.99:                               ;   in Loop: Header=BB4_97 Depth=3
	s_sleep 1
	s_cbranch_execnz .LBB4_2728
; %bb.100:                              ;   in Loop: Header=BB4_97 Depth=3
	ds_load_b64 v[14:15], v0
	s_and_not1_b32 s42, s42, exec_lo
	s_waitcnt lgkmcnt(0)
	v_cmp_ge_u64_e32 vcc_lo, v[14:15], v[48:49]
	s_or_not1_b32 vcc_lo, vcc_lo, exec_lo
	s_branch .LBB4_96
.LBB4_101:                              ;   in Loop: Header=BB4_97 Depth=3
	s_cbranch_execnz .LBB4_2734
; %bb.102:                              ;   in Loop: Header=BB4_97 Depth=3
	ds_load_b64 v[14:15], v0
	s_and_not1_b32 s44, s44, exec_lo
	s_mov_b32 s43, 0
	s_mov_b32 s45, -1
	s_waitcnt lgkmcnt(0)
	flat_load_b32 v2, v[14:15] glc
	s_waitcnt vmcnt(0) lgkmcnt(0)
	buffer_gl1_inv
	buffer_gl0_inv
	v_cmp_eq_u32_e32 vcc_lo, 0, v2
	s_and_b32 vcc_lo, vcc_lo, exec_lo
	s_delay_alu instid0(SALU_CYCLE_1)
	s_or_b32 s44, s44, vcc_lo
	s_branch .LBB4_98
.LBB4_103:                              ;   in Loop: Header=BB4_59 Depth=2
	s_or_b32 exec_lo, exec_lo, s40
	s_and_saveexec_b32 vcc_lo, s41
	s_delay_alu instid0(SALU_CYCLE_1)
	s_xor_b32 vcc_lo, exec_lo, vcc_lo
	s_cbranch_execz .LBB4_105
; %bb.104:                              ;   in Loop: Header=BB4_59 Depth=2
	ds_store_b32 v0, v148
	s_cbranch_execnz .LBB4_2944
.LBB4_105:                              ;   in Loop: Header=BB4_59 Depth=2
	s_or_b32 exec_lo, exec_lo, s39
	;;#ASMSTART
	s_wakeup
	;;#ASMEND
.LBB4_106:                              ;   in Loop: Header=BB4_59 Depth=2
	s_or_b32 exec_lo, exec_lo, s38
.LBB4_107:                              ;   in Loop: Header=BB4_59 Depth=2
	s_and_not1_saveexec_b32 vcc_lo, s37
	s_cbranch_execz .LBB4_109
; %bb.108:                              ;   in Loop: Header=BB4_59 Depth=2
	s_waitcnt lgkmcnt(0)
	s_waitcnt_vscnt null, 0x0
	buffer_gl1_inv
	buffer_gl0_inv
	s_barrier
.LBB4_109:                              ;   in Loop: Header=BB4_59 Depth=2
	s_or_b32 exec_lo, exec_lo, vcc_lo
.LBB4_110:                              ;   in Loop: Header=BB4_59 Depth=2
	s_delay_alu instid0(SALU_CYCLE_1)
	s_or_b32 exec_lo, exec_lo, s13
	s_cbranch_execnz .LBB4_2631
; %bb.111:                              ;   in Loop: Header=BB4_59 Depth=2
	ds_load_b32 v11, v0
	v_and_b32_e32 v2, 0x4000, v30
	s_xor_b32 s13, s2, -1
	s_delay_alu instid0(VALU_DEP_1) | instskip(SKIP_1) | instid1(SALU_CYCLE_1)
	v_cmp_ne_u32_e32 vcc_lo, 0, v2
	s_and_b32 vcc_lo, s13, vcc_lo
	s_and_saveexec_b32 s13, vcc_lo
	s_cbranch_execz .LBB4_133
; %bb.112:                              ;   in Loop: Header=BB4_59 Depth=2
	s_and_saveexec_b32 vcc_lo, s4
	s_delay_alu instid0(SALU_CYCLE_1)
	s_xor_b32 s37, exec_lo, vcc_lo
	s_cbranch_execz .LBB4_130
; %bb.113:                              ;   in Loop: Header=BB4_59 Depth=2
	s_and_saveexec_b32 s38, s1
	s_cbranch_execz .LBB4_129
; %bb.114:                              ;   in Loop: Header=BB4_59 Depth=2
	s_mov_b32 s40, exec_lo
	s_mov_b32 s39, exec_lo
	v_mbcnt_lo_u32_b32 v2, s40, 0
	s_waitcnt lgkmcnt(0)
	s_waitcnt_vscnt null, 0x0
	buffer_gl1_inv
	buffer_gl0_inv
	v_cmpx_eq_u32_e32 0, v2
	s_cbranch_execz .LBB4_116
; %bb.115:                              ;   in Loop: Header=BB4_59 Depth=2
	s_bcnt1_i32_b32 vcc_lo, s40
	s_delay_alu instid0(SALU_CYCLE_1)
	v_mov_b32_e32 v2, vcc_lo
	ds_add_u64 v0, v[2:3]
	s_cbranch_execnz .LBB4_2726
.LBB4_116:                              ;   in Loop: Header=BB4_59 Depth=2
	s_or_b32 exec_lo, exec_lo, s39
	s_cbranch_execnz .LBB4_2714
; %bb.117:                              ;   in Loop: Header=BB4_59 Depth=2
	ds_load_b64 v[14:15], v0
	v_add_co_u32 v48, vcc_lo, v48, v113
	v_add_co_ci_u32_e32 v49, vcc_lo, 0, v49, vcc_lo
	s_mov_b32 s39, exec_lo
	s_waitcnt lgkmcnt(0)
	s_delay_alu instid0(VALU_DEP_1)
	v_cmpx_lt_u64_e64 v[14:15], v[48:49]
	s_cbranch_execz .LBB4_128
; %bb.118:                              ;   in Loop: Header=BB4_59 Depth=2
	s_mov_b32 s40, 0
	s_mov_b32 s43, 0
                                        ; implicit-def: $sgpr41
                                        ; implicit-def: $sgpr42
	s_branch .LBB4_120
.LBB4_119:                              ;   in Loop: Header=BB4_120 Depth=3
	s_or_b32 exec_lo, exec_lo, s45
	s_delay_alu instid0(SALU_CYCLE_1) | instskip(NEXT) | instid1(SALU_CYCLE_1)
	s_and_b32 vcc_lo, exec_lo, vcc_lo
	s_or_b32 s40, vcc_lo, s40
	s_and_not1_b32 vcc_lo, s41, exec_lo
	s_and_b32 s41, s42, exec_lo
	s_delay_alu instid0(SALU_CYCLE_1)
	s_or_b32 s41, vcc_lo, s41
	s_and_not1_b32 exec_lo, exec_lo, s40
	s_cbranch_execz .LBB4_126
.LBB4_120:                              ;   Parent Loop BB4_51 Depth=1
                                        ;     Parent Loop BB4_59 Depth=2
                                        ; =>    This Inner Loop Header: Depth=3
	s_add_i32 s43, s43, 1
                                        ; implicit-def: $sgpr45
	s_delay_alu instid0(SALU_CYCLE_1) | instskip(SKIP_1) | instid1(SALU_CYCLE_1)
	s_cmpk_lg_i32 s43, 0x2710
	s_cselect_b32 s44, -1, 0
	s_and_b32 vcc_lo, exec_lo, s44
	s_cbranch_vccz .LBB4_124
.LBB4_121:                              ;   in Loop: Header=BB4_120 Depth=3
	s_and_not1_b32 s42, s42, exec_lo
	s_and_b32 s45, s45, exec_lo
	s_mov_b32 vcc_lo, -1
	s_or_b32 s42, s42, s45
	s_and_saveexec_b32 s45, s44
	s_cbranch_execz .LBB4_119
; %bb.122:                              ;   in Loop: Header=BB4_120 Depth=3
	s_sleep 1
	s_cbranch_execnz .LBB4_2768
; %bb.123:                              ;   in Loop: Header=BB4_120 Depth=3
	ds_load_b64 v[14:15], v0
	s_and_not1_b32 s42, s42, exec_lo
	s_waitcnt lgkmcnt(0)
	v_cmp_ge_u64_e32 vcc_lo, v[14:15], v[48:49]
	s_or_not1_b32 vcc_lo, vcc_lo, exec_lo
	s_branch .LBB4_119
.LBB4_124:                              ;   in Loop: Header=BB4_120 Depth=3
	s_cbranch_execnz .LBB4_2786
; %bb.125:                              ;   in Loop: Header=BB4_120 Depth=3
	ds_load_b64 v[14:15], v0
	s_and_not1_b32 s44, s44, exec_lo
	s_mov_b32 s43, 0
	s_mov_b32 s45, -1
	s_waitcnt lgkmcnt(0)
	flat_load_b32 v2, v[14:15] glc
	s_waitcnt vmcnt(0) lgkmcnt(0)
	buffer_gl1_inv
	buffer_gl0_inv
	v_cmp_eq_u32_e32 vcc_lo, 0, v2
	s_and_b32 vcc_lo, vcc_lo, exec_lo
	s_delay_alu instid0(SALU_CYCLE_1)
	s_or_b32 s44, s44, vcc_lo
	s_branch .LBB4_121
.LBB4_126:                              ;   in Loop: Header=BB4_59 Depth=2
	s_or_b32 exec_lo, exec_lo, s40
	s_and_saveexec_b32 vcc_lo, s41
	s_delay_alu instid0(SALU_CYCLE_1)
	s_xor_b32 vcc_lo, exec_lo, vcc_lo
	s_cbranch_execz .LBB4_128
; %bb.127:                              ;   in Loop: Header=BB4_59 Depth=2
	ds_store_b32 v0, v148
	s_cbranch_execnz .LBB4_2998
.LBB4_128:                              ;   in Loop: Header=BB4_59 Depth=2
	s_or_b32 exec_lo, exec_lo, s39
	;;#ASMSTART
	s_wakeup
	;;#ASMEND
.LBB4_129:                              ;   in Loop: Header=BB4_59 Depth=2
	s_or_b32 exec_lo, exec_lo, s38
.LBB4_130:                              ;   in Loop: Header=BB4_59 Depth=2
	s_and_not1_saveexec_b32 vcc_lo, s37
	s_cbranch_execz .LBB4_132
; %bb.131:                              ;   in Loop: Header=BB4_59 Depth=2
	s_waitcnt lgkmcnt(0)
	s_waitcnt_vscnt null, 0x0
	buffer_gl1_inv
	buffer_gl0_inv
	s_barrier
.LBB4_132:                              ;   in Loop: Header=BB4_59 Depth=2
	s_or_b32 exec_lo, exec_lo, vcc_lo
.LBB4_133:                              ;   in Loop: Header=BB4_59 Depth=2
	s_delay_alu instid0(SALU_CYCLE_1)
	s_or_b32 exec_lo, exec_lo, s13
	s_cbranch_execnz .LBB4_2657
; %bb.134:                              ;   in Loop: Header=BB4_59 Depth=2
	ds_load_b64 v[14:15], v0
	v_mov_b32_e32 v9, 0
	s_waitcnt lgkmcnt(0)
	v_cmp_eq_u64_e32 vcc_lo, 0, v[14:15]
	s_or_b32 s13, vcc_lo, vcc_lo
	s_delay_alu instid0(SALU_CYCLE_1)
	s_and_b32 vcc_lo, exec_lo, s13
	s_cbranch_vccnz .LBB4_169
; %bb.135:                              ;   in Loop: Header=BB4_59 Depth=2
	s_mov_b32 s37, s14
	s_mov_b32 s13, -1
	s_and_saveexec_b32 s14, s5
	s_cbranch_execz .LBB4_137
; %bb.136:                              ;   in Loop: Header=BB4_59 Depth=2
	ds_load_b32 v2, v0 offset:720
	s_waitcnt lgkmcnt(0)
	v_and_b32_e32 v2, 15, v2
	s_delay_alu instid0(VALU_DEP_1)
	v_cmp_eq_u32_e32 vcc_lo, 0, v2
	s_or_not1_b32 s13, vcc_lo, exec_lo
.LBB4_137:                              ;   in Loop: Header=BB4_59 Depth=2
	s_or_b32 exec_lo, exec_lo, s14
	s_and_saveexec_b32 s14, s6
	s_cbranch_execz .LBB4_139
; %bb.138:                              ;   in Loop: Header=BB4_59 Depth=2
	ds_load_b32 v2, v0 offset:784
	s_waitcnt lgkmcnt(0)
	v_and_b32_e32 v2, 15, v2
	s_delay_alu instid0(VALU_DEP_1) | instskip(SKIP_3) | instid1(SALU_CYCLE_1)
	v_cmp_eq_u32_e32 vcc_lo, 0, v2
	s_and_b32 vcc_lo, s13, vcc_lo
	s_and_not1_b32 s13, s13, exec_lo
	s_and_b32 vcc_lo, vcc_lo, exec_lo
	s_or_b32 s13, s13, vcc_lo
.LBB4_139:                              ;   in Loop: Header=BB4_59 Depth=2
	s_or_b32 exec_lo, exec_lo, s14
	v_cmp_eq_u32_e32 vcc_lo, 0, v11
	s_xor_b32 s13, s13, -1
	v_mov_b32_e32 v11, 0
	v_cndmask_b32_e64 v2, 0, 1, s13
	;;#ASMSTART
	;;#ASMEND
	v_cndmask_b32_e32 v9, 0, v8, vcc_lo
	s_delay_alu instid0(VALU_DEP_2) | instskip(SKIP_1) | instid1(VALU_DEP_2)
	v_cmp_ne_u32_e32 vcc_lo, 0, v2
	s_mov_b32 s13, -1
	v_lshlrev_b32_e32 v2, 1, v9
	s_cbranch_vccz .LBB4_141
; %bb.140:                              ;   in Loop: Header=BB4_59 Depth=2
	v_mov_b32_e32 v18, v0
	v_mov_b32_e32 v22, v103
	s_branch .LBB4_156
.LBB4_141:                              ;   in Loop: Header=BB4_59 Depth=2
	s_delay_alu instid0(VALU_DEP_1) | instskip(SKIP_1) | instid1(VALU_DEP_1)
	v_ashrrev_i32_e32 v11, 31, v2
	s_mov_b32 s14, exec_lo
	v_lshrrev_b32_e32 v11, 21, v11
	s_delay_alu instid0(VALU_DEP_1) | instskip(NEXT) | instid1(VALU_DEP_1)
	v_add_nc_u32_e32 v11, v2, v11
	v_ashrrev_i32_e32 v11, 11, v11
	s_delay_alu instid0(VALU_DEP_1) | instskip(NEXT) | instid1(VALU_DEP_1)
	v_sub_nc_u32_e32 v19, v11, v103
	v_cmpx_lt_i32_e32 0, v19
	s_cbranch_execz .LBB4_146
; %bb.142:                              ;   in Loop: Header=BB4_59 Depth=2
	s_cbranch_execnz .LBB4_2738
; %bb.143:                              ;   in Loop: Header=BB4_59 Depth=2
	ds_load_b64 v[14:15], v0
	s_mov_b32 s38, 0
	s_waitcnt lgkmcnt(0)
	v_dual_mov_b32 v17, v15 :: v_dual_mov_b32 v16, v14
	s_set_inst_prefetch_distance 0x1
.LBB4_144:                              ;   Parent Loop BB4_51 Depth=1
                                        ;     Parent Loop BB4_59 Depth=2
                                        ; =>    This Inner Loop Header: Depth=3
	s_delay_alu instid0(VALU_DEP_1) | instskip(NEXT) | instid1(VALU_DEP_2)
	v_add_co_u32 v21, vcc_lo, v114, v16
	v_add_co_ci_u32_e32 v22, vcc_lo, v116, v17, vcc_lo
	v_sub_nc_u32_e32 v19, v19, v113
	s_clause 0x3
	global_load_b128 v[80:83], v[21:22], off slc dlc
	global_load_b128 v[84:87], v[21:22], off offset:512 slc dlc
	global_load_b128 v[96:99], v[21:22], off offset:1024 slc dlc
	;; [unrolled: 1-line block ×3, first 2 shown]
	v_add_co_u32 v21, vcc_lo, v114, v14
	v_add_co_ci_u32_e32 v22, vcc_lo, v116, v15, vcc_lo
	v_add_co_u32 v16, vcc_lo, v16, v119
	v_add_co_ci_u32_e32 v17, vcc_lo, v17, v128, vcc_lo
	v_add_co_u32 v14, vcc_lo, v14, v119
	v_cmp_gt_i32_e64 s13, 1, v19
	v_add_co_ci_u32_e32 v15, vcc_lo, v15, v128, vcc_lo
	s_waitcnt vmcnt(3)
	global_store_b128 v[21:22], v[80:83], off glc slc dlc
	s_waitcnt vmcnt(2)
	global_store_b128 v[21:22], v[84:87], off offset:512 glc slc dlc
	s_waitcnt vmcnt(1)
	global_store_b128 v[21:22], v[96:99], off offset:1024 glc slc dlc
	;; [unrolled: 2-line block ×3, first 2 shown]
	s_or_b32 s38, s13, s38
	s_delay_alu instid0(SALU_CYCLE_1)
	s_and_not1_b32 exec_lo, exec_lo, s38
	s_cbranch_execnz .LBB4_144
; %bb.145:                              ;   in Loop: Header=BB4_59 Depth=2
	s_set_inst_prefetch_distance 0x2
	s_or_b32 exec_lo, exec_lo, s38
.LBB4_146:                              ;   in Loop: Header=BB4_59 Depth=2
	s_delay_alu instid0(SALU_CYCLE_1) | instskip(SKIP_3) | instid1(VALU_DEP_1)
	s_or_b32 exec_lo, exec_lo, s14
	v_dual_mov_b32 v11, 0 :: v_dual_lshlrev_b32 v16, 11, v11
	s_mov_b32 s13, 0
	s_mov_b32 s38, exec_lo
                                        ; implicit-def: $vgpr18
                                        ; implicit-def: $vgpr22
	v_cmpx_ne_u32_e64 v2, v16
	s_cbranch_execz .LBB4_155
; %bb.147:                              ;   in Loop: Header=BB4_59 Depth=2
	v_lshlrev_b32_e32 v11, 5, v19
	v_sub_nc_u32_e32 v15, v2, v16
	s_mov_b32 s39, exec_lo
	s_delay_alu instid0(VALU_DEP_2) | instskip(NEXT) | instid1(VALU_DEP_2)
	v_sub_nc_u32_e32 v11, v112, v11
	v_ashrrev_i32_e32 v17, 31, v15
	s_delay_alu instid0(VALU_DEP_2) | instskip(NEXT) | instid1(VALU_DEP_2)
	v_ashrrev_i32_e32 v14, 31, v11
	v_lshrrev_b32_e32 v17, 23, v17
	s_delay_alu instid0(VALU_DEP_2) | instskip(NEXT) | instid1(VALU_DEP_2)
	v_lshrrev_b32_e32 v14, 27, v14
	v_add_nc_u32_e32 v22, v15, v17
	s_delay_alu instid0(VALU_DEP_2) | instskip(NEXT) | instid1(VALU_DEP_2)
	v_add_nc_u32_e32 v14, v11, v14
	v_and_b32_e32 v17, 0xfffffe00, v22
	v_ashrrev_i32_e32 v22, 9, v22
	s_delay_alu instid0(VALU_DEP_3) | instskip(NEXT) | instid1(VALU_DEP_3)
	v_and_b32_e32 v18, 0xffffffe0, v14
	v_sub_nc_u32_e32 v21, v15, v17
	v_ashrrev_i32_e32 v14, 5, v14
	s_delay_alu instid0(VALU_DEP_3) | instskip(NEXT) | instid1(VALU_DEP_3)
	v_sub_nc_u32_e32 v19, v11, v18
	v_cmp_lt_i32_e32 vcc_lo, 15, v21
	s_delay_alu instid0(VALU_DEP_2) | instskip(SKIP_1) | instid1(VALU_DEP_2)
	v_lshlrev_b32_e32 v11, 4, v19
	v_add_co_ci_u32_e64 v22, s13, 0, v22, vcc_lo
	v_lshl_add_u32 v18, v14, 9, v11
	s_delay_alu instid0(VALU_DEP_2) | instskip(NEXT) | instid1(VALU_DEP_2)
	v_sub_nc_u32_e32 v23, v22, v14
	v_sub_nc_u32_e32 v11, v15, v18
	s_delay_alu instid0(VALU_DEP_1)
	v_cmpx_lt_i32_e32 15, v11
	s_cbranch_execz .LBB4_152
; %bb.148:                              ;   in Loop: Header=BB4_59 Depth=2
	s_cbranch_execnz .LBB4_2804
; %bb.149:                              ;   in Loop: Header=BB4_59 Depth=2
	ds_load_b64 v[14:15], v0
	v_add_nc_u32_e32 v18, v18, v16
	s_mov_b32 s40, 0
	s_delay_alu instid0(VALU_DEP_1)
	v_ashrrev_i32_e32 v22, 31, v18
.LBB4_150:                              ;   Parent Loop BB4_51 Depth=1
                                        ;     Parent Loop BB4_59 Depth=2
                                        ; =>    This Inner Loop Header: Depth=3
	s_waitcnt lgkmcnt(0)
	v_add_co_u32 v70, s13, v14, v18
	s_delay_alu instid0(VALU_DEP_1)
	v_add_co_ci_u32_e64 v71, s13, v15, v22, s13
	v_sub_nc_u32_e32 v11, v11, v115
	v_add_co_u32 v18, s14, v18, v131
	global_load_b128 v[80:83], v[70:71], off slc dlc
	v_sub_nc_u32_e32 v23, v23, v113
	v_cmp_gt_i32_e64 s13, 16, v11
	v_add_co_ci_u32_e64 v22, s14, v22, v132, s14
	s_delay_alu instid0(VALU_DEP_2)
	s_or_b32 s40, s13, s40
	s_waitcnt vmcnt(0)
	global_store_b128 v[70:71], v[80:83], off glc slc dlc
	s_and_not1_b32 exec_lo, exec_lo, s40
	s_cbranch_execnz .LBB4_150
; %bb.151:                              ;   in Loop: Header=BB4_59 Depth=2
	s_or_b32 exec_lo, exec_lo, s40
.LBB4_152:                              ;   in Loop: Header=BB4_59 Depth=2
	s_delay_alu instid0(SALU_CYCLE_1) | instskip(SKIP_3) | instid1(VALU_DEP_1)
	s_or_b32 exec_lo, exec_lo, s39
	v_dual_mov_b32 v11, 0 :: v_dual_and_b32 v14, 14, v2
	s_mov_b32 s14, 0
	s_mov_b32 s39, exec_lo
                                        ; implicit-def: $vgpr18
                                        ; implicit-def: $vgpr22
	v_cndmask_b32_e32 v2, v21, v14, vcc_lo
	s_delay_alu instid0(VALU_DEP_1)
	v_cmpx_ne_u32_e32 0, v2
; %bb.153:                              ;   in Loop: Header=BB4_59 Depth=2
	v_cmp_lt_i32_e64 s13, 0, v23
	v_sub_nc_u32_e32 v14, v21, v14
	s_mov_b32 s14, exec_lo
	s_delay_alu instid0(VALU_DEP_2) | instskip(NEXT) | instid1(VALU_DEP_1)
	v_cndmask_b32_e64 v11, 0, v113, s13
	v_sub_nc_u32_e32 v11, v11, v23
	s_delay_alu instid0(VALU_DEP_1) | instskip(NEXT) | instid1(VALU_DEP_1)
	v_lshl_add_u32 v18, v11, 5, v19
	v_ashrrev_i32_e32 v11, 31, v18
	s_delay_alu instid0(VALU_DEP_1) | instskip(NEXT) | instid1(VALU_DEP_1)
	v_lshrrev_b32_e32 v11, 27, v11
	v_dual_cndmask_b32 v14, 0, v14 :: v_dual_add_nc_u32 v15, v18, v11
	s_delay_alu instid0(VALU_DEP_1) | instskip(NEXT) | instid1(VALU_DEP_2)
	v_add3_u32 v11, v17, v16, v14
	v_ashrrev_i32_e32 v22, 5, v15
; %bb.154:                              ;   in Loop: Header=BB4_59 Depth=2
	s_or_b32 exec_lo, exec_lo, s39
	s_delay_alu instid0(SALU_CYCLE_1)
	s_and_b32 s13, s14, exec_lo
.LBB4_155:                              ;   in Loop: Header=BB4_59 Depth=2
	s_or_b32 exec_lo, exec_lo, s38
.LBB4_156:                              ;   in Loop: Header=BB4_59 Depth=2
	s_and_saveexec_b32 s14, s13
	s_cbranch_execz .LBB4_168
; %bb.157:                              ;   in Loop: Header=BB4_59 Depth=2
	v_ashrrev_i32_e32 v14, 31, v2
	s_mov_b32 s13, exec_lo
	s_delay_alu instid0(VALU_DEP_1) | instskip(NEXT) | instid1(VALU_DEP_1)
	v_lshrrev_b32_e32 v14, 23, v14
	v_add_nc_u32_e32 v14, v2, v14
	s_delay_alu instid0(VALU_DEP_1) | instskip(NEXT) | instid1(VALU_DEP_1)
	v_ashrrev_i32_e32 v21, 9, v14
	v_sub_nc_u32_e32 v19, v21, v22
	s_delay_alu instid0(VALU_DEP_1)
	v_cmpx_lt_i32_e32 0, v19
	s_cbranch_execz .LBB4_162
; %bb.158:                              ;   in Loop: Header=BB4_59 Depth=2
	s_cbranch_execnz .LBB4_2732
; %bb.159:                              ;   in Loop: Header=BB4_59 Depth=2
	v_ashrrev_i32_e32 v14, 31, v18
	s_mov_b32 s38, 0
	s_delay_alu instid0(VALU_DEP_1) | instskip(NEXT) | instid1(VALU_DEP_1)
	v_lshrrev_b32_e32 v14, 27, v14
	v_add_nc_u32_e32 v14, v18, v14
	s_delay_alu instid0(VALU_DEP_1) | instskip(SKIP_3) | instid1(VALU_DEP_1)
	v_and_b32_e32 v16, 0x7fffffe0, v14
	ds_load_b64 v[14:15], v0
	v_lshlrev_b32_e32 v17, 9, v22
	v_sub_nc_u32_e32 v16, v18, v16
	v_lshlrev_b32_e32 v16, 1, v16
	s_delay_alu instid0(VALU_DEP_1) | instskip(NEXT) | instid1(VALU_DEP_1)
	v_add3_u32 v22, v16, v11, v17
	v_ashrrev_i32_e32 v23, 31, v22
	s_waitcnt lgkmcnt(0)
	v_dual_mov_b32 v17, v15 :: v_dual_mov_b32 v16, v14
.LBB4_160:                              ;   Parent Loop BB4_51 Depth=1
                                        ;     Parent Loop BB4_59 Depth=2
                                        ; =>    This Inner Loop Header: Depth=3
	s_delay_alu instid0(VALU_DEP_1) | instskip(NEXT) | instid1(VALU_DEP_2)
	v_add_co_u32 v70, vcc_lo, v22, v16
	v_add_co_ci_u32_e32 v71, vcc_lo, v23, v17, vcc_lo
	v_sub_nc_u32_e32 v19, v19, v113
	s_clause 0x7
	flat_load_u16 v80, v[70:71] slc dlc
	flat_load_u16 v81, v[70:71] offset:64 slc dlc
	flat_load_u16 v82, v[70:71] offset:128 slc dlc
	;; [unrolled: 1-line block ×7, first 2 shown]
	v_add_co_u32 v70, vcc_lo, v22, v14
	v_add_co_ci_u32_e32 v71, vcc_lo, v23, v15, vcc_lo
	v_add_co_u32 v16, vcc_lo, v16, v131
	v_add_co_ci_u32_e32 v17, vcc_lo, v17, v132, vcc_lo
	v_add_co_u32 v14, vcc_lo, v14, v131
	v_add_co_ci_u32_e32 v15, vcc_lo, v15, v132, vcc_lo
	v_cmp_gt_i32_e32 vcc_lo, 1, v19
	s_waitcnt vmcnt(7) lgkmcnt(7)
	flat_store_b16 v[70:71], v80 glc slc dlc
	s_waitcnt vmcnt(6) lgkmcnt(7)
	flat_store_b16 v[70:71], v81 offset:64 glc slc dlc
	s_waitcnt vmcnt(5) lgkmcnt(7)
	flat_store_b16 v[70:71], v82 offset:128 glc slc dlc
	;; [unrolled: 2-line block ×7, first 2 shown]
	s_or_b32 s38, vcc_lo, s38
	s_delay_alu instid0(SALU_CYCLE_1)
	s_and_not1_b32 exec_lo, exec_lo, s38
	s_cbranch_execnz .LBB4_160
; %bb.161:                              ;   in Loop: Header=BB4_59 Depth=2
	s_or_b32 exec_lo, exec_lo, s38
.LBB4_162:                              ;   in Loop: Header=BB4_59 Depth=2
	s_delay_alu instid0(SALU_CYCLE_1) | instskip(SKIP_2) | instid1(VALU_DEP_1)
	s_or_b32 exec_lo, exec_lo, s13
	v_lshlrev_b32_e32 v14, 9, v21
	s_mov_b32 s38, exec_lo
	v_cmpx_ne_u32_e64 v2, v14
	s_cbranch_execz .LBB4_167
; %bb.163:                              ;   in Loop: Header=BB4_59 Depth=2
	v_ashrrev_i32_e32 v15, 31, v18
	v_lshlrev_b32_e32 v16, 5, v19
	s_delay_alu instid0(VALU_DEP_2) | instskip(NEXT) | instid1(VALU_DEP_1)
	v_lshrrev_b32_e32 v15, 27, v15
	v_add_nc_u32_e32 v15, v18, v15
	s_delay_alu instid0(VALU_DEP_1) | instskip(NEXT) | instid1(VALU_DEP_1)
	v_and_b32_e32 v15, 0xffffffe0, v15
	v_sub_nc_u32_e32 v15, v18, v15
	s_delay_alu instid0(VALU_DEP_1) | instskip(NEXT) | instid1(VALU_DEP_1)
	v_sub_nc_u32_e32 v15, v15, v16
	v_ashrrev_i32_e32 v16, 31, v15
	s_delay_alu instid0(VALU_DEP_1) | instskip(NEXT) | instid1(VALU_DEP_1)
	v_lshrrev_b32_e32 v16, 27, v16
	v_add_nc_u32_e32 v16, v15, v16
	s_delay_alu instid0(VALU_DEP_1) | instskip(SKIP_1) | instid1(VALU_DEP_2)
	v_and_b32_e32 v17, 0x7fffffe0, v16
	v_lshlrev_b32_e32 v16, 1, v16
	v_sub_nc_u32_e32 v15, v15, v17
	s_delay_alu instid0(VALU_DEP_2) | instskip(NEXT) | instid1(VALU_DEP_2)
	v_and_b32_e32 v16, 0xffffffc0, v16
	v_lshlrev_b32_e32 v15, 1, v15
	s_delay_alu instid0(VALU_DEP_1) | instskip(NEXT) | instid1(VALU_DEP_1)
	v_add3_u32 v16, v16, v15, v14
	v_sub_nc_u32_e32 v2, v2, v16
	s_delay_alu instid0(VALU_DEP_1)
	v_cmp_lt_i32_e32 vcc_lo, 1, v2
	s_and_b32 exec_lo, exec_lo, vcc_lo
	s_cbranch_execz .LBB4_167
; %bb.164:                              ;   in Loop: Header=BB4_59 Depth=2
	s_cbranch_execnz .LBB4_2796
; %bb.165:                              ;   in Loop: Header=BB4_59 Depth=2
	ds_load_b64 v[14:15], v0
	v_add_nc_u32_e32 v11, v16, v11
	s_mov_b32 s39, 0
	s_delay_alu instid0(VALU_DEP_1)
	v_ashrrev_i32_e32 v16, 31, v11
.LBB4_166:                              ;   Parent Loop BB4_51 Depth=1
                                        ;     Parent Loop BB4_59 Depth=2
                                        ; =>    This Inner Loop Header: Depth=3
	s_waitcnt lgkmcnt(0)
	v_add_co_u32 v17, vcc_lo, v14, v11
	s_delay_alu instid0(VALU_DEP_2)
	v_add_co_ci_u32_e32 v18, vcc_lo, v15, v16, vcc_lo
	v_sub_nc_u32_e32 v2, v2, v118
	v_add_co_u32 v11, s13, v11, v134
	flat_load_u16 v19, v[17:18] slc dlc
	v_add_co_ci_u32_e64 v16, s13, v16, v135, s13
	v_cmp_gt_i32_e32 vcc_lo, 2, v2
	s_or_b32 s39, vcc_lo, s39
	s_waitcnt vmcnt(0) lgkmcnt(0)
	flat_store_b16 v[17:18], v19 glc slc dlc
	s_and_not1_b32 exec_lo, exec_lo, s39
	s_cbranch_execnz .LBB4_166
.LBB4_167:                              ;   in Loop: Header=BB4_59 Depth=2
	s_or_b32 exec_lo, exec_lo, s38
.LBB4_168:                              ;   in Loop: Header=BB4_59 Depth=2
	s_delay_alu instid0(SALU_CYCLE_1)
	s_or_b32 exec_lo, exec_lo, s14
	s_mov_b32 s14, s37
.LBB4_169:                              ;   in Loop: Header=BB4_59 Depth=2
	s_and_saveexec_b32 s13, s3
	s_cbranch_execz .LBB4_191
; %bb.170:                              ;   in Loop: Header=BB4_59 Depth=2
	s_and_saveexec_b32 vcc_lo, s4
	s_delay_alu instid0(SALU_CYCLE_1)
	s_xor_b32 s37, exec_lo, vcc_lo
	s_cbranch_execz .LBB4_188
; %bb.171:                              ;   in Loop: Header=BB4_59 Depth=2
	s_and_saveexec_b32 s38, s1
	s_cbranch_execz .LBB4_187
; %bb.172:                              ;   in Loop: Header=BB4_59 Depth=2
	s_mov_b32 s40, exec_lo
	s_mov_b32 s39, exec_lo
	v_mbcnt_lo_u32_b32 v2, s40, 0
	s_waitcnt lgkmcnt(0)
	s_waitcnt_vscnt null, 0x0
	buffer_gl1_inv
	buffer_gl0_inv
	v_cmpx_eq_u32_e32 0, v2
	s_cbranch_execz .LBB4_174
; %bb.173:                              ;   in Loop: Header=BB4_59 Depth=2
	s_bcnt1_i32_b32 vcc_lo, s40
	s_delay_alu instid0(SALU_CYCLE_1)
	v_mov_b32_e32 v2, vcc_lo
	ds_add_u64 v0, v[2:3]
	s_cbranch_execnz .LBB4_2770
.LBB4_174:                              ;   in Loop: Header=BB4_59 Depth=2
	s_or_b32 exec_lo, exec_lo, s39
	s_cbranch_execnz .LBB4_2746
; %bb.175:                              ;   in Loop: Header=BB4_59 Depth=2
	ds_load_b64 v[14:15], v0
	v_add_co_u32 v48, vcc_lo, v48, v113
	v_add_co_ci_u32_e32 v49, vcc_lo, 0, v49, vcc_lo
	s_mov_b32 s39, exec_lo
	s_waitcnt lgkmcnt(0)
	s_delay_alu instid0(VALU_DEP_1)
	v_cmpx_lt_u64_e64 v[14:15], v[48:49]
	s_cbranch_execz .LBB4_186
; %bb.176:                              ;   in Loop: Header=BB4_59 Depth=2
	s_mov_b32 s40, 0
	s_mov_b32 s43, 0
                                        ; implicit-def: $sgpr41
                                        ; implicit-def: $sgpr42
	s_branch .LBB4_178
.LBB4_177:                              ;   in Loop: Header=BB4_178 Depth=3
	s_or_b32 exec_lo, exec_lo, s45
	s_delay_alu instid0(SALU_CYCLE_1) | instskip(NEXT) | instid1(SALU_CYCLE_1)
	s_and_b32 vcc_lo, exec_lo, vcc_lo
	s_or_b32 s40, vcc_lo, s40
	s_and_not1_b32 vcc_lo, s41, exec_lo
	s_and_b32 s41, s42, exec_lo
	s_delay_alu instid0(SALU_CYCLE_1)
	s_or_b32 s41, vcc_lo, s41
	s_and_not1_b32 exec_lo, exec_lo, s40
	s_cbranch_execz .LBB4_184
.LBB4_178:                              ;   Parent Loop BB4_51 Depth=1
                                        ;     Parent Loop BB4_59 Depth=2
                                        ; =>    This Inner Loop Header: Depth=3
	s_add_i32 s43, s43, 1
                                        ; implicit-def: $sgpr45
	s_delay_alu instid0(SALU_CYCLE_1) | instskip(SKIP_1) | instid1(SALU_CYCLE_1)
	s_cmpk_lg_i32 s43, 0x2710
	s_cselect_b32 s44, -1, 0
	s_and_b32 vcc_lo, exec_lo, s44
	s_cbranch_vccz .LBB4_182
.LBB4_179:                              ;   in Loop: Header=BB4_178 Depth=3
	s_and_not1_b32 s42, s42, exec_lo
	s_and_b32 s45, s45, exec_lo
	s_mov_b32 vcc_lo, -1
	s_or_b32 s42, s42, s45
	s_and_saveexec_b32 s45, s44
	s_cbranch_execz .LBB4_177
; %bb.180:                              ;   in Loop: Header=BB4_178 Depth=3
	s_sleep 1
	s_cbranch_execnz .LBB4_2822
; %bb.181:                              ;   in Loop: Header=BB4_178 Depth=3
	ds_load_b64 v[14:15], v0
	s_and_not1_b32 s42, s42, exec_lo
	s_waitcnt lgkmcnt(0)
	v_cmp_ge_u64_e32 vcc_lo, v[14:15], v[48:49]
	s_or_not1_b32 vcc_lo, vcc_lo, exec_lo
	s_branch .LBB4_177
.LBB4_182:                              ;   in Loop: Header=BB4_178 Depth=3
	s_cbranch_execnz .LBB4_2832
; %bb.183:                              ;   in Loop: Header=BB4_178 Depth=3
	ds_load_b64 v[14:15], v0
	s_and_not1_b32 s44, s44, exec_lo
	s_mov_b32 s43, 0
	s_mov_b32 s45, -1
	s_waitcnt lgkmcnt(0)
	flat_load_b32 v2, v[14:15] glc
	s_waitcnt vmcnt(0) lgkmcnt(0)
	buffer_gl1_inv
	buffer_gl0_inv
	v_cmp_eq_u32_e32 vcc_lo, 0, v2
	s_and_b32 vcc_lo, vcc_lo, exec_lo
	s_delay_alu instid0(SALU_CYCLE_1)
	s_or_b32 s44, s44, vcc_lo
	s_branch .LBB4_179
.LBB4_184:                              ;   in Loop: Header=BB4_59 Depth=2
	s_or_b32 exec_lo, exec_lo, s40
	s_and_saveexec_b32 vcc_lo, s41
	s_delay_alu instid0(SALU_CYCLE_1)
	s_xor_b32 vcc_lo, exec_lo, vcc_lo
	s_cbranch_execz .LBB4_186
; %bb.185:                              ;   in Loop: Header=BB4_59 Depth=2
	ds_store_b32 v0, v148
	s_cbranch_execnz .LBB4_3046
.LBB4_186:                              ;   in Loop: Header=BB4_59 Depth=2
	s_or_b32 exec_lo, exec_lo, s39
	;;#ASMSTART
	s_wakeup
	;;#ASMEND
.LBB4_187:                              ;   in Loop: Header=BB4_59 Depth=2
	s_or_b32 exec_lo, exec_lo, s38
.LBB4_188:                              ;   in Loop: Header=BB4_59 Depth=2
	s_and_not1_saveexec_b32 vcc_lo, s37
	s_cbranch_execz .LBB4_190
; %bb.189:                              ;   in Loop: Header=BB4_59 Depth=2
	s_waitcnt lgkmcnt(0)
	s_waitcnt_vscnt null, 0x0
	buffer_gl1_inv
	buffer_gl0_inv
	s_barrier
.LBB4_190:                              ;   in Loop: Header=BB4_59 Depth=2
	s_or_b32 exec_lo, exec_lo, vcc_lo
.LBB4_191:                              ;   in Loop: Header=BB4_59 Depth=2
	s_delay_alu instid0(SALU_CYCLE_1) | instskip(SKIP_1) | instid1(SALU_CYCLE_1)
	s_or_b32 exec_lo, exec_lo, s13
                                        ; implicit-def: $vgpr2
	s_and_saveexec_b32 s13, s7
	s_xor_b32 s37, exec_lo, s13
	s_cbranch_execz .LBB4_195
; %bb.192:                              ;   in Loop: Header=BB4_59 Depth=2
	v_and_b32_e32 v2, 16, v30
	v_cmp_lt_i32_e32 vcc_lo, 0, v9
	s_delay_alu instid0(VALU_DEP_2) | instskip(SKIP_1) | instid1(VALU_DEP_2)
	v_cmp_ne_u32_e64 s13, 0, v2
	v_and_b32_e32 v2, 16, v30
	s_and_b32 vcc_lo, s13, vcc_lo
	s_delay_alu instid0(SALU_CYCLE_1)
	s_and_saveexec_b32 s13, vcc_lo
	s_cbranch_execz .LBB4_194
; %bb.193:                              ;   in Loop: Header=BB4_59 Depth=2
	v_mov_b32_e32 v2, 1
	s_waitcnt lgkmcnt(0)
	s_waitcnt_vscnt null, 0x0
	buffer_gl1_inv
	buffer_gl0_inv
.LBB4_194:                              ;   in Loop: Header=BB4_59 Depth=2
	s_or_b32 exec_lo, exec_lo, s13
.LBB4_195:                              ;   in Loop: Header=BB4_59 Depth=2
	s_and_not1_saveexec_b32 s13, s37
	s_cbranch_execz .LBB4_217
; %bb.196:                              ;   in Loop: Header=BB4_59 Depth=2
	s_and_saveexec_b32 vcc_lo, s4
	s_delay_alu instid0(SALU_CYCLE_1)
	s_xor_b32 s37, exec_lo, vcc_lo
	s_cbranch_execz .LBB4_214
; %bb.197:                              ;   in Loop: Header=BB4_59 Depth=2
	s_and_saveexec_b32 s38, s1
	s_cbranch_execz .LBB4_213
; %bb.198:                              ;   in Loop: Header=BB4_59 Depth=2
	s_mov_b32 s40, exec_lo
	s_mov_b32 s39, exec_lo
	v_mbcnt_lo_u32_b32 v2, s40, 0
	;;#ASMSTART
	s_waitcnt lgkmcnt(0) vmcnt(0)
	;;#ASMEND
	s_delay_alu instid0(VALU_DEP_1)
	v_cmpx_eq_u32_e32 0, v2
	s_cbranch_execz .LBB4_200
; %bb.199:                              ;   in Loop: Header=BB4_59 Depth=2
	s_bcnt1_i32_b32 vcc_lo, s40
	s_delay_alu instid0(SALU_CYCLE_1)
	v_mov_b32_e32 v2, vcc_lo
	ds_add_u64 v0, v[2:3]
	s_cbranch_execnz .LBB4_2778
.LBB4_200:                              ;   in Loop: Header=BB4_59 Depth=2
	s_or_b32 exec_lo, exec_lo, s39
	s_cbranch_execnz .LBB4_2752
; %bb.201:                              ;   in Loop: Header=BB4_59 Depth=2
	ds_load_b64 v[14:15], v0
	v_add_co_u32 v48, vcc_lo, v48, v113
	v_add_co_ci_u32_e32 v49, vcc_lo, 0, v49, vcc_lo
	s_mov_b32 s39, exec_lo
	s_waitcnt lgkmcnt(0)
	s_delay_alu instid0(VALU_DEP_1)
	v_cmpx_lt_u64_e64 v[14:15], v[48:49]
	s_cbranch_execz .LBB4_212
; %bb.202:                              ;   in Loop: Header=BB4_59 Depth=2
	s_mov_b32 s40, 0
	s_mov_b32 s43, 0
                                        ; implicit-def: $sgpr41
                                        ; implicit-def: $sgpr42
	s_branch .LBB4_204
.LBB4_203:                              ;   in Loop: Header=BB4_204 Depth=3
	s_or_b32 exec_lo, exec_lo, s45
	s_delay_alu instid0(SALU_CYCLE_1) | instskip(NEXT) | instid1(SALU_CYCLE_1)
	s_and_b32 vcc_lo, exec_lo, vcc_lo
	s_or_b32 s40, vcc_lo, s40
	s_and_not1_b32 vcc_lo, s41, exec_lo
	s_and_b32 s41, s42, exec_lo
	s_delay_alu instid0(SALU_CYCLE_1)
	s_or_b32 s41, vcc_lo, s41
	s_and_not1_b32 exec_lo, exec_lo, s40
	s_cbranch_execz .LBB4_210
.LBB4_204:                              ;   Parent Loop BB4_51 Depth=1
                                        ;     Parent Loop BB4_59 Depth=2
                                        ; =>    This Inner Loop Header: Depth=3
	s_add_i32 s43, s43, 1
                                        ; implicit-def: $sgpr45
	s_delay_alu instid0(SALU_CYCLE_1) | instskip(SKIP_1) | instid1(SALU_CYCLE_1)
	s_cmpk_lg_i32 s43, 0x2710
	s_cselect_b32 s44, -1, 0
	s_and_b32 vcc_lo, exec_lo, s44
	s_cbranch_vccz .LBB4_208
.LBB4_205:                              ;   in Loop: Header=BB4_204 Depth=3
	s_and_not1_b32 s42, s42, exec_lo
	s_and_b32 s45, s45, exec_lo
	s_mov_b32 vcc_lo, -1
	s_or_b32 s42, s42, s45
	s_and_saveexec_b32 s45, s44
	s_cbranch_execz .LBB4_203
; %bb.206:                              ;   in Loop: Header=BB4_204 Depth=3
	s_sleep 1
	s_cbranch_execnz .LBB4_2826
; %bb.207:                              ;   in Loop: Header=BB4_204 Depth=3
	ds_load_b64 v[14:15], v0
	s_and_not1_b32 s42, s42, exec_lo
	s_waitcnt lgkmcnt(0)
	v_cmp_ge_u64_e32 vcc_lo, v[14:15], v[48:49]
	s_or_not1_b32 vcc_lo, vcc_lo, exec_lo
	s_branch .LBB4_203
.LBB4_208:                              ;   in Loop: Header=BB4_204 Depth=3
	s_cbranch_execnz .LBB4_2844
; %bb.209:                              ;   in Loop: Header=BB4_204 Depth=3
	ds_load_b64 v[14:15], v0
	s_and_not1_b32 s44, s44, exec_lo
	s_mov_b32 s43, 0
	s_mov_b32 s45, -1
	s_waitcnt lgkmcnt(0)
	s_waitcnt_vscnt null, 0x0
	flat_load_b32 v2, v[14:15] glc
	s_waitcnt vmcnt(0) lgkmcnt(0)
	buffer_gl1_inv
	buffer_gl0_inv
	v_cmp_eq_u32_e32 vcc_lo, 0, v2
	s_and_b32 vcc_lo, vcc_lo, exec_lo
	s_delay_alu instid0(SALU_CYCLE_1)
	s_or_b32 s44, s44, vcc_lo
	s_branch .LBB4_205
.LBB4_210:                              ;   in Loop: Header=BB4_59 Depth=2
	s_or_b32 exec_lo, exec_lo, s40
	s_and_saveexec_b32 vcc_lo, s41
	s_delay_alu instid0(SALU_CYCLE_1)
	s_xor_b32 vcc_lo, exec_lo, vcc_lo
	s_cbranch_execz .LBB4_212
; %bb.211:                              ;   in Loop: Header=BB4_59 Depth=2
	ds_store_b32 v0, v148
	s_cbranch_execnz .LBB4_3050
.LBB4_212:                              ;   in Loop: Header=BB4_59 Depth=2
	s_or_b32 exec_lo, exec_lo, s39
	;;#ASMSTART
	s_wakeup
	;;#ASMEND
.LBB4_213:                              ;   in Loop: Header=BB4_59 Depth=2
	s_or_b32 exec_lo, exec_lo, s38
.LBB4_214:                              ;   in Loop: Header=BB4_59 Depth=2
	s_and_not1_saveexec_b32 vcc_lo, s37
	s_cbranch_execz .LBB4_216
; %bb.215:                              ;   in Loop: Header=BB4_59 Depth=2
	;;#ASMSTART
	s_waitcnt lgkmcnt(0) vmcnt(0)
	;;#ASMEND
	s_waitcnt lgkmcnt(0)
	s_waitcnt_vscnt null, 0x0
	s_barrier
.LBB4_216:                              ;   in Loop: Header=BB4_59 Depth=2
	s_or_b32 exec_lo, exec_lo, vcc_lo
	v_and_b32_e32 v2, 16, v30
.LBB4_217:                              ;   in Loop: Header=BB4_59 Depth=2
	s_or_b32 exec_lo, exec_lo, s13
	s_delay_alu instid0(SALU_CYCLE_1) | instskip(NEXT) | instid1(VALU_DEP_1)
	s_mov_b32 s13, exec_lo
	v_cmpx_ne_u32_e32 0, v2
	s_cbranch_execz .LBB4_221
; %bb.218:                              ;   in Loop: Header=BB4_59 Depth=2
	s_and_saveexec_b32 vcc_lo, s11
	s_cbranch_execz .LBB4_220
; %bb.219:                              ;   in Loop: Header=BB4_59 Depth=2
	s_waitcnt lgkmcnt(0)
	s_waitcnt_vscnt null, 0x0
	flat_store_b32 v[38:39], v148
.LBB4_220:                              ;   in Loop: Header=BB4_59 Depth=2
	s_or_b32 exec_lo, exec_lo, vcc_lo
	v_add_co_u32 v34, vcc_lo, v34, 2
	v_add_co_ci_u32_e32 v35, vcc_lo, 0, v35, vcc_lo
	s_waitcnt lgkmcnt(0)
	s_waitcnt_vscnt null, 0x0
	flat_store_b64 v[32:33], v[34:35]
.LBB4_221:                              ;   in Loop: Header=BB4_59 Depth=2
	s_or_b32 exec_lo, exec_lo, s13
	v_add_nc_u32_e32 v10, v8, v10
	s_xor_b32 s13, s30, -1
	v_mov_b32_e32 v2, s36
	s_mov_b32 s30, 0
	s_mov_b32 s36, 2
	v_cmp_ge_i32_e32 vcc_lo, v10, v20
	s_or_b32 s13, s13, vcc_lo
	s_delay_alu instid0(SALU_CYCLE_1) | instskip(NEXT) | instid1(SALU_CYCLE_1)
	s_and_b32 s13, exec_lo, s13
	s_or_b32 s17, s13, s17
	s_delay_alu instid0(SALU_CYCLE_1)
	s_and_not1_b32 exec_lo, exec_lo, s17
	s_cbranch_execnz .LBB4_59
; %bb.222:                              ;   in Loop: Header=BB4_51 Depth=1
	s_or_b32 exec_lo, exec_lo, s17
.LBB4_223:                              ;   in Loop: Header=BB4_51 Depth=1
	s_delay_alu instid0(SALU_CYCLE_1) | instskip(NEXT) | instid1(SALU_CYCLE_1)
	s_or_b32 exec_lo, exec_lo, s15
	s_mov_b32 s15, exec_lo
	v_cmpx_gt_i32_e32 2, v2
	s_cbranch_execz .LBB4_306
; %bb.224:                              ;   in Loop: Header=BB4_51 Depth=1
	v_cmp_eq_u32_e64 s13, 0, v2
	s_mov_b32 s17, 0
.LBB4_225:                              ;   Parent Loop BB4_51 Depth=1
                                        ; =>  This Loop Header: Depth=2
                                        ;       Child Loop BB4_231 Depth 3
                                        ;       Child Loop BB4_260 Depth 3
	;; [unrolled: 1-line block ×3, first 2 shown]
	v_and_b32_e32 v2, 8, v30
	s_mov_b32 s36, -1
	s_mov_b32 s30, exec_lo
	s_delay_alu instid0(VALU_DEP_1)
	v_cmpx_ne_u32_e32 0, v2
	s_cbranch_execz .LBB4_239
; %bb.226:                              ;   in Loop: Header=BB4_225 Depth=2
	v_add_co_u32 v13, vcc_lo, v50, 8
	v_add_co_ci_u32_e32 v14, vcc_lo, 0, v51, vcc_lo
	v_add_co_u32 v11, vcc_lo, v34, 2
	v_add_co_ci_u32_e32 v12, vcc_lo, 0, v35, vcc_lo
	v_mov_b32_e32 v2, 1
	s_mov_b32 s36, exec_lo
	s_delay_alu instid0(VALU_DEP_2)
	v_cmpx_lt_u64_e64 v[13:14], v[11:12]
	s_cbranch_execz .LBB4_238
; %bb.227:                              ;   in Loop: Header=BB4_225 Depth=2
	v_mov_b32_e32 v2, 0
	s_mov_b32 s37, 0
                                        ; implicit-def: $sgpr38
	s_branch .LBB4_231
.LBB4_228:                              ;   in Loop: Header=BB4_231 Depth=3
	s_or_b32 exec_lo, exec_lo, s42
	v_mov_b32_e32 v9, 0
	s_or_not1_b32 s41, s41, exec_lo
.LBB4_229:                              ;   in Loop: Header=BB4_231 Depth=3
	s_or_b32 exec_lo, exec_lo, s40
	s_delay_alu instid0(VALU_DEP_1) | instskip(SKIP_2) | instid1(SALU_CYCLE_1)
	v_mov_b32_e32 v2, v9
	s_and_not1_b32 vcc_lo, s38, exec_lo
	s_and_b32 s38, s41, exec_lo
	s_or_b32 s38, vcc_lo, s38
.LBB4_230:                              ;   in Loop: Header=BB4_231 Depth=3
	s_or_b32 exec_lo, exec_lo, s39
	s_waitcnt vmcnt(0) lgkmcnt(0)
	v_add_co_u32 v13, vcc_lo, v50, 8
	v_add_co_ci_u32_e32 v14, vcc_lo, 0, v51, vcc_lo
	s_xor_b32 s39, s38, -1
	s_delay_alu instid0(VALU_DEP_1) | instskip(SKIP_1) | instid1(SALU_CYCLE_1)
	v_cmp_ge_u64_e32 vcc_lo, v[13:14], v[11:12]
	s_or_b32 vcc_lo, s39, vcc_lo
	s_and_b32 vcc_lo, exec_lo, vcc_lo
	s_delay_alu instid0(SALU_CYCLE_1) | instskip(NEXT) | instid1(SALU_CYCLE_1)
	s_or_b32 s37, vcc_lo, s37
	s_and_not1_b32 exec_lo, exec_lo, s37
	s_cbranch_execz .LBB4_237
.LBB4_231:                              ;   Parent Loop BB4_51 Depth=1
                                        ;     Parent Loop BB4_225 Depth=2
                                        ; =>    This Inner Loop Header: Depth=3
	s_sleep 1
	flat_load_b64 v[50:51], v[32:33] glc
	v_and_b32_e32 v9, 64, v30
	s_and_not1_b32 s38, s38, exec_lo
	s_mov_b32 s39, exec_lo
	s_delay_alu instid0(VALU_DEP_1)
	v_cmpx_eq_u32_e32 0, v9
	s_cbranch_execz .LBB4_230
; %bb.232:                              ;   in Loop: Header=BB4_231 Depth=3
	v_add_nc_u32_e32 v9, 1, v2
	s_mov_b32 s41, -1
	s_mov_b32 s40, exec_lo
	v_cmpx_lt_i32_e32 0x270e, v2
	s_cbranch_execz .LBB4_229
; %bb.233:                              ;   in Loop: Header=BB4_231 Depth=3
	s_cbranch_execnz .LBB4_2651
; %bb.234:                              ;   in Loop: Header=BB4_231 Depth=3
	ds_load_b64 v[13:14], v0
	s_mov_b32 s42, exec_lo
	s_waitcnt vmcnt(0) lgkmcnt(0)
	s_waitcnt_vscnt null, 0x0
	flat_load_b32 v2, v[13:14] glc
	s_waitcnt vmcnt(0) lgkmcnt(0)
	buffer_gl1_inv
	buffer_gl0_inv
	v_cmpx_ne_u32_e32 0, v2
	s_cbranch_execz .LBB4_228
; %bb.235:                              ;   in Loop: Header=BB4_231 Depth=3
	ds_store_b32 v0, v2
	s_cbranch_execnz .LBB4_2663
; %bb.236:                              ;   in Loop: Header=BB4_231 Depth=3
	v_or_b32_e32 v30, 64, v30
	s_xor_b32 s41, exec_lo, -1
	s_branch .LBB4_228
.LBB4_237:                              ;   in Loop: Header=BB4_225 Depth=2
	s_or_b32 exec_lo, exec_lo, s37
	v_and_b32_e32 v2, 8, v30
.LBB4_238:                              ;   in Loop: Header=BB4_225 Depth=2
	s_or_b32 exec_lo, exec_lo, s36
	s_delay_alu instid0(VALU_DEP_1)
	v_cmp_eq_u32_e32 vcc_lo, 0, v2
	;;#ASMSTART
	s_wakeup
	;;#ASMEND
	s_or_not1_b32 s36, vcc_lo, exec_lo
.LBB4_239:                              ;   in Loop: Header=BB4_225 Depth=2
	s_or_b32 exec_lo, exec_lo, s30
	v_sub_nc_u32_e32 v2, v20, v10
	s_xor_b32 s13, s13, -1
	s_delay_alu instid0(SALU_CYCLE_1) | instskip(NEXT) | instid1(SALU_CYCLE_1)
	s_and_b32 s13, exec_lo, s13
	s_or_b32 s17, s13, s17
	s_delay_alu instid0(VALU_DEP_1) | instskip(SKIP_1) | instid1(SALU_CYCLE_1)
	v_min_i32_e32 v8, v8, v2
	s_xor_b32 vcc_lo, s36, -1
	s_and_saveexec_b32 s13, vcc_lo
	s_cbranch_execz .LBB4_247
; %bb.240:                              ;   in Loop: Header=BB4_225 Depth=2
	v_and_b32_e32 v2, 0x100, v30
	s_mov_b32 s36, 0
	s_mov_b32 s30, exec_lo
                                        ; implicit-def: $vgpr13_vgpr14
	s_delay_alu instid0(VALU_DEP_1)
	v_cmpx_ne_u32_e32 0, v2
	s_xor_b32 s30, exec_lo, s30
                                        ; implicit-def: $vgpr11_vgpr12
	s_cbranch_execnz .LBB4_255
; %bb.241:                              ;   in Loop: Header=BB4_225 Depth=2
	s_and_not1_saveexec_b32 vcc_lo, s30
	s_cbranch_execnz .LBB4_258
.LBB4_242:                              ;   in Loop: Header=BB4_225 Depth=2
	s_or_b32 exec_lo, exec_lo, vcc_lo
	s_and_saveexec_b32 vcc_lo, s36
.LBB4_243:                              ;   in Loop: Header=BB4_225 Depth=2
	v_mul_lo_u32 v2, v3, v101
	v_mul_lo_u32 v9, v11, v102
	v_mad_u64_u32 v[13:14], null, v11, v101, 0
	s_delay_alu instid0(VALU_DEP_1)
	v_add3_u32 v14, v14, v9, v2
.LBB4_244:                              ;   in Loop: Header=BB4_225 Depth=2
	s_or_b32 exec_lo, exec_lo, vcc_lo
	s_delay_alu instid0(VALU_DEP_1) | instskip(SKIP_2) | instid1(VALU_DEP_2)
	v_lshlrev_b64 v[11:12], 1, v[13:14]
	v_and_b32_e32 v2, 0x2000, v30
	s_mov_b32 s30, exec_lo
	v_add_co_u32 v11, vcc_lo, v36, v11
	s_delay_alu instid0(VALU_DEP_3)
	v_add_co_ci_u32_e32 v12, vcc_lo, v37, v12, vcc_lo
	ds_store_b64 v0, v[11:12] offset:784
	v_cmpx_ne_u32_e32 0, v2
	s_cbranch_execz .LBB4_246
; %bb.245:                              ;   in Loop: Header=BB4_225 Depth=2
	ds_load_b64 v[11:12], v0 offset:584
	s_waitcnt lgkmcnt(0)
	v_add_co_u32 v11, vcc_lo, v11, 1
	v_add_co_ci_u32_e32 v12, vcc_lo, 0, v12, vcc_lo
	ds_store_b64 v0, v[11:12] offset:584
.LBB4_246:                              ;   in Loop: Header=BB4_225 Depth=2
	s_or_b32 exec_lo, exec_lo, s30
	v_add_co_u32 v34, vcc_lo, v34, 2
	v_add_co_ci_u32_e32 v35, vcc_lo, 0, v35, vcc_lo
.LBB4_247:                              ;   in Loop: Header=BB4_225 Depth=2
	s_or_b32 exec_lo, exec_lo, s13
	s_and_saveexec_b32 s13, s3
	s_cbranch_execz .LBB4_273
; %bb.248:                              ;   in Loop: Header=BB4_225 Depth=2
	s_and_saveexec_b32 vcc_lo, s4
	s_delay_alu instid0(SALU_CYCLE_1)
	s_xor_b32 s30, exec_lo, vcc_lo
	s_cbranch_execz .LBB4_270
; %bb.249:                              ;   in Loop: Header=BB4_225 Depth=2
	s_and_saveexec_b32 s36, s1
	s_cbranch_execz .LBB4_269
; %bb.250:                              ;   in Loop: Header=BB4_225 Depth=2
	s_mov_b32 s38, exec_lo
	s_mov_b32 s37, exec_lo
	v_mbcnt_lo_u32_b32 v2, s38, 0
	s_waitcnt lgkmcnt(0)
	s_waitcnt_vscnt null, 0x0
	buffer_gl1_inv
	buffer_gl0_inv
	v_cmpx_eq_u32_e32 0, v2
	s_cbranch_execz .LBB4_252
; %bb.251:                              ;   in Loop: Header=BB4_225 Depth=2
	s_bcnt1_i32_b32 vcc_lo, s38
	s_delay_alu instid0(SALU_CYCLE_1)
	v_mov_b32_e32 v2, vcc_lo
	ds_add_u64 v0, v[2:3]
	s_cbranch_execnz .LBB4_2694
.LBB4_252:                              ;   in Loop: Header=BB4_225 Depth=2
	s_or_b32 exec_lo, exec_lo, s37
	s_cbranch_execnz .LBB4_2676
; %bb.253:                              ;   in Loop: Header=BB4_225 Depth=2
	ds_load_b64 v[11:12], v0
	v_add_co_u32 v48, vcc_lo, v48, v113
	v_add_co_ci_u32_e32 v49, vcc_lo, 0, v49, vcc_lo
	s_mov_b32 s37, exec_lo
	s_waitcnt lgkmcnt(0)
	s_delay_alu instid0(VALU_DEP_1)
	v_cmpx_lt_u64_e64 v[11:12], v[48:49]
	s_cbranch_execz .LBB4_268
; %bb.254:                              ;   in Loop: Header=BB4_225 Depth=2
	s_mov_b32 s38, 0
	s_mov_b32 s41, 0
                                        ; implicit-def: $sgpr39
                                        ; implicit-def: $sgpr40
	s_branch .LBB4_260
.LBB4_255:                              ;   in Loop: Header=BB4_225 Depth=2
	v_and_b32_e32 v11, 7, v34
	v_ashrrev_i32_e32 v9, 31, v8
	s_mov_b32 s36, -1
	s_mov_b32 s37, exec_lo
	s_delay_alu instid0(VALU_DEP_2) | instskip(NEXT) | instid1(VALU_DEP_2)
	v_mad_u64_u32 v[15:16], null, v11, 24, v[6:7]
	v_lshlrev_b64 v[12:13], 1, v[8:9]
	flat_load_b32 v2, v[15:16]
	flat_store_b64 v[15:16], v[12:13] offset:8
                                        ; implicit-def: $vgpr13_vgpr14
	s_waitcnt vmcnt(0) lgkmcnt(1)
	v_cmpx_eq_u32_e32 1, v2
	s_cbranch_execz .LBB4_257
; %bb.256:                              ;   in Loop: Header=BB4_225 Depth=2
	flat_load_b32 v11, v[15:16] offset:4 glc
	s_xor_b32 s36, exec_lo, -1
	s_waitcnt vmcnt(0) lgkmcnt(0)
	v_ashrrev_i32_e32 v12, 31, v11
	s_delay_alu instid0(VALU_DEP_1)
	v_lshrrev_b64 v[13:14], 1, v[11:12]
                                        ; implicit-def: $vgpr11_vgpr12
.LBB4_257:                              ;   in Loop: Header=BB4_225 Depth=2
	s_or_b32 exec_lo, exec_lo, s37
	s_delay_alu instid0(SALU_CYCLE_1)
	s_and_b32 s36, s36, exec_lo
	s_and_not1_saveexec_b32 vcc_lo, s30
	s_cbranch_execz .LBB4_242
.LBB4_258:                              ;   in Loop: Header=BB4_225 Depth=2
	v_and_b32_e32 v11, 7, v34
	s_or_b32 s36, s36, exec_lo
                                        ; implicit-def: $vgpr13_vgpr14
	s_or_b32 exec_lo, exec_lo, vcc_lo
	s_and_saveexec_b32 vcc_lo, s36
	s_cbranch_execnz .LBB4_243
	s_branch .LBB4_244
.LBB4_259:                              ;   in Loop: Header=BB4_260 Depth=3
	s_or_b32 exec_lo, exec_lo, s43
	s_delay_alu instid0(SALU_CYCLE_1) | instskip(NEXT) | instid1(SALU_CYCLE_1)
	s_and_b32 vcc_lo, exec_lo, vcc_lo
	s_or_b32 s38, vcc_lo, s38
	s_and_not1_b32 vcc_lo, s39, exec_lo
	s_and_b32 s39, s40, exec_lo
	s_delay_alu instid0(SALU_CYCLE_1)
	s_or_b32 s39, vcc_lo, s39
	s_and_not1_b32 exec_lo, exec_lo, s38
	s_cbranch_execz .LBB4_266
.LBB4_260:                              ;   Parent Loop BB4_51 Depth=1
                                        ;     Parent Loop BB4_225 Depth=2
                                        ; =>    This Inner Loop Header: Depth=3
	s_add_i32 s41, s41, 1
                                        ; implicit-def: $sgpr43
	s_delay_alu instid0(SALU_CYCLE_1) | instskip(SKIP_1) | instid1(SALU_CYCLE_1)
	s_cmpk_lg_i32 s41, 0x2710
	s_cselect_b32 s42, -1, 0
	s_and_b32 vcc_lo, exec_lo, s42
	s_cbranch_vccz .LBB4_264
.LBB4_261:                              ;   in Loop: Header=BB4_260 Depth=3
	s_and_not1_b32 s40, s40, exec_lo
	s_and_b32 s43, s43, exec_lo
	s_mov_b32 vcc_lo, -1
	s_or_b32 s40, s40, s43
	s_and_saveexec_b32 s43, s42
	s_cbranch_execz .LBB4_259
; %bb.262:                              ;   in Loop: Header=BB4_260 Depth=3
	s_sleep 1
	s_cbranch_execnz .LBB4_2724
; %bb.263:                              ;   in Loop: Header=BB4_260 Depth=3
	ds_load_b64 v[11:12], v0
	s_and_not1_b32 s40, s40, exec_lo
	s_waitcnt lgkmcnt(0)
	v_cmp_ge_u64_e32 vcc_lo, v[11:12], v[48:49]
	s_or_not1_b32 vcc_lo, vcc_lo, exec_lo
	s_branch .LBB4_259
.LBB4_264:                              ;   in Loop: Header=BB4_260 Depth=3
	s_cbranch_execnz .LBB4_2730
; %bb.265:                              ;   in Loop: Header=BB4_260 Depth=3
	ds_load_b64 v[11:12], v0
	s_and_not1_b32 s42, s42, exec_lo
	s_mov_b32 s41, 0
	s_mov_b32 s43, -1
	s_waitcnt lgkmcnt(0)
	flat_load_b32 v2, v[11:12] glc
	s_waitcnt vmcnt(0) lgkmcnt(0)
	buffer_gl1_inv
	buffer_gl0_inv
	v_cmp_eq_u32_e32 vcc_lo, 0, v2
	s_and_b32 vcc_lo, vcc_lo, exec_lo
	s_delay_alu instid0(SALU_CYCLE_1)
	s_or_b32 s42, s42, vcc_lo
	s_branch .LBB4_261
.LBB4_266:                              ;   in Loop: Header=BB4_225 Depth=2
	s_or_b32 exec_lo, exec_lo, s38
	s_and_saveexec_b32 vcc_lo, s39
	s_delay_alu instid0(SALU_CYCLE_1)
	s_xor_b32 vcc_lo, exec_lo, vcc_lo
	s_cbranch_execz .LBB4_268
; %bb.267:                              ;   in Loop: Header=BB4_225 Depth=2
	ds_store_b32 v0, v148
	s_cbranch_execnz .LBB4_2938
.LBB4_268:                              ;   in Loop: Header=BB4_225 Depth=2
	s_or_b32 exec_lo, exec_lo, s37
	;;#ASMSTART
	s_wakeup
	;;#ASMEND
.LBB4_269:                              ;   in Loop: Header=BB4_225 Depth=2
	s_or_b32 exec_lo, exec_lo, s36
.LBB4_270:                              ;   in Loop: Header=BB4_225 Depth=2
	s_and_not1_saveexec_b32 vcc_lo, s30
	s_cbranch_execz .LBB4_272
; %bb.271:                              ;   in Loop: Header=BB4_225 Depth=2
	s_waitcnt lgkmcnt(0)
	s_waitcnt_vscnt null, 0x0
	buffer_gl1_inv
	buffer_gl0_inv
	s_barrier
.LBB4_272:                              ;   in Loop: Header=BB4_225 Depth=2
	s_or_b32 exec_lo, exec_lo, vcc_lo
.LBB4_273:                              ;   in Loop: Header=BB4_225 Depth=2
	s_delay_alu instid0(SALU_CYCLE_1) | instskip(SKIP_1) | instid1(SALU_CYCLE_1)
	s_or_b32 exec_lo, exec_lo, s13
                                        ; implicit-def: $vgpr2
	s_and_saveexec_b32 s13, s7
	s_xor_b32 s30, exec_lo, s13
	s_cbranch_execz .LBB4_278
; %bb.274:                              ;   in Loop: Header=BB4_225 Depth=2
	s_cbranch_execnz .LBB4_2649
; %bb.275:                              ;   in Loop: Header=BB4_225 Depth=2
	ds_load_b32 v2, v0
	v_cmp_lt_i32_e32 vcc_lo, 0, v8
	s_waitcnt lgkmcnt(0)
	v_readfirstlane_b32 s13, v2
	v_and_b32_e32 v2, 16, v30
	s_delay_alu instid0(VALU_DEP_2) | instskip(NEXT) | instid1(VALU_DEP_1)
	s_cmp_eq_u32 s13, 0
	v_cmp_ne_u32_e64 s13, 0, v2
	s_cselect_b32 s36, -1, 0
	v_and_b32_e32 v2, 16, v30
	s_and_b32 vcc_lo, vcc_lo, s36
	s_delay_alu instid0(VALU_DEP_2) | instid1(SALU_CYCLE_1)
	s_and_b32 vcc_lo, s13, vcc_lo
	s_delay_alu instid0(SALU_CYCLE_1)
	s_and_saveexec_b32 s13, vcc_lo
	s_cbranch_execz .LBB4_277
; %bb.276:                              ;   in Loop: Header=BB4_225 Depth=2
	v_mov_b32_e32 v2, 1
	s_waitcnt_vscnt null, 0x0
	buffer_gl1_inv
	buffer_gl0_inv
.LBB4_277:                              ;   in Loop: Header=BB4_225 Depth=2
	s_or_b32 exec_lo, exec_lo, s13
.LBB4_278:                              ;   in Loop: Header=BB4_225 Depth=2
	s_and_not1_saveexec_b32 s13, s30
	s_cbranch_execz .LBB4_300
; %bb.279:                              ;   in Loop: Header=BB4_225 Depth=2
	s_and_saveexec_b32 vcc_lo, s4
	s_delay_alu instid0(SALU_CYCLE_1)
	s_xor_b32 s30, exec_lo, vcc_lo
	s_cbranch_execz .LBB4_297
; %bb.280:                              ;   in Loop: Header=BB4_225 Depth=2
	s_and_saveexec_b32 s36, s1
	s_cbranch_execz .LBB4_296
; %bb.281:                              ;   in Loop: Header=BB4_225 Depth=2
	s_mov_b32 s38, exec_lo
	s_mov_b32 s37, exec_lo
	v_mbcnt_lo_u32_b32 v2, s38, 0
	;;#ASMSTART
	s_waitcnt lgkmcnt(0) vmcnt(0)
	;;#ASMEND
	s_delay_alu instid0(VALU_DEP_1)
	v_cmpx_eq_u32_e32 0, v2
	s_cbranch_execz .LBB4_283
; %bb.282:                              ;   in Loop: Header=BB4_225 Depth=2
	s_bcnt1_i32_b32 vcc_lo, s38
	s_delay_alu instid0(SALU_CYCLE_1)
	v_mov_b32_e32 v2, vcc_lo
	ds_add_u64 v0, v[2:3]
	s_cbranch_execnz .LBB4_2712
.LBB4_283:                              ;   in Loop: Header=BB4_225 Depth=2
	s_or_b32 exec_lo, exec_lo, s37
	s_cbranch_execnz .LBB4_2690
; %bb.284:                              ;   in Loop: Header=BB4_225 Depth=2
	ds_load_b64 v[11:12], v0
	v_add_co_u32 v48, vcc_lo, v48, v113
	v_add_co_ci_u32_e32 v49, vcc_lo, 0, v49, vcc_lo
	s_mov_b32 s37, exec_lo
	s_waitcnt lgkmcnt(0)
	s_delay_alu instid0(VALU_DEP_1)
	v_cmpx_lt_u64_e64 v[11:12], v[48:49]
	s_cbranch_execz .LBB4_295
; %bb.285:                              ;   in Loop: Header=BB4_225 Depth=2
	s_mov_b32 s38, 0
	s_mov_b32 s41, 0
                                        ; implicit-def: $sgpr39
                                        ; implicit-def: $sgpr40
	s_branch .LBB4_287
.LBB4_286:                              ;   in Loop: Header=BB4_287 Depth=3
	s_or_b32 exec_lo, exec_lo, s43
	s_delay_alu instid0(SALU_CYCLE_1) | instskip(NEXT) | instid1(SALU_CYCLE_1)
	s_and_b32 vcc_lo, exec_lo, vcc_lo
	s_or_b32 s38, vcc_lo, s38
	s_and_not1_b32 vcc_lo, s39, exec_lo
	s_and_b32 s39, s40, exec_lo
	s_delay_alu instid0(SALU_CYCLE_1)
	s_or_b32 s39, vcc_lo, s39
	s_and_not1_b32 exec_lo, exec_lo, s38
	s_cbranch_execz .LBB4_293
.LBB4_287:                              ;   Parent Loop BB4_51 Depth=1
                                        ;     Parent Loop BB4_225 Depth=2
                                        ; =>    This Inner Loop Header: Depth=3
	s_add_i32 s41, s41, 1
                                        ; implicit-def: $sgpr43
	s_delay_alu instid0(SALU_CYCLE_1) | instskip(SKIP_1) | instid1(SALU_CYCLE_1)
	s_cmpk_lg_i32 s41, 0x2710
	s_cselect_b32 s42, -1, 0
	s_and_b32 vcc_lo, exec_lo, s42
	s_cbranch_vccz .LBB4_291
.LBB4_288:                              ;   in Loop: Header=BB4_287 Depth=3
	s_and_not1_b32 s40, s40, exec_lo
	s_and_b32 s43, s43, exec_lo
	s_mov_b32 vcc_lo, -1
	s_or_b32 s40, s40, s43
	s_and_saveexec_b32 s43, s42
	s_cbranch_execz .LBB4_286
; %bb.289:                              ;   in Loop: Header=BB4_287 Depth=3
	s_sleep 1
	s_cbranch_execnz .LBB4_2736
; %bb.290:                              ;   in Loop: Header=BB4_287 Depth=3
	ds_load_b64 v[11:12], v0
	s_and_not1_b32 s40, s40, exec_lo
	s_waitcnt lgkmcnt(0)
	v_cmp_ge_u64_e32 vcc_lo, v[11:12], v[48:49]
	s_or_not1_b32 vcc_lo, vcc_lo, exec_lo
	s_branch .LBB4_286
.LBB4_291:                              ;   in Loop: Header=BB4_287 Depth=3
	s_cbranch_execnz .LBB4_2748
; %bb.292:                              ;   in Loop: Header=BB4_287 Depth=3
	ds_load_b64 v[11:12], v0
	s_and_not1_b32 s42, s42, exec_lo
	s_mov_b32 s41, 0
	s_mov_b32 s43, -1
	s_waitcnt lgkmcnt(0)
	s_waitcnt_vscnt null, 0x0
	flat_load_b32 v2, v[11:12] glc
	s_waitcnt vmcnt(0) lgkmcnt(0)
	buffer_gl1_inv
	buffer_gl0_inv
	v_cmp_eq_u32_e32 vcc_lo, 0, v2
	s_and_b32 vcc_lo, vcc_lo, exec_lo
	s_delay_alu instid0(SALU_CYCLE_1)
	s_or_b32 s42, s42, vcc_lo
	s_branch .LBB4_288
.LBB4_293:                              ;   in Loop: Header=BB4_225 Depth=2
	s_or_b32 exec_lo, exec_lo, s38
	s_and_saveexec_b32 vcc_lo, s39
	s_delay_alu instid0(SALU_CYCLE_1)
	s_xor_b32 vcc_lo, exec_lo, vcc_lo
	s_cbranch_execz .LBB4_295
; %bb.294:                              ;   in Loop: Header=BB4_225 Depth=2
	ds_store_b32 v0, v148
	s_cbranch_execnz .LBB4_2956
.LBB4_295:                              ;   in Loop: Header=BB4_225 Depth=2
	s_or_b32 exec_lo, exec_lo, s37
	;;#ASMSTART
	s_wakeup
	;;#ASMEND
.LBB4_296:                              ;   in Loop: Header=BB4_225 Depth=2
	s_or_b32 exec_lo, exec_lo, s36
.LBB4_297:                              ;   in Loop: Header=BB4_225 Depth=2
	s_and_not1_saveexec_b32 vcc_lo, s30
	s_cbranch_execz .LBB4_299
; %bb.298:                              ;   in Loop: Header=BB4_225 Depth=2
	;;#ASMSTART
	s_waitcnt lgkmcnt(0) vmcnt(0)
	;;#ASMEND
	s_waitcnt lgkmcnt(0)
	s_waitcnt_vscnt null, 0x0
	s_barrier
.LBB4_299:                              ;   in Loop: Header=BB4_225 Depth=2
	s_or_b32 exec_lo, exec_lo, vcc_lo
	v_and_b32_e32 v2, 16, v30
.LBB4_300:                              ;   in Loop: Header=BB4_225 Depth=2
	s_or_b32 exec_lo, exec_lo, s13
	s_delay_alu instid0(SALU_CYCLE_1) | instskip(NEXT) | instid1(VALU_DEP_1)
	s_mov_b32 s13, exec_lo
	v_cmpx_ne_u32_e32 0, v2
	s_cbranch_execz .LBB4_304
; %bb.301:                              ;   in Loop: Header=BB4_225 Depth=2
	s_and_saveexec_b32 vcc_lo, s11
	s_cbranch_execz .LBB4_303
; %bb.302:                              ;   in Loop: Header=BB4_225 Depth=2
	s_waitcnt lgkmcnt(0)
	s_waitcnt_vscnt null, 0x0
	flat_store_b32 v[38:39], v148
.LBB4_303:                              ;   in Loop: Header=BB4_225 Depth=2
	s_or_b32 exec_lo, exec_lo, vcc_lo
	v_add_co_u32 v34, vcc_lo, v34, 2
	v_add_co_ci_u32_e32 v35, vcc_lo, 0, v35, vcc_lo
	s_waitcnt lgkmcnt(0)
	s_waitcnt_vscnt null, 0x0
	flat_store_b64 v[32:33], v[34:35]
.LBB4_304:                              ;   in Loop: Header=BB4_225 Depth=2
	s_or_b32 exec_lo, exec_lo, s13
	v_add_nc_u32_e32 v10, v8, v10
	s_mov_b32 s13, 0
	s_and_not1_b32 exec_lo, exec_lo, s17
	s_cbranch_execnz .LBB4_225
; %bb.305:                              ;   in Loop: Header=BB4_51 Depth=1
	s_or_b32 exec_lo, exec_lo, s17
.LBB4_306:                              ;   in Loop: Header=BB4_51 Depth=1
	s_delay_alu instid0(SALU_CYCLE_1) | instskip(NEXT) | instid1(SALU_CYCLE_1)
	s_or_b32 exec_lo, exec_lo, s15
	s_and_not1_b32 vcc_lo, exec_lo, s29
                                        ; implicit-def: $vgpr42 : SGPR spill to VGPR lane
	s_cbranch_vccnz .LBB4_959
; %bb.307:                              ;   in Loop: Header=BB4_51 Depth=1
	s_mov_b32 s17, 2
.LBB4_308:                              ;   Parent Loop BB4_51 Depth=1
                                        ; =>  This Loop Header: Depth=2
                                        ;       Child Loop BB4_310 Depth 3
                                        ;         Child Loop BB4_319 Depth 4
                                        ;         Child Loop BB4_349 Depth 4
	;; [unrolled: 1-line block ×9, first 2 shown]
                                        ;       Child Loop BB4_874 Depth 3
                                        ;         Child Loop BB4_880 Depth 4
                                        ;         Child Loop BB4_912 Depth 4
                                        ;         Child Loop BB4_934 Depth 4
	s_delay_alu instid0(SALU_CYCLE_1) | instskip(SKIP_3) | instid1(SALU_CYCLE_1)
	s_sub_i32 s13, s25, s17
	v_mov_b32_e32 v80, 0
	s_cmp_le_i32 s19, s13
	s_cselect_b32 s15, s19, 0
	s_sub_i32 s13, s13, s15
	s_delay_alu instid0(SALU_CYCLE_1) | instskip(SKIP_4) | instid1(VALU_DEP_1)
	s_ashr_i32 s15, s13, 31
	v_mul_lo_u32 v2, v65, s13
	v_mad_u64_u32 v[8:9], null, v64, s13, 0
	v_mul_lo_u32 v10, v64, s15
	s_mov_b32 s15, 0
	v_add3_u32 v9, v9, v10, v2
	s_delay_alu instid0(VALU_DEP_3) | instskip(NEXT) | instid1(VALU_DEP_2)
	v_sub_co_u32 v10, vcc_lo, v66, v8
	v_sub_co_ci_u32_e32 v11, vcc_lo, v67, v9, vcc_lo
	s_delay_alu instid0(VALU_DEP_1) | instskip(SKIP_1) | instid1(VALU_DEP_1)
	v_cmp_lt_i64_e32 vcc_lo, v[64:65], v[10:11]
	v_cndmask_b32_e32 v10, v10, v64, vcc_lo
	v_max_i32_e32 v98, 0, v10
	s_delay_alu instid0(VALU_DEP_1) | instskip(NEXT) | instid1(VALU_DEP_1)
	v_add_nc_u32_e32 v2, 31, v98
	v_lshrrev_b32_e32 v2, 1, v2
	s_delay_alu instid0(VALU_DEP_1) | instskip(SKIP_2) | instid1(VALU_DEP_3)
	v_and_b32_e32 v11, 0x3ffffff0, v2
	v_cmp_lt_i32_e32 vcc_lo, 0, v10
	v_mov_b32_e32 v2, 0
	v_max_i32_e32 v70, s28, v11
	s_and_b32 s13, s16, vcc_lo
	s_delay_alu instid0(SALU_CYCLE_1)
	s_and_saveexec_b32 s30, s13
	s_cbranch_execz .LBB4_872
; %bb.309:                              ;   in Loop: Header=BB4_308 Depth=2
	v_lshlrev_b64 v[82:83], 1, v[8:9]
	v_mov_b32_e32 v80, 0
	s_mov_b32 s37, 1
	s_mov_b32 s36, -1
.LBB4_310:                              ;   Parent Loop BB4_51 Depth=1
                                        ;     Parent Loop BB4_308 Depth=2
                                        ; =>    This Loop Header: Depth=3
                                        ;         Child Loop BB4_319 Depth 4
                                        ;         Child Loop BB4_349 Depth 4
	;; [unrolled: 1-line block ×9, first 2 shown]
	s_and_saveexec_b32 s13, s0
	s_cbranch_execz .LBB4_313
; %bb.311:                              ;   in Loop: Header=BB4_310 Depth=3
	s_cbranch_execnz .LBB4_2659
; %bb.312:                              ;   in Loop: Header=BB4_310 Depth=3
	ds_load_b64 v[8:9], v0
	v_lshlrev_b64 v[10:11], 1, v[68:69]
	v_ashrrev_i32_e32 v81, 31, v80
	s_waitcnt lgkmcnt(0)
	s_delay_alu instid0(VALU_DEP_2) | instskip(NEXT) | instid1(VALU_DEP_3)
	v_add_co_u32 v2, vcc_lo, v8, v10
	v_add_co_ci_u32_e32 v10, vcc_lo, v9, v11, vcc_lo
	s_delay_alu instid0(VALU_DEP_3) | instskip(NEXT) | instid1(VALU_DEP_3)
	v_lshlrev_b64 v[8:9], 1, v[80:81]
	v_add_co_u32 v2, vcc_lo, v2, v82
	s_delay_alu instid0(VALU_DEP_3) | instskip(NEXT) | instid1(VALU_DEP_2)
	v_add_co_ci_u32_e32 v10, vcc_lo, v10, v83, vcc_lo
	v_add_co_u32 v8, vcc_lo, v2, v8
	s_delay_alu instid0(VALU_DEP_2)
	v_add_co_ci_u32_e32 v9, vcc_lo, v10, v9, vcc_lo
	v_mov_b32_e32 v2, v3
	ds_store_b64 v0, v[8:9]
	ds_store_b64 v0, v[2:3]
.LBB4_313:                              ;   in Loop: Header=BB4_310 Depth=3
	s_or_b32 exec_lo, exec_lo, s13
	v_and_b32_e32 v2, 12, v30
	s_mov_b32 s38, -1
	s_mov_b32 s13, exec_lo
	s_delay_alu instid0(VALU_DEP_1)
	v_cmpx_ne_u32_e32 0, v2
	v_writelane_b32 v42, s15, 8
	v_writelane_b32 v42, s36, 9
	;; [unrolled: 1-line block ×3, first 2 shown]
	s_cbranch_execz .LBB4_327
; %bb.314:                              ;   in Loop: Header=BB4_310 Depth=3
	v_and_b32_e32 v2, 8, v30
	s_delay_alu instid0(VALU_DEP_1) | instskip(SKIP_3) | instid1(VALU_DEP_1)
	v_add_co_u32 v10, vcc_lo, v50, v2
	v_add_co_ci_u32_e32 v11, vcc_lo, 0, v51, vcc_lo
	v_add_co_u32 v8, vcc_lo, v34, 2
	v_add_co_ci_u32_e32 v9, vcc_lo, 0, v35, vcc_lo
	v_cmp_lt_u64_e32 vcc_lo, v[10:11], v[8:9]
	v_mov_b32_e32 v10, 1
	s_and_saveexec_b32 s15, vcc_lo
	s_cbranch_execz .LBB4_326
; %bb.315:                              ;   in Loop: Header=BB4_310 Depth=3
	v_mov_b32_e32 v10, 0
	s_mov_b32 s36, 0
                                        ; implicit-def: $sgpr37
	s_branch .LBB4_319
.LBB4_316:                              ;   in Loop: Header=BB4_319 Depth=4
	s_or_b32 exec_lo, exec_lo, s41
	v_mov_b32_e32 v11, 0
	s_or_not1_b32 s40, s40, exec_lo
.LBB4_317:                              ;   in Loop: Header=BB4_319 Depth=4
	s_or_b32 exec_lo, exec_lo, s39
	s_delay_alu instid0(VALU_DEP_1) | instskip(SKIP_2) | instid1(SALU_CYCLE_1)
	v_mov_b32_e32 v10, v11
	s_and_not1_b32 vcc_lo, s37, exec_lo
	s_and_b32 s37, s40, exec_lo
	s_or_b32 s37, vcc_lo, s37
.LBB4_318:                              ;   in Loop: Header=BB4_319 Depth=4
	s_or_b32 exec_lo, exec_lo, s38
	s_waitcnt vmcnt(0) lgkmcnt(0)
	v_add_co_u32 v11, vcc_lo, v50, v2
	v_add_co_ci_u32_e32 v12, vcc_lo, 0, v51, vcc_lo
	s_xor_b32 s38, s37, -1
	s_delay_alu instid0(VALU_DEP_1) | instskip(SKIP_1) | instid1(SALU_CYCLE_1)
	v_cmp_ge_u64_e32 vcc_lo, v[11:12], v[8:9]
	s_or_b32 vcc_lo, s38, vcc_lo
	s_and_b32 vcc_lo, exec_lo, vcc_lo
	s_delay_alu instid0(SALU_CYCLE_1) | instskip(NEXT) | instid1(SALU_CYCLE_1)
	s_or_b32 s36, vcc_lo, s36
	s_and_not1_b32 exec_lo, exec_lo, s36
	s_cbranch_execz .LBB4_325
.LBB4_319:                              ;   Parent Loop BB4_51 Depth=1
                                        ;     Parent Loop BB4_308 Depth=2
                                        ;       Parent Loop BB4_310 Depth=3
                                        ; =>      This Inner Loop Header: Depth=4
	s_sleep 1
	flat_load_b64 v[50:51], v[32:33] glc
	v_and_b32_e32 v11, 64, v30
	s_and_not1_b32 s37, s37, exec_lo
	s_mov_b32 s38, exec_lo
	s_delay_alu instid0(VALU_DEP_1)
	v_cmpx_eq_u32_e32 0, v11
	s_cbranch_execz .LBB4_318
; %bb.320:                              ;   in Loop: Header=BB4_319 Depth=4
	v_add_nc_u32_e32 v11, 1, v10
	s_mov_b32 s40, -1
	s_mov_b32 s39, exec_lo
	v_cmpx_lt_i32_e32 0x270e, v10
	s_cbranch_execz .LBB4_317
; %bb.321:                              ;   in Loop: Header=BB4_319 Depth=4
	s_cbranch_execnz .LBB4_2692
; %bb.322:                              ;   in Loop: Header=BB4_319 Depth=4
	ds_load_b64 v[10:11], v0
	s_mov_b32 s41, exec_lo
	s_waitcnt vmcnt(0) lgkmcnt(0)
	s_waitcnt_vscnt null, 0x0
	flat_load_b32 v10, v[10:11] glc
	s_waitcnt vmcnt(0) lgkmcnt(0)
	buffer_gl1_inv
	buffer_gl0_inv
	v_cmpx_ne_u32_e32 0, v10
	s_cbranch_execz .LBB4_316
; %bb.323:                              ;   in Loop: Header=BB4_319 Depth=4
	ds_store_b32 v0, v10
	s_cbranch_execnz .LBB4_2742
; %bb.324:                              ;   in Loop: Header=BB4_319 Depth=4
	v_or_b32_e32 v30, 64, v30
	s_xor_b32 s40, exec_lo, -1
	s_branch .LBB4_316
.LBB4_325:                              ;   in Loop: Header=BB4_310 Depth=3
	s_or_b32 exec_lo, exec_lo, s36
	v_and_b32_e32 v10, 12, v30
.LBB4_326:                              ;   in Loop: Header=BB4_310 Depth=3
	s_or_b32 exec_lo, exec_lo, s15
	s_delay_alu instid0(VALU_DEP_1)
	v_cmp_eq_u32_e32 vcc_lo, 0, v10
	;;#ASMSTART
	s_wakeup
	;;#ASMEND
	s_or_not1_b32 s38, vcc_lo, exec_lo
.LBB4_327:                              ;   in Loop: Header=BB4_310 Depth=3
	s_or_b32 exec_lo, exec_lo, s13
	v_sub_nc_u32_e32 v2, v98, v80
	s_xor_b32 s13, s38, -1
	s_delay_alu instid0(VALU_DEP_1)
	v_min_i32_e32 v70, v70, v2
	s_and_saveexec_b32 s15, s13
	s_cbranch_execz .LBB4_340
; %bb.328:                              ;   in Loop: Header=BB4_310 Depth=3
	v_and_b32_e32 v2, 0x108, v30
	s_delay_alu instid0(VALU_DEP_1) | instskip(SKIP_2) | instid1(SALU_CYCLE_1)
	v_cmp_ne_u32_e32 vcc_lo, 0x108, v2
	v_and_b32_e32 v2, 7, v34
	s_and_saveexec_b32 s13, vcc_lo
	s_xor_b32 s13, exec_lo, s13
	s_delay_alu instid0(SALU_CYCLE_1)
	s_and_not1_saveexec_b32 s13, s13
	s_cbranch_execz .LBB4_330
; %bb.329:                              ;   in Loop: Header=BB4_310 Depth=3
	v_ashrrev_i32_e32 v71, 31, v70
	v_mad_u64_u32 v[8:9], null, v2, 24, v[6:7]
	s_delay_alu instid0(VALU_DEP_2)
	v_lshlrev_b64 v[10:11], 1, v[70:71]
	flat_store_b64 v[8:9], v[10:11] offset:8
.LBB4_330:                              ;   in Loop: Header=BB4_310 Depth=3
	s_or_b32 exec_lo, exec_lo, s13
	v_and_b32_e32 v8, 0x100, v30
	s_mov_b32 s13, -1
	s_delay_alu instid0(VALU_DEP_1)
	v_cmp_ne_u32_e32 vcc_lo, 0, v8
                                        ; implicit-def: $vgpr8_vgpr9
	s_and_saveexec_b32 s36, vcc_lo
	s_cbranch_execnz .LBB4_333
; %bb.331:                              ;   in Loop: Header=BB4_310 Depth=3
	s_or_b32 exec_lo, exec_lo, s36
	s_and_saveexec_b32 vcc_lo, s13
	s_cbranch_execnz .LBB4_336
.LBB4_332:                              ;   in Loop: Header=BB4_310 Depth=3
	s_or_b32 exec_lo, exec_lo, vcc_lo
	s_cbranch_execnz .LBB4_2686
	s_branch .LBB4_337
.LBB4_333:                              ;   in Loop: Header=BB4_310 Depth=3
	v_mad_u64_u32 v[10:11], null, v2, 24, v[6:7]
	s_delay_alu instid0(VALU_DEP_1) | instskip(NEXT) | instid1(VALU_DEP_1)
	v_mov_b32_e32 v8, v11
	v_mad_u64_u32 v[11:12], null, v3, 24, v[8:9]
	flat_load_b32 v8, v[10:11]
	s_waitcnt vmcnt(0) lgkmcnt(0)
	v_cmp_ne_u32_e32 vcc_lo, 1, v8
	v_cmp_eq_u32_e64 s13, 1, v8
                                        ; implicit-def: $vgpr8_vgpr9
	s_delay_alu instid0(VALU_DEP_1)
	s_and_saveexec_b32 s37, s13
	s_cbranch_execz .LBB4_335
; %bb.334:                              ;   in Loop: Header=BB4_310 Depth=3
	flat_load_b32 v8, v[10:11] offset:4 glc
	s_waitcnt vmcnt(0) lgkmcnt(0)
	v_ashrrev_i32_e32 v9, 31, v8
	s_delay_alu instid0(VALU_DEP_1)
	v_lshrrev_b64 v[8:9], 1, v[8:9]
.LBB4_335:                              ;   in Loop: Header=BB4_310 Depth=3
	s_or_b32 exec_lo, exec_lo, s37
	s_delay_alu instid0(SALU_CYCLE_1)
	s_or_not1_b32 s13, vcc_lo, exec_lo
	s_or_b32 exec_lo, exec_lo, s36
	s_and_saveexec_b32 vcc_lo, s13
	s_cbranch_execz .LBB4_332
.LBB4_336:                              ;   in Loop: Header=BB4_310 Depth=3
	v_mul_lo_u32 v10, v3, v101
	v_mul_lo_u32 v11, v2, v102
	v_mad_u64_u32 v[8:9], null, v2, v101, 0
	s_delay_alu instid0(VALU_DEP_1)
	v_add3_u32 v9, v9, v11, v10
	s_or_b32 exec_lo, exec_lo, vcc_lo
	s_cbranch_execnz .LBB4_2686
.LBB4_337:                              ;   in Loop: Header=BB4_310 Depth=3
	s_delay_alu instid0(VALU_DEP_1) | instskip(SKIP_2) | instid1(VALU_DEP_2)
	v_lshlrev_b64 v[8:9], 1, v[8:9]
	v_and_b32_e32 v2, 0x2000, v30
	s_mov_b32 s13, exec_lo
	v_add_co_u32 v8, vcc_lo, v36, v8
	s_delay_alu instid0(VALU_DEP_3)
	v_add_co_ci_u32_e32 v9, vcc_lo, v37, v9, vcc_lo
	ds_store_b64 v0, v[8:9]
	v_cmpx_ne_u32_e32 0, v2
	s_cbranch_execz .LBB4_339
; %bb.338:                              ;   in Loop: Header=BB4_310 Depth=3
	ds_load_b64 v[8:9], v0 offset:584
	s_waitcnt lgkmcnt(0)
	v_add_co_u32 v8, vcc_lo, v8, 1
	v_add_co_ci_u32_e32 v9, vcc_lo, 0, v9, vcc_lo
	ds_store_b64 v0, v[8:9] offset:584
.LBB4_339:                              ;   in Loop: Header=BB4_310 Depth=3
	s_or_b32 exec_lo, exec_lo, s13
	v_add_co_u32 v34, vcc_lo, v34, 2
	v_add_co_ci_u32_e32 v35, vcc_lo, 0, v35, vcc_lo
.LBB4_340:                              ;   in Loop: Header=BB4_310 Depth=3
	s_or_b32 exec_lo, exec_lo, s15
	s_and_saveexec_b32 s13, s3
	s_cbranch_execz .LBB4_362
; %bb.341:                              ;   in Loop: Header=BB4_310 Depth=3
	s_and_saveexec_b32 s15, s4
	s_delay_alu instid0(SALU_CYCLE_1)
	s_xor_b32 s15, exec_lo, s15
	s_cbranch_execz .LBB4_359
; %bb.342:                              ;   in Loop: Header=BB4_310 Depth=3
	s_and_saveexec_b32 s36, s1
	s_cbranch_execz .LBB4_358
; %bb.343:                              ;   in Loop: Header=BB4_310 Depth=3
	s_mov_b32 s38, exec_lo
	s_mov_b32 s37, exec_lo
	v_mbcnt_lo_u32_b32 v2, s38, 0
	s_waitcnt lgkmcnt(0)
	s_waitcnt_vscnt null, 0x0
	buffer_gl1_inv
	buffer_gl0_inv
	v_cmpx_eq_u32_e32 0, v2
	s_cbranch_execz .LBB4_345
; %bb.344:                              ;   in Loop: Header=BB4_310 Depth=3
	s_bcnt1_i32_b32 vcc_lo, s38
	s_delay_alu instid0(SALU_CYCLE_1)
	v_mov_b32_e32 v2, vcc_lo
	ds_add_u64 v0, v[2:3]
	s_cbranch_execnz .LBB4_2798
.LBB4_345:                              ;   in Loop: Header=BB4_310 Depth=3
	s_or_b32 exec_lo, exec_lo, s37
	s_cbranch_execnz .LBB4_2764
; %bb.346:                              ;   in Loop: Header=BB4_310 Depth=3
	ds_load_b64 v[8:9], v0
	v_add_co_u32 v48, vcc_lo, v48, v113
	v_add_co_ci_u32_e32 v49, vcc_lo, 0, v49, vcc_lo
	s_mov_b32 s37, exec_lo
	s_waitcnt lgkmcnt(0)
	s_delay_alu instid0(VALU_DEP_1)
	v_cmpx_lt_u64_e64 v[8:9], v[48:49]
	s_cbranch_execz .LBB4_357
; %bb.347:                              ;   in Loop: Header=BB4_310 Depth=3
	s_mov_b32 s38, 0
	s_mov_b32 s41, 0
                                        ; implicit-def: $sgpr39
                                        ; implicit-def: $sgpr40
	s_branch .LBB4_349
.LBB4_348:                              ;   in Loop: Header=BB4_349 Depth=4
	s_or_b32 exec_lo, exec_lo, s43
	s_delay_alu instid0(SALU_CYCLE_1) | instskip(NEXT) | instid1(SALU_CYCLE_1)
	s_and_b32 vcc_lo, exec_lo, vcc_lo
	s_or_b32 s38, vcc_lo, s38
	s_and_not1_b32 vcc_lo, s39, exec_lo
	s_and_b32 s39, s40, exec_lo
	s_delay_alu instid0(SALU_CYCLE_1)
	s_or_b32 s39, vcc_lo, s39
	s_and_not1_b32 exec_lo, exec_lo, s38
	s_cbranch_execz .LBB4_355
.LBB4_349:                              ;   Parent Loop BB4_51 Depth=1
                                        ;     Parent Loop BB4_308 Depth=2
                                        ;       Parent Loop BB4_310 Depth=3
                                        ; =>      This Inner Loop Header: Depth=4
	s_add_i32 s41, s41, 1
                                        ; implicit-def: $sgpr43
	s_delay_alu instid0(SALU_CYCLE_1) | instskip(SKIP_1) | instid1(SALU_CYCLE_1)
	s_cmpk_lg_i32 s41, 0x2710
	s_cselect_b32 s42, -1, 0
	s_and_b32 vcc_lo, exec_lo, s42
	s_cbranch_vccz .LBB4_353
.LBB4_350:                              ;   in Loop: Header=BB4_349 Depth=4
	s_and_not1_b32 s40, s40, exec_lo
	s_and_b32 s43, s43, exec_lo
	s_mov_b32 vcc_lo, -1
	s_or_b32 s40, s40, s43
	s_and_saveexec_b32 s43, s42
	s_cbranch_execz .LBB4_348
; %bb.351:                              ;   in Loop: Header=BB4_349 Depth=4
	s_sleep 1
	s_cbranch_execnz .LBB4_2846
; %bb.352:                              ;   in Loop: Header=BB4_349 Depth=4
	ds_load_b64 v[8:9], v0
	s_and_not1_b32 s40, s40, exec_lo
	s_waitcnt lgkmcnt(0)
	v_cmp_ge_u64_e32 vcc_lo, v[8:9], v[48:49]
	s_or_not1_b32 vcc_lo, vcc_lo, exec_lo
	s_branch .LBB4_348
.LBB4_353:                              ;   in Loop: Header=BB4_349 Depth=4
	s_cbranch_execnz .LBB4_2854
; %bb.354:                              ;   in Loop: Header=BB4_349 Depth=4
	ds_load_b64 v[8:9], v0
	s_and_not1_b32 s42, s42, exec_lo
	s_mov_b32 s41, 0
	s_mov_b32 s43, -1
	s_waitcnt lgkmcnt(0)
	flat_load_b32 v2, v[8:9] glc
	s_waitcnt vmcnt(0) lgkmcnt(0)
	buffer_gl1_inv
	buffer_gl0_inv
	v_cmp_eq_u32_e32 vcc_lo, 0, v2
	s_and_b32 vcc_lo, vcc_lo, exec_lo
	s_delay_alu instid0(SALU_CYCLE_1)
	s_or_b32 s42, s42, vcc_lo
	s_branch .LBB4_350
.LBB4_355:                              ;   in Loop: Header=BB4_310 Depth=3
	s_or_b32 exec_lo, exec_lo, s38
	s_and_saveexec_b32 vcc_lo, s39
	s_delay_alu instid0(SALU_CYCLE_1)
	s_xor_b32 vcc_lo, exec_lo, vcc_lo
	s_cbranch_execz .LBB4_357
; %bb.356:                              ;   in Loop: Header=BB4_310 Depth=3
	ds_store_b32 v0, v148
	s_cbranch_execnz .LBB4_3056
.LBB4_357:                              ;   in Loop: Header=BB4_310 Depth=3
	s_or_b32 exec_lo, exec_lo, s37
	;;#ASMSTART
	s_wakeup
	;;#ASMEND
.LBB4_358:                              ;   in Loop: Header=BB4_310 Depth=3
	s_or_b32 exec_lo, exec_lo, s36
.LBB4_359:                              ;   in Loop: Header=BB4_310 Depth=3
	s_and_not1_saveexec_b32 s15, s15
	s_cbranch_execz .LBB4_361
; %bb.360:                              ;   in Loop: Header=BB4_310 Depth=3
	s_waitcnt lgkmcnt(0)
	s_waitcnt_vscnt null, 0x0
	buffer_gl1_inv
	buffer_gl0_inv
	s_barrier
.LBB4_361:                              ;   in Loop: Header=BB4_310 Depth=3
	s_or_b32 exec_lo, exec_lo, s15
.LBB4_362:                              ;   in Loop: Header=BB4_310 Depth=3
	v_writelane_b32 v42, s14, 3
	v_writelane_b32 v42, s35, 6
	;; [unrolled: 1-line block ×5, first 2 shown]
	s_or_b32 exec_lo, exec_lo, s13
	s_cbranch_execnz .LBB4_2665
; %bb.363:                              ;   in Loop: Header=BB4_310 Depth=3
	ds_load_b32 v8, v0
	v_and_b32_e32 v2, 0x4000, v30
	s_xor_b32 s13, s2, -1
	s_delay_alu instid0(VALU_DEP_1) | instskip(SKIP_1) | instid1(SALU_CYCLE_1)
	v_cmp_ne_u32_e32 vcc_lo, 0, v2
	s_and_b32 s14, s13, vcc_lo
	s_and_saveexec_b32 s13, s14
	s_cbranch_execz .LBB4_385
; %bb.364:                              ;   in Loop: Header=BB4_310 Depth=3
	s_and_saveexec_b32 s14, s4
	s_delay_alu instid0(SALU_CYCLE_1)
	s_xor_b32 s14, exec_lo, s14
	s_cbranch_execz .LBB4_382
; %bb.365:                              ;   in Loop: Header=BB4_310 Depth=3
	s_and_saveexec_b32 s15, s1
	s_cbranch_execz .LBB4_381
; %bb.366:                              ;   in Loop: Header=BB4_310 Depth=3
	s_mov_b32 s31, exec_lo
	s_mov_b32 s16, exec_lo
	v_mbcnt_lo_u32_b32 v2, s31, 0
	s_waitcnt lgkmcnt(0)
	s_waitcnt_vscnt null, 0x0
	buffer_gl1_inv
	buffer_gl0_inv
	v_cmpx_eq_u32_e32 0, v2
	s_cbranch_execz .LBB4_368
; %bb.367:                              ;   in Loop: Header=BB4_310 Depth=3
	s_bcnt1_i32_b32 vcc_lo, s31
	s_delay_alu instid0(SALU_CYCLE_1)
	v_mov_b32_e32 v2, vcc_lo
	ds_add_u64 v0, v[2:3]
	s_cbranch_execnz .LBB4_2830
.LBB4_368:                              ;   in Loop: Header=BB4_310 Depth=3
	s_or_b32 exec_lo, exec_lo, s16
	s_cbranch_execnz .LBB4_2820
; %bb.369:                              ;   in Loop: Header=BB4_310 Depth=3
	ds_load_b64 v[9:10], v0
	v_add_co_u32 v48, vcc_lo, v48, v113
	v_add_co_ci_u32_e32 v49, vcc_lo, 0, v49, vcc_lo
	s_mov_b32 s16, exec_lo
	s_waitcnt lgkmcnt(0)
	s_delay_alu instid0(VALU_DEP_1)
	v_cmpx_lt_u64_e64 v[9:10], v[48:49]
	s_cbranch_execz .LBB4_380
; %bb.370:                              ;   in Loop: Header=BB4_310 Depth=3
	s_mov_b32 s31, 0
	s_mov_b32 s36, 0
                                        ; implicit-def: $sgpr34
                                        ; implicit-def: $sgpr35
	s_branch .LBB4_372
.LBB4_371:                              ;   in Loop: Header=BB4_372 Depth=4
	s_or_b32 exec_lo, exec_lo, s38
	s_delay_alu instid0(SALU_CYCLE_1) | instskip(NEXT) | instid1(SALU_CYCLE_1)
	s_and_b32 vcc_lo, exec_lo, vcc_lo
	s_or_b32 s31, vcc_lo, s31
	s_and_not1_b32 vcc_lo, s34, exec_lo
	s_and_b32 s34, s35, exec_lo
	s_delay_alu instid0(SALU_CYCLE_1)
	s_or_b32 s34, vcc_lo, s34
	s_and_not1_b32 exec_lo, exec_lo, s31
	s_cbranch_execz .LBB4_378
.LBB4_372:                              ;   Parent Loop BB4_51 Depth=1
                                        ;     Parent Loop BB4_308 Depth=2
                                        ;       Parent Loop BB4_310 Depth=3
                                        ; =>      This Inner Loop Header: Depth=4
	s_add_i32 s36, s36, 1
                                        ; implicit-def: $sgpr38
	s_delay_alu instid0(SALU_CYCLE_1) | instskip(SKIP_1) | instid1(SALU_CYCLE_1)
	s_cmpk_lg_i32 s36, 0x2710
	s_cselect_b32 s37, -1, 0
	s_and_b32 vcc_lo, exec_lo, s37
	s_cbranch_vccz .LBB4_376
.LBB4_373:                              ;   in Loop: Header=BB4_372 Depth=4
	s_and_not1_b32 s35, s35, exec_lo
	s_and_b32 s38, s38, exec_lo
	s_mov_b32 vcc_lo, -1
	s_or_b32 s35, s35, s38
	s_and_saveexec_b32 s38, s37
	s_cbranch_execz .LBB4_371
; %bb.374:                              ;   in Loop: Header=BB4_372 Depth=4
	s_sleep 1
	s_cbranch_execnz .LBB4_2892
; %bb.375:                              ;   in Loop: Header=BB4_372 Depth=4
	ds_load_b64 v[9:10], v0
	s_and_not1_b32 s35, s35, exec_lo
	s_waitcnt lgkmcnt(0)
	v_cmp_ge_u64_e32 vcc_lo, v[9:10], v[48:49]
	s_or_not1_b32 vcc_lo, vcc_lo, exec_lo
	s_branch .LBB4_371
.LBB4_376:                              ;   in Loop: Header=BB4_372 Depth=4
	s_cbranch_execnz .LBB4_2906
; %bb.377:                              ;   in Loop: Header=BB4_372 Depth=4
	ds_load_b64 v[9:10], v0
	s_and_not1_b32 s37, s37, exec_lo
	s_mov_b32 s36, 0
	s_mov_b32 s38, -1
	s_waitcnt lgkmcnt(0)
	flat_load_b32 v2, v[9:10] glc
	s_waitcnt vmcnt(0) lgkmcnt(0)
	buffer_gl1_inv
	buffer_gl0_inv
	v_cmp_eq_u32_e32 vcc_lo, 0, v2
	s_and_b32 vcc_lo, vcc_lo, exec_lo
	s_delay_alu instid0(SALU_CYCLE_1)
	s_or_b32 s37, s37, vcc_lo
	s_branch .LBB4_373
.LBB4_378:                              ;   in Loop: Header=BB4_310 Depth=3
	s_or_b32 exec_lo, exec_lo, s31
	s_and_saveexec_b32 vcc_lo, s34
	s_delay_alu instid0(SALU_CYCLE_1)
	s_xor_b32 vcc_lo, exec_lo, vcc_lo
	s_cbranch_execz .LBB4_380
; %bb.379:                              ;   in Loop: Header=BB4_310 Depth=3
	ds_store_b32 v0, v148
	s_cbranch_execnz .LBB4_3088
.LBB4_380:                              ;   in Loop: Header=BB4_310 Depth=3
	s_or_b32 exec_lo, exec_lo, s16
	;;#ASMSTART
	s_wakeup
	;;#ASMEND
.LBB4_381:                              ;   in Loop: Header=BB4_310 Depth=3
	s_or_b32 exec_lo, exec_lo, s15
.LBB4_382:                              ;   in Loop: Header=BB4_310 Depth=3
	s_and_not1_saveexec_b32 s14, s14
	s_cbranch_execz .LBB4_384
; %bb.383:                              ;   in Loop: Header=BB4_310 Depth=3
	s_waitcnt lgkmcnt(0)
	s_waitcnt_vscnt null, 0x0
	buffer_gl1_inv
	buffer_gl0_inv
	s_barrier
.LBB4_384:                              ;   in Loop: Header=BB4_310 Depth=3
	s_or_b32 exec_lo, exec_lo, s14
.LBB4_385:                              ;   in Loop: Header=BB4_310 Depth=3
	s_delay_alu instid0(SALU_CYCLE_1)
	s_or_b32 exec_lo, exec_lo, s13
	s_cbranch_execnz .LBB4_2708
; %bb.386:                              ;   in Loop: Header=BB4_310 Depth=3
	ds_load_b64 v[9:10], v0
	v_mov_b32_e32 v71, 0
	s_waitcnt lgkmcnt(0)
	v_cmp_eq_u64_e32 vcc_lo, 0, v[9:10]
	s_or_b32 s13, vcc_lo, vcc_lo
	s_delay_alu instid0(SALU_CYCLE_1)
	s_and_b32 vcc_lo, exec_lo, s13
	s_cbranch_vccnz .LBB4_818
; %bb.387:                              ;   in Loop: Header=BB4_310 Depth=3
	s_cbranch_execnz .LBB4_2762
; %bb.388:                              ;   in Loop: Header=BB4_310 Depth=3
	ds_load_b64 v[9:10], v0
	s_mov_b32 s13, -1
	s_waitcnt lgkmcnt(0)
	v_readfirstlane_b32 s31, v9
	s_and_saveexec_b32 s14, s12
	s_cbranch_execz .LBB4_390
; %bb.389:                              ;   in Loop: Header=BB4_310 Depth=3
	ds_load_b32 v2, v0 offset:720
	s_waitcnt lgkmcnt(0)
	v_and_b32_e32 v2, 15, v2
	s_delay_alu instid0(VALU_DEP_1)
	v_cmp_eq_u32_e32 vcc_lo, 0, v2
	s_or_not1_b32 s13, vcc_lo, exec_lo
.LBB4_390:                              ;   in Loop: Header=BB4_310 Depth=3
	s_or_b32 exec_lo, exec_lo, s14
	s_and_saveexec_b32 s14, s6
	s_cbranch_execz .LBB4_392
; %bb.391:                              ;   in Loop: Header=BB4_310 Depth=3
	ds_load_b32 v2, v0 offset:784
	s_waitcnt lgkmcnt(0)
	v_and_b32_e32 v2, 15, v2
	s_delay_alu instid0(VALU_DEP_1) | instskip(SKIP_3) | instid1(SALU_CYCLE_1)
	v_cmp_eq_u32_e32 vcc_lo, 0, v2
	s_and_b32 s15, s13, vcc_lo
	s_and_not1_b32 s13, s13, exec_lo
	s_and_b32 s15, s15, exec_lo
	s_or_b32 s13, s13, s15
.LBB4_392:                              ;   in Loop: Header=BB4_310 Depth=3
	s_or_b32 exec_lo, exec_lo, s14
	v_cmp_eq_u32_e32 vcc_lo, 0, v8
	s_xor_b32 s13, s13, -1
	v_mov_b32_e32 v14, 0
	v_cndmask_b32_e64 v2, 0, 1, s13
	;;#ASMSTART
	;;#ASMEND
	v_cndmask_b32_e32 v71, 0, v70, vcc_lo
	s_delay_alu instid0(VALU_DEP_2) | instskip(SKIP_1) | instid1(VALU_DEP_2)
	v_cmp_ne_u32_e32 vcc_lo, 0, v2
	s_mov_b32 s13, -1
	v_lshlrev_b32_e32 v2, 1, v71
	s_cbranch_vccz .LBB4_394
; %bb.393:                              ;   in Loop: Header=BB4_310 Depth=3
	v_dual_mov_b32 v15, v0 :: v_dual_mov_b32 v8, v103
	s_branch .LBB4_697
.LBB4_394:                              ;   in Loop: Header=BB4_310 Depth=3
	s_delay_alu instid0(VALU_DEP_1) | instskip(SKIP_1) | instid1(VALU_DEP_1)
	v_ashrrev_i32_e32 v8, 31, v2
	s_mov_b32 s16, exec_lo
	v_lshrrev_b32_e32 v8, 22, v8
	s_delay_alu instid0(VALU_DEP_1) | instskip(NEXT) | instid1(VALU_DEP_1)
	v_add_nc_u32_e32 v8, v2, v8
	v_ashrrev_i32_e32 v99, 10, v8
	s_delay_alu instid0(VALU_DEP_1) | instskip(NEXT) | instid1(VALU_DEP_1)
	v_sub_nc_u32_e32 v81, v99, v103
	v_cmpx_lt_i32_e32 0, v81
	s_cbranch_execz .LBB4_591
; %bb.395:                              ;   in Loop: Header=BB4_310 Depth=3
	s_cbranch_execnz .LBB4_2904
; %bb.396:                              ;   in Loop: Header=BB4_310 Depth=3
	ds_load_b128 v[8:11], v0
	ds_load_b64 v[12:13], v0
	s_bitcmp1_b32 s31, 0
	s_mov_b32 s34, 0
	s_cselect_b32 s35, -1, 0
	s_waitcnt lgkmcnt(1)
	v_add_co_u32 v84, vcc_lo, v8, v144
	v_add_co_ci_u32_e32 v85, vcc_lo, v9, v145, vcc_lo
	v_add_co_u32 v86, vcc_lo, v10, v144
	v_add_co_ci_u32_e32 v87, vcc_lo, v11, v145, vcc_lo
	s_waitcnt lgkmcnt(0)
	v_add_co_u32 v96, vcc_lo, v12, v144
	v_add_co_ci_u32_e32 v97, vcc_lo, v13, v145, vcc_lo
	s_branch .LBB4_400
.LBB4_397:                              ;   in Loop: Header=BB4_400 Depth=4
	s_or_b32 exec_lo, exec_lo, s36
	s_delay_alu instid0(VALU_DEP_1)
	v_mov_b32_e32 v160, v150
.LBB4_398:                              ;   in Loop: Header=BB4_400 Depth=4
	s_or_b32 exec_lo, exec_lo, s15
	s_delay_alu instid0(VALU_DEP_1)
	v_mov_b32_e32 v14, v160
.LBB4_399:                              ;   in Loop: Header=BB4_400 Depth=4
	v_lshlrev_b32_e32 v11, 16, v16
	v_and_b32_e32 v16, 0xffff, v149
	v_lshlrev_b32_e32 v19, 16, v19
	v_and_b32_e32 v18, 0xffff, v18
	;; [unrolled: 2-line block ×3, first 2 shown]
	v_or_b32_e32 v11, v11, v16
	v_lshlrev_b32_e32 v8, 16, v8
	v_or3_b32 v19, v19, v18, 0
	v_and_b32_e32 v18, 0xffff, v23
	v_lshlrev_b32_e32 v10, 16, v10
	v_and_b32_e32 v13, 0xffff, v13
	v_lshlrev_b32_e32 v20, 16, v20
	v_and_b32_e32 v17, 0xffff, v17
	v_or3_b32 v16, 0, 0, v11
	v_or_b32_e32 v11, v22, v21
	v_lshlrev_b32_e32 v12, 16, v12
	v_and_b32_e32 v9, 0xffff, v9
	v_or_b32_e32 v8, v8, v18
	v_lshlrev_b32_e32 v14, 16, v14
	v_and_b32_e32 v15, 0xffff, v15
	v_or_b32_e32 v10, v10, v13
	v_add_co_u32 v84, vcc_lo, v84, v146
	v_or3_b32 v17, v20, v17, 0
	v_or3_b32 v18, 0, 0, v11
	v_sub_nc_u32_e32 v81, v81, v113
	v_or3_b32 v9, v12, v9, 0
	v_or3_b32 v8, 0, 0, v8
	;; [unrolled: 1-line block ×4, first 2 shown]
	v_add_co_ci_u32_e32 v85, vcc_lo, v85, v147, vcc_lo
	v_add_co_u32 v86, vcc_lo, v86, v146
	v_add_co_ci_u32_e32 v87, vcc_lo, v87, v147, vcc_lo
	s_clause 0x1
	global_store_b128 v[96:97], v[16:19], off glc slc dlc
	global_store_b128 v[96:97], v[8:11], off offset:512 glc slc dlc
	v_cmp_gt_i32_e32 vcc_lo, 1, v81
	v_add_co_u32 v96, s13, v96, v146
	s_delay_alu instid0(VALU_DEP_1) | instskip(SKIP_1) | instid1(SALU_CYCLE_1)
	v_add_co_ci_u32_e64 v97, s13, v97, v147, s13
	s_or_b32 s34, vcc_lo, s34
	s_and_not1_b32 exec_lo, exec_lo, s34
	s_cbranch_execz .LBB4_590
.LBB4_400:                              ;   Parent Loop BB4_51 Depth=1
                                        ;     Parent Loop BB4_308 Depth=2
                                        ;       Parent Loop BB4_310 Depth=3
                                        ; =>      This Inner Loop Header: Depth=4
	global_load_b128 v[20:23], v[84:85], off slc dlc
	global_load_b128 v[16:19], v[86:87], off slc dlc
	global_load_b128 v[12:15], v[84:85], off offset:512 slc dlc
	global_load_b128 v[8:11], v[86:87], off offset:512 slc dlc
	s_mov_b32 s15, -1
	s_and_b32 vcc_lo, exec_lo, s35
	s_waitcnt vmcnt(3)
	v_and_b32_e32 v149, 0x7fff, v20
	s_waitcnt vmcnt(2)
	v_and_b32_e32 v150, 0x7fff, v16
	v_perm_b32 v151, v16, v20, 0x5040100
	s_delay_alu instid0(VALU_DEP_3) | instskip(NEXT) | instid1(VALU_DEP_3)
	v_cmp_lt_u16_e64 s13, 0x7c00, v149
	v_cmp_gt_u16_e64 s14, 0x7c01, v150
                                        ; implicit-def: $vgpr149
	s_delay_alu instid0(VALU_DEP_1) | instskip(NEXT) | instid1(SALU_CYCLE_1)
	s_and_b32 s36, s13, s14
	s_xor_b32 s36, s36, -1
	s_cbranch_vccz .LBB4_406
; %bb.401:                              ;   in Loop: Header=BB4_400 Depth=4
	v_mov_b32_e32 v149, v16
	s_and_saveexec_b32 s37, s36
	s_cbranch_execz .LBB4_405
; %bb.402:                              ;   in Loop: Header=BB4_400 Depth=4
	v_mov_b32_e32 v149, v20
	s_or_b32 s15, s13, s14
	s_delay_alu instid0(SALU_CYCLE_1)
	s_and_saveexec_b32 s38, s15
; %bb.403:                              ;   in Loop: Header=BB4_400 Depth=4
	v_lshrrev_b32_e32 v149, 16, v151
	v_cmp_lt_u16_e64 vcc_lo, 0x7c00, v150
	s_delay_alu instid0(VALU_DEP_2) | instskip(NEXT) | instid1(VALU_DEP_1)
	v_cmp_gt_f16_e64 s15, v151, v149
	v_cndmask_b32_e64 v149, v149, v151, s15
	s_delay_alu instid0(VALU_DEP_3)
	s_and_b32 s15, s13, vcc_lo
	s_delay_alu instid0(VALU_DEP_1) | instid1(SALU_CYCLE_1)
	v_cndmask_b32_e64 v149, v149, 0x7fff, s15
; %bb.404:                              ;   in Loop: Header=BB4_400 Depth=4
	s_or_b32 exec_lo, exec_lo, s38
.LBB4_405:                              ;   in Loop: Header=BB4_400 Depth=4
	s_delay_alu instid0(SALU_CYCLE_1)
	s_or_b32 exec_lo, exec_lo, s37
	s_mov_b32 s15, 0
.LBB4_406:                              ;   in Loop: Header=BB4_400 Depth=4
	s_delay_alu instid0(SALU_CYCLE_1)
	s_and_not1_b32 vcc_lo, exec_lo, s15
	s_cbranch_vccnz .LBB4_412
; %bb.407:                              ;   in Loop: Header=BB4_400 Depth=4
	v_mov_b32_e32 v149, v16
	s_and_saveexec_b32 s15, s36
	s_cbranch_execz .LBB4_411
; %bb.408:                              ;   in Loop: Header=BB4_400 Depth=4
	v_mov_b32_e32 v149, v20
	s_or_b32 s14, s13, s14
	s_delay_alu instid0(SALU_CYCLE_1)
	s_and_saveexec_b32 s36, s14
; %bb.409:                              ;   in Loop: Header=BB4_400 Depth=4
	v_lshrrev_b32_e32 v149, 16, v151
	v_cmp_lt_u16_e64 vcc_lo, 0x7c00, v150
	s_delay_alu instid0(VALU_DEP_2) | instskip(NEXT) | instid1(VALU_DEP_2)
	v_cmp_gt_f16_e64 s14, v151, v149
	s_and_b32 s13, s13, vcc_lo
	s_delay_alu instid0(VALU_DEP_1) | instskip(NEXT) | instid1(VALU_DEP_1)
	v_cndmask_b32_e64 v149, v151, v149, s14
	v_cndmask_b32_e64 v149, v149, 0x7fff, s13
; %bb.410:                              ;   in Loop: Header=BB4_400 Depth=4
	s_or_b32 exec_lo, exec_lo, s36
.LBB4_411:                              ;   in Loop: Header=BB4_400 Depth=4
	s_delay_alu instid0(SALU_CYCLE_1)
	s_or_b32 exec_lo, exec_lo, s15
.LBB4_412:                              ;   in Loop: Header=BB4_400 Depth=4
	v_mov_b32_e32 v161, v20
	v_mov_b32_e32 v162, v16
	;; [unrolled: 1-line block ×4, first 2 shown]
	s_mov_b32 s15, -1
	v_lshrrev_b32_e32 v150, 16, v161
	v_lshrrev_b32_e32 v160, 16, v162
	s_and_b32 vcc_lo, exec_lo, s35
	s_delay_alu instid0(VALU_DEP_2) | instskip(NEXT) | instid1(VALU_DEP_2)
	v_and_b32_e32 v16, 0x7fff, v150
	v_and_b32_e32 v151, 0x7fff, v160
	v_perm_b32 v17, v162, v161, 0x7060302
	s_delay_alu instid0(VALU_DEP_3) | instskip(NEXT) | instid1(VALU_DEP_3)
	v_cmp_lt_u16_e64 s13, 0x7c00, v16
	v_cmp_gt_u16_e64 s14, 0x7c01, v151
                                        ; implicit-def: $vgpr16
	s_delay_alu instid0(VALU_DEP_1) | instskip(NEXT) | instid1(SALU_CYCLE_1)
	s_and_b32 s36, s13, s14
	s_xor_b32 s36, s36, -1
	s_cbranch_vccz .LBB4_418
; %bb.413:                              ;   in Loop: Header=BB4_400 Depth=4
	v_mov_b32_e32 v16, v160
	s_and_saveexec_b32 s37, s36
	s_cbranch_execz .LBB4_417
; %bb.414:                              ;   in Loop: Header=BB4_400 Depth=4
	v_mov_b32_e32 v16, v150
	s_or_b32 s15, s13, s14
	s_delay_alu instid0(SALU_CYCLE_1)
	s_and_saveexec_b32 s38, s15
; %bb.415:                              ;   in Loop: Header=BB4_400 Depth=4
	v_lshrrev_b32_e32 v16, 16, v17
	v_cmp_lt_u16_e64 vcc_lo, 0x7c00, v151
	s_delay_alu instid0(VALU_DEP_2) | instskip(NEXT) | instid1(VALU_DEP_1)
	v_cmp_gt_f16_e64 s15, v17, v16
	v_cndmask_b32_e64 v16, v16, v17, s15
	s_delay_alu instid0(VALU_DEP_3)
	s_and_b32 s15, s13, vcc_lo
	s_delay_alu instid0(VALU_DEP_1) | instid1(SALU_CYCLE_1)
	v_cndmask_b32_e64 v16, v16, 0x7fff, s15
; %bb.416:                              ;   in Loop: Header=BB4_400 Depth=4
	s_or_b32 exec_lo, exec_lo, s38
.LBB4_417:                              ;   in Loop: Header=BB4_400 Depth=4
	s_delay_alu instid0(SALU_CYCLE_1)
	s_or_b32 exec_lo, exec_lo, s37
	s_mov_b32 s15, 0
.LBB4_418:                              ;   in Loop: Header=BB4_400 Depth=4
	s_delay_alu instid0(SALU_CYCLE_1)
	s_and_not1_b32 vcc_lo, exec_lo, s15
	s_cbranch_vccnz .LBB4_424
; %bb.419:                              ;   in Loop: Header=BB4_400 Depth=4
	s_and_saveexec_b32 s15, s36
	s_cbranch_execz .LBB4_423
; %bb.420:                              ;   in Loop: Header=BB4_400 Depth=4
	s_or_b32 s14, s13, s14
	s_delay_alu instid0(SALU_CYCLE_1)
	s_and_saveexec_b32 s36, s14
; %bb.421:                              ;   in Loop: Header=BB4_400 Depth=4
	v_lshrrev_b32_e32 v16, 16, v17
	v_cmp_lt_u16_e64 vcc_lo, 0x7c00, v151
	s_delay_alu instid0(VALU_DEP_2) | instskip(NEXT) | instid1(VALU_DEP_2)
	v_cmp_gt_f16_e64 s14, v17, v16
	s_and_b32 s13, s13, vcc_lo
	s_delay_alu instid0(VALU_DEP_1) | instskip(NEXT) | instid1(VALU_DEP_1)
	v_cndmask_b32_e64 v16, v17, v16, s14
	v_cndmask_b32_e64 v150, v16, 0x7fff, s13
; %bb.422:                              ;   in Loop: Header=BB4_400 Depth=4
	s_or_b32 exec_lo, exec_lo, s36
	s_delay_alu instid0(VALU_DEP_1)
	v_mov_b32_e32 v160, v150
.LBB4_423:                              ;   in Loop: Header=BB4_400 Depth=4
	s_or_b32 exec_lo, exec_lo, s15
	s_delay_alu instid0(VALU_DEP_1)
	v_mov_b32_e32 v16, v160
.LBB4_424:                              ;   in Loop: Header=BB4_400 Depth=4
	v_and_b32_e32 v17, 0x7fff, v20
	v_and_b32_e32 v150, 0x7fff, v21
	v_perm_b32 v151, v21, v20, 0x5040100
	s_mov_b32 s15, -1
	s_and_b32 vcc_lo, exec_lo, s35
	v_cmp_lt_u16_e64 s13, 0x7c00, v17
	v_cmp_gt_u16_e64 s14, 0x7c01, v150
                                        ; implicit-def: $vgpr17
	s_delay_alu instid0(VALU_DEP_1) | instskip(NEXT) | instid1(SALU_CYCLE_1)
	s_and_b32 s36, s13, s14
	s_xor_b32 s36, s36, -1
	s_cbranch_vccz .LBB4_430
; %bb.425:                              ;   in Loop: Header=BB4_400 Depth=4
	v_mov_b32_e32 v17, v21
	s_and_saveexec_b32 s37, s36
	s_cbranch_execz .LBB4_429
; %bb.426:                              ;   in Loop: Header=BB4_400 Depth=4
	v_mov_b32_e32 v17, v20
	s_or_b32 s15, s13, s14
	s_delay_alu instid0(SALU_CYCLE_1)
	s_and_saveexec_b32 s38, s15
; %bb.427:                              ;   in Loop: Header=BB4_400 Depth=4
	v_lshrrev_b32_e32 v17, 16, v151
	v_cmp_lt_u16_e64 vcc_lo, 0x7c00, v150
	s_delay_alu instid0(VALU_DEP_2) | instskip(NEXT) | instid1(VALU_DEP_1)
	v_cmp_gt_f16_e64 s15, v151, v17
	v_cndmask_b32_e64 v17, v17, v151, s15
	s_delay_alu instid0(VALU_DEP_3)
	s_and_b32 s15, s13, vcc_lo
	s_delay_alu instid0(VALU_DEP_1) | instid1(SALU_CYCLE_1)
	v_cndmask_b32_e64 v17, v17, 0x7fff, s15
; %bb.428:                              ;   in Loop: Header=BB4_400 Depth=4
	s_or_b32 exec_lo, exec_lo, s38
.LBB4_429:                              ;   in Loop: Header=BB4_400 Depth=4
	s_delay_alu instid0(SALU_CYCLE_1)
	s_or_b32 exec_lo, exec_lo, s37
	s_mov_b32 s15, 0
.LBB4_430:                              ;   in Loop: Header=BB4_400 Depth=4
	s_delay_alu instid0(SALU_CYCLE_1)
	s_and_not1_b32 vcc_lo, exec_lo, s15
	s_cbranch_vccnz .LBB4_436
; %bb.431:                              ;   in Loop: Header=BB4_400 Depth=4
	v_mov_b32_e32 v17, v21
	s_and_saveexec_b32 s15, s36
	s_cbranch_execz .LBB4_435
; %bb.432:                              ;   in Loop: Header=BB4_400 Depth=4
	v_mov_b32_e32 v17, v20
	s_or_b32 s14, s13, s14
	s_delay_alu instid0(SALU_CYCLE_1)
	s_and_saveexec_b32 s36, s14
; %bb.433:                              ;   in Loop: Header=BB4_400 Depth=4
	v_lshrrev_b32_e32 v17, 16, v151
	v_cmp_lt_u16_e64 vcc_lo, 0x7c00, v150
	s_delay_alu instid0(VALU_DEP_2) | instskip(NEXT) | instid1(VALU_DEP_2)
	v_cmp_gt_f16_e64 s14, v151, v17
	s_and_b32 s13, s13, vcc_lo
	s_delay_alu instid0(VALU_DEP_1) | instskip(NEXT) | instid1(VALU_DEP_1)
	v_cndmask_b32_e64 v17, v151, v17, s14
	v_cndmask_b32_e64 v17, v17, 0x7fff, s13
; %bb.434:                              ;   in Loop: Header=BB4_400 Depth=4
	s_or_b32 exec_lo, exec_lo, s36
.LBB4_435:                              ;   in Loop: Header=BB4_400 Depth=4
	s_delay_alu instid0(SALU_CYCLE_1)
	s_or_b32 exec_lo, exec_lo, s15
.LBB4_436:                              ;   in Loop: Header=BB4_400 Depth=4
	v_lshrrev_b32_e32 v150, 16, v20
	v_lshrrev_b32_e32 v160, 16, v21
	v_perm_b32 v21, v21, v20, 0x7060302
	s_mov_b32 s15, -1
	s_and_b32 vcc_lo, exec_lo, s35
	v_and_b32_e32 v161, 0x7fff, v150
	v_and_b32_e32 v151, 0x7fff, v160
                                        ; implicit-def: $vgpr20
	s_delay_alu instid0(VALU_DEP_2) | instskip(NEXT) | instid1(VALU_DEP_2)
	v_cmp_lt_u16_e64 s13, 0x7c00, v161
	v_cmp_gt_u16_e64 s14, 0x7c01, v151
	s_delay_alu instid0(VALU_DEP_1) | instskip(NEXT) | instid1(SALU_CYCLE_1)
	s_and_b32 s36, s13, s14
	s_xor_b32 s36, s36, -1
	s_cbranch_vccz .LBB4_442
; %bb.437:                              ;   in Loop: Header=BB4_400 Depth=4
	v_mov_b32_e32 v20, v160
	s_and_saveexec_b32 s37, s36
	s_cbranch_execz .LBB4_441
; %bb.438:                              ;   in Loop: Header=BB4_400 Depth=4
	v_mov_b32_e32 v20, v150
	s_or_b32 s15, s13, s14
	s_delay_alu instid0(SALU_CYCLE_1)
	s_and_saveexec_b32 s38, s15
; %bb.439:                              ;   in Loop: Header=BB4_400 Depth=4
	v_lshrrev_b32_e32 v20, 16, v21
	v_cmp_lt_u16_e64 vcc_lo, 0x7c00, v151
	s_delay_alu instid0(VALU_DEP_2) | instskip(NEXT) | instid1(VALU_DEP_1)
	v_cmp_gt_f16_e64 s15, v21, v20
	v_cndmask_b32_e64 v20, v20, v21, s15
	s_delay_alu instid0(VALU_DEP_3)
	s_and_b32 s15, s13, vcc_lo
	s_delay_alu instid0(VALU_DEP_1) | instid1(SALU_CYCLE_1)
	v_cndmask_b32_e64 v20, v20, 0x7fff, s15
; %bb.440:                              ;   in Loop: Header=BB4_400 Depth=4
	s_or_b32 exec_lo, exec_lo, s38
.LBB4_441:                              ;   in Loop: Header=BB4_400 Depth=4
	s_delay_alu instid0(SALU_CYCLE_1)
	s_or_b32 exec_lo, exec_lo, s37
	s_mov_b32 s15, 0
.LBB4_442:                              ;   in Loop: Header=BB4_400 Depth=4
	s_delay_alu instid0(SALU_CYCLE_1)
	s_and_not1_b32 vcc_lo, exec_lo, s15
	s_cbranch_vccnz .LBB4_448
; %bb.443:                              ;   in Loop: Header=BB4_400 Depth=4
	s_and_saveexec_b32 s15, s36
	s_cbranch_execz .LBB4_447
; %bb.444:                              ;   in Loop: Header=BB4_400 Depth=4
	s_or_b32 s14, s13, s14
	s_delay_alu instid0(SALU_CYCLE_1)
	s_and_saveexec_b32 s36, s14
; %bb.445:                              ;   in Loop: Header=BB4_400 Depth=4
	v_lshrrev_b32_e32 v20, 16, v21
	v_cmp_lt_u16_e64 vcc_lo, 0x7c00, v151
	s_delay_alu instid0(VALU_DEP_2) | instskip(NEXT) | instid1(VALU_DEP_2)
	v_cmp_gt_f16_e64 s14, v21, v20
	s_and_b32 s13, s13, vcc_lo
	s_delay_alu instid0(VALU_DEP_1) | instskip(NEXT) | instid1(VALU_DEP_1)
	v_cndmask_b32_e64 v20, v21, v20, s14
	v_cndmask_b32_e64 v150, v20, 0x7fff, s13
; %bb.446:                              ;   in Loop: Header=BB4_400 Depth=4
	s_or_b32 exec_lo, exec_lo, s36
	s_delay_alu instid0(VALU_DEP_1)
	v_mov_b32_e32 v160, v150
.LBB4_447:                              ;   in Loop: Header=BB4_400 Depth=4
	s_or_b32 exec_lo, exec_lo, s15
	s_delay_alu instid0(VALU_DEP_1)
	v_mov_b32_e32 v20, v160
.LBB4_448:                              ;   in Loop: Header=BB4_400 Depth=4
	v_and_b32_e32 v21, 0x7fff, v22
	v_and_b32_e32 v150, 0x7fff, v18
	v_perm_b32 v151, v18, v22, 0x5040100
	s_mov_b32 s15, -1
	s_and_b32 vcc_lo, exec_lo, s35
	v_cmp_lt_u16_e64 s13, 0x7c00, v21
	v_cmp_gt_u16_e64 s14, 0x7c01, v150
                                        ; implicit-def: $vgpr21
	s_delay_alu instid0(VALU_DEP_1) | instskip(NEXT) | instid1(SALU_CYCLE_1)
	s_and_b32 s36, s13, s14
	s_xor_b32 s36, s36, -1
	s_cbranch_vccz .LBB4_454
; %bb.449:                              ;   in Loop: Header=BB4_400 Depth=4
	v_mov_b32_e32 v21, v18
	s_and_saveexec_b32 s37, s36
	s_cbranch_execz .LBB4_453
; %bb.450:                              ;   in Loop: Header=BB4_400 Depth=4
	v_mov_b32_e32 v21, v22
	s_or_b32 s15, s13, s14
	s_delay_alu instid0(SALU_CYCLE_1)
	s_and_saveexec_b32 s38, s15
; %bb.451:                              ;   in Loop: Header=BB4_400 Depth=4
	v_lshrrev_b32_e32 v21, 16, v151
	v_cmp_lt_u16_e64 vcc_lo, 0x7c00, v150
	s_delay_alu instid0(VALU_DEP_2) | instskip(NEXT) | instid1(VALU_DEP_1)
	v_cmp_gt_f16_e64 s15, v151, v21
	v_cndmask_b32_e64 v21, v21, v151, s15
	s_delay_alu instid0(VALU_DEP_3)
	s_and_b32 s15, s13, vcc_lo
	s_delay_alu instid0(VALU_DEP_1) | instid1(SALU_CYCLE_1)
	v_cndmask_b32_e64 v21, v21, 0x7fff, s15
; %bb.452:                              ;   in Loop: Header=BB4_400 Depth=4
	s_or_b32 exec_lo, exec_lo, s38
.LBB4_453:                              ;   in Loop: Header=BB4_400 Depth=4
	s_delay_alu instid0(SALU_CYCLE_1)
	s_or_b32 exec_lo, exec_lo, s37
	s_mov_b32 s15, 0
.LBB4_454:                              ;   in Loop: Header=BB4_400 Depth=4
	s_delay_alu instid0(SALU_CYCLE_1)
	s_and_not1_b32 vcc_lo, exec_lo, s15
	s_cbranch_vccnz .LBB4_460
; %bb.455:                              ;   in Loop: Header=BB4_400 Depth=4
	v_mov_b32_e32 v21, v18
	s_and_saveexec_b32 s15, s36
	s_cbranch_execz .LBB4_459
; %bb.456:                              ;   in Loop: Header=BB4_400 Depth=4
	v_mov_b32_e32 v21, v22
	s_or_b32 s14, s13, s14
	s_delay_alu instid0(SALU_CYCLE_1)
	s_and_saveexec_b32 s36, s14
; %bb.457:                              ;   in Loop: Header=BB4_400 Depth=4
	v_lshrrev_b32_e32 v21, 16, v151
	v_cmp_lt_u16_e64 vcc_lo, 0x7c00, v150
	s_delay_alu instid0(VALU_DEP_2) | instskip(NEXT) | instid1(VALU_DEP_2)
	v_cmp_gt_f16_e64 s14, v151, v21
	s_and_b32 s13, s13, vcc_lo
	s_delay_alu instid0(VALU_DEP_1) | instskip(NEXT) | instid1(VALU_DEP_1)
	v_cndmask_b32_e64 v21, v151, v21, s14
	v_cndmask_b32_e64 v21, v21, 0x7fff, s13
; %bb.458:                              ;   in Loop: Header=BB4_400 Depth=4
	s_or_b32 exec_lo, exec_lo, s36
.LBB4_459:                              ;   in Loop: Header=BB4_400 Depth=4
	s_delay_alu instid0(SALU_CYCLE_1)
	s_or_b32 exec_lo, exec_lo, s15
.LBB4_460:                              ;   in Loop: Header=BB4_400 Depth=4
	v_mov_b32_e32 v161, v22
	v_lshrrev_b32_e32 v160, 16, v18
	s_mov_b32 s15, -1
	s_and_b32 vcc_lo, exec_lo, s35
	s_delay_alu instid0(VALU_DEP_2) | instskip(NEXT) | instid1(VALU_DEP_2)
	v_lshrrev_b32_e32 v150, 16, v161
	v_and_b32_e32 v151, 0x7fff, v160
	s_delay_alu instid0(VALU_DEP_2) | instskip(NEXT) | instid1(VALU_DEP_2)
	v_and_b32_e32 v22, 0x7fff, v150
	v_cmp_gt_u16_e64 s14, 0x7c01, v151
	v_perm_b32 v18, v18, v161, 0x7060302
	s_delay_alu instid0(VALU_DEP_3) | instskip(NEXT) | instid1(VALU_DEP_1)
	v_cmp_lt_u16_e64 s13, 0x7c00, v22
                                        ; implicit-def: $vgpr22
	s_and_b32 s36, s13, s14
	s_delay_alu instid0(SALU_CYCLE_1)
	s_xor_b32 s36, s36, -1
	s_cbranch_vccz .LBB4_466
; %bb.461:                              ;   in Loop: Header=BB4_400 Depth=4
	v_mov_b32_e32 v22, v160
	s_and_saveexec_b32 s37, s36
	s_cbranch_execz .LBB4_465
; %bb.462:                              ;   in Loop: Header=BB4_400 Depth=4
	v_mov_b32_e32 v22, v150
	s_or_b32 s15, s13, s14
	s_delay_alu instid0(SALU_CYCLE_1)
	s_and_saveexec_b32 s38, s15
; %bb.463:                              ;   in Loop: Header=BB4_400 Depth=4
	v_lshrrev_b32_e32 v22, 16, v18
	v_cmp_lt_u16_e64 vcc_lo, 0x7c00, v151
	s_delay_alu instid0(VALU_DEP_2) | instskip(NEXT) | instid1(VALU_DEP_1)
	v_cmp_gt_f16_e64 s15, v18, v22
	v_cndmask_b32_e64 v22, v22, v18, s15
	s_delay_alu instid0(VALU_DEP_3)
	s_and_b32 s15, s13, vcc_lo
	s_delay_alu instid0(VALU_DEP_1) | instid1(SALU_CYCLE_1)
	v_cndmask_b32_e64 v22, v22, 0x7fff, s15
; %bb.464:                              ;   in Loop: Header=BB4_400 Depth=4
	s_or_b32 exec_lo, exec_lo, s38
.LBB4_465:                              ;   in Loop: Header=BB4_400 Depth=4
	s_delay_alu instid0(SALU_CYCLE_1)
	s_or_b32 exec_lo, exec_lo, s37
	s_mov_b32 s15, 0
.LBB4_466:                              ;   in Loop: Header=BB4_400 Depth=4
	s_delay_alu instid0(SALU_CYCLE_1)
	s_and_not1_b32 vcc_lo, exec_lo, s15
	s_cbranch_vccnz .LBB4_472
; %bb.467:                              ;   in Loop: Header=BB4_400 Depth=4
	s_and_saveexec_b32 s15, s36
	s_cbranch_execz .LBB4_471
; %bb.468:                              ;   in Loop: Header=BB4_400 Depth=4
	s_or_b32 s14, s13, s14
	s_delay_alu instid0(SALU_CYCLE_1)
	s_and_saveexec_b32 s36, s14
; %bb.469:                              ;   in Loop: Header=BB4_400 Depth=4
	v_lshrrev_b32_e32 v22, 16, v18
	v_cmp_lt_u16_e64 vcc_lo, 0x7c00, v151
	s_delay_alu instid0(VALU_DEP_2) | instskip(NEXT) | instid1(VALU_DEP_2)
	v_cmp_gt_f16_e64 s14, v18, v22
	s_and_b32 s13, s13, vcc_lo
	s_delay_alu instid0(VALU_DEP_1) | instskip(NEXT) | instid1(VALU_DEP_1)
	v_cndmask_b32_e64 v18, v18, v22, s14
	v_cndmask_b32_e64 v150, v18, 0x7fff, s13
; %bb.470:                              ;   in Loop: Header=BB4_400 Depth=4
	s_or_b32 exec_lo, exec_lo, s36
	s_delay_alu instid0(VALU_DEP_1)
	v_mov_b32_e32 v160, v150
.LBB4_471:                              ;   in Loop: Header=BB4_400 Depth=4
	s_or_b32 exec_lo, exec_lo, s15
	s_delay_alu instid0(VALU_DEP_1)
	v_mov_b32_e32 v22, v160
.LBB4_472:                              ;   in Loop: Header=BB4_400 Depth=4
	v_and_b32_e32 v18, 0x7fff, v23
	v_and_b32_e32 v150, 0x7fff, v19
	v_perm_b32 v151, v19, v23, 0x5040100
	s_mov_b32 s15, -1
	s_and_b32 vcc_lo, exec_lo, s35
	v_cmp_lt_u16_e64 s13, 0x7c00, v18
	v_cmp_gt_u16_e64 s14, 0x7c01, v150
                                        ; implicit-def: $vgpr18
	s_delay_alu instid0(VALU_DEP_1) | instskip(NEXT) | instid1(SALU_CYCLE_1)
	s_and_b32 s36, s13, s14
	s_xor_b32 s36, s36, -1
	s_cbranch_vccz .LBB4_478
; %bb.473:                              ;   in Loop: Header=BB4_400 Depth=4
	v_mov_b32_e32 v18, v19
	s_and_saveexec_b32 s37, s36
	s_cbranch_execz .LBB4_477
; %bb.474:                              ;   in Loop: Header=BB4_400 Depth=4
	v_mov_b32_e32 v18, v23
	s_or_b32 s15, s13, s14
	s_delay_alu instid0(SALU_CYCLE_1)
	s_and_saveexec_b32 s38, s15
; %bb.475:                              ;   in Loop: Header=BB4_400 Depth=4
	v_lshrrev_b32_e32 v18, 16, v151
	v_cmp_lt_u16_e64 vcc_lo, 0x7c00, v150
	s_delay_alu instid0(VALU_DEP_2) | instskip(NEXT) | instid1(VALU_DEP_1)
	v_cmp_gt_f16_e64 s15, v151, v18
	v_cndmask_b32_e64 v18, v18, v151, s15
	s_delay_alu instid0(VALU_DEP_3)
	s_and_b32 s15, s13, vcc_lo
	s_delay_alu instid0(VALU_DEP_1) | instid1(SALU_CYCLE_1)
	v_cndmask_b32_e64 v18, v18, 0x7fff, s15
; %bb.476:                              ;   in Loop: Header=BB4_400 Depth=4
	s_or_b32 exec_lo, exec_lo, s38
.LBB4_477:                              ;   in Loop: Header=BB4_400 Depth=4
	s_delay_alu instid0(SALU_CYCLE_1)
	s_or_b32 exec_lo, exec_lo, s37
	s_mov_b32 s15, 0
.LBB4_478:                              ;   in Loop: Header=BB4_400 Depth=4
	s_delay_alu instid0(SALU_CYCLE_1)
	s_and_not1_b32 vcc_lo, exec_lo, s15
	s_cbranch_vccnz .LBB4_484
; %bb.479:                              ;   in Loop: Header=BB4_400 Depth=4
	v_mov_b32_e32 v18, v19
	s_and_saveexec_b32 s15, s36
	s_cbranch_execz .LBB4_483
; %bb.480:                              ;   in Loop: Header=BB4_400 Depth=4
	v_mov_b32_e32 v18, v23
	s_or_b32 s14, s13, s14
	s_delay_alu instid0(SALU_CYCLE_1)
	s_and_saveexec_b32 s36, s14
; %bb.481:                              ;   in Loop: Header=BB4_400 Depth=4
	v_lshrrev_b32_e32 v18, 16, v151
	v_cmp_lt_u16_e64 vcc_lo, 0x7c00, v150
	s_delay_alu instid0(VALU_DEP_2) | instskip(NEXT) | instid1(VALU_DEP_2)
	v_cmp_gt_f16_e64 s14, v151, v18
	s_and_b32 s13, s13, vcc_lo
	s_delay_alu instid0(VALU_DEP_1) | instskip(NEXT) | instid1(VALU_DEP_1)
	v_cndmask_b32_e64 v18, v151, v18, s14
	v_cndmask_b32_e64 v18, v18, 0x7fff, s13
; %bb.482:                              ;   in Loop: Header=BB4_400 Depth=4
	s_or_b32 exec_lo, exec_lo, s36
.LBB4_483:                              ;   in Loop: Header=BB4_400 Depth=4
	s_delay_alu instid0(SALU_CYCLE_1)
	s_or_b32 exec_lo, exec_lo, s15
.LBB4_484:                              ;   in Loop: Header=BB4_400 Depth=4
	v_lshrrev_b32_e32 v150, 16, v23
	v_lshrrev_b32_e32 v160, 16, v19
	v_perm_b32 v23, v19, v23, 0x7060302
	s_mov_b32 s15, -1
	s_and_b32 vcc_lo, exec_lo, s35
	v_and_b32_e32 v161, 0x7fff, v150
	v_and_b32_e32 v151, 0x7fff, v160
                                        ; implicit-def: $vgpr19
	s_delay_alu instid0(VALU_DEP_2) | instskip(NEXT) | instid1(VALU_DEP_2)
	v_cmp_lt_u16_e64 s13, 0x7c00, v161
	v_cmp_gt_u16_e64 s14, 0x7c01, v151
	s_delay_alu instid0(VALU_DEP_1) | instskip(NEXT) | instid1(SALU_CYCLE_1)
	s_and_b32 s36, s13, s14
	s_xor_b32 s36, s36, -1
	s_cbranch_vccz .LBB4_490
; %bb.485:                              ;   in Loop: Header=BB4_400 Depth=4
	v_mov_b32_e32 v19, v160
	s_and_saveexec_b32 s37, s36
	s_cbranch_execz .LBB4_489
; %bb.486:                              ;   in Loop: Header=BB4_400 Depth=4
	v_mov_b32_e32 v19, v150
	s_or_b32 s15, s13, s14
	s_delay_alu instid0(SALU_CYCLE_1)
	s_and_saveexec_b32 s38, s15
; %bb.487:                              ;   in Loop: Header=BB4_400 Depth=4
	v_lshrrev_b32_e32 v19, 16, v23
	v_cmp_lt_u16_e64 vcc_lo, 0x7c00, v151
	s_delay_alu instid0(VALU_DEP_2) | instskip(NEXT) | instid1(VALU_DEP_1)
	v_cmp_gt_f16_e64 s15, v23, v19
	v_cndmask_b32_e64 v19, v19, v23, s15
	s_delay_alu instid0(VALU_DEP_3)
	s_and_b32 s15, s13, vcc_lo
	s_delay_alu instid0(VALU_DEP_1) | instid1(SALU_CYCLE_1)
	v_cndmask_b32_e64 v19, v19, 0x7fff, s15
; %bb.488:                              ;   in Loop: Header=BB4_400 Depth=4
	s_or_b32 exec_lo, exec_lo, s38
.LBB4_489:                              ;   in Loop: Header=BB4_400 Depth=4
	s_delay_alu instid0(SALU_CYCLE_1)
	s_or_b32 exec_lo, exec_lo, s37
	s_mov_b32 s15, 0
.LBB4_490:                              ;   in Loop: Header=BB4_400 Depth=4
	s_delay_alu instid0(SALU_CYCLE_1)
	s_and_not1_b32 vcc_lo, exec_lo, s15
	s_cbranch_vccnz .LBB4_496
; %bb.491:                              ;   in Loop: Header=BB4_400 Depth=4
	s_and_saveexec_b32 s15, s36
	s_cbranch_execz .LBB4_495
; %bb.492:                              ;   in Loop: Header=BB4_400 Depth=4
	s_or_b32 s14, s13, s14
	s_delay_alu instid0(SALU_CYCLE_1)
	s_and_saveexec_b32 s36, s14
; %bb.493:                              ;   in Loop: Header=BB4_400 Depth=4
	v_lshrrev_b32_e32 v19, 16, v23
	v_cmp_lt_u16_e64 vcc_lo, 0x7c00, v151
	s_delay_alu instid0(VALU_DEP_2) | instskip(NEXT) | instid1(VALU_DEP_2)
	v_cmp_gt_f16_e64 s14, v23, v19
	s_and_b32 s13, s13, vcc_lo
	s_delay_alu instid0(VALU_DEP_1) | instskip(NEXT) | instid1(VALU_DEP_1)
	v_cndmask_b32_e64 v19, v23, v19, s14
	v_cndmask_b32_e64 v150, v19, 0x7fff, s13
; %bb.494:                              ;   in Loop: Header=BB4_400 Depth=4
	s_or_b32 exec_lo, exec_lo, s36
	s_delay_alu instid0(VALU_DEP_1)
	v_mov_b32_e32 v160, v150
.LBB4_495:                              ;   in Loop: Header=BB4_400 Depth=4
	s_or_b32 exec_lo, exec_lo, s15
	s_delay_alu instid0(VALU_DEP_1)
	v_mov_b32_e32 v19, v160
.LBB4_496:                              ;   in Loop: Header=BB4_400 Depth=4
	s_waitcnt vmcnt(1)
	v_and_b32_e32 v23, 0x7fff, v12
	s_waitcnt vmcnt(0)
	v_and_b32_e32 v150, 0x7fff, v8
	v_perm_b32 v151, v8, v12, 0x5040100
	s_mov_b32 s15, -1
	s_and_not1_b32 vcc_lo, exec_lo, s35
	v_cmp_lt_u16_e64 s13, 0x7c00, v23
	v_cmp_gt_u16_e64 s14, 0x7c01, v150
                                        ; implicit-def: $vgpr23
	s_delay_alu instid0(VALU_DEP_1) | instskip(NEXT) | instid1(SALU_CYCLE_1)
	s_and_b32 s36, s13, s14
	s_xor_b32 s36, s36, -1
	s_cbranch_vccnz .LBB4_502
; %bb.497:                              ;   in Loop: Header=BB4_400 Depth=4
	v_mov_b32_e32 v23, v8
	s_and_saveexec_b32 s37, s36
	s_cbranch_execz .LBB4_501
; %bb.498:                              ;   in Loop: Header=BB4_400 Depth=4
	v_mov_b32_e32 v23, v12
	s_or_b32 s15, s13, s14
	s_delay_alu instid0(SALU_CYCLE_1)
	s_and_saveexec_b32 s38, s15
; %bb.499:                              ;   in Loop: Header=BB4_400 Depth=4
	v_lshrrev_b32_e32 v23, 16, v151
	v_cmp_lt_u16_e64 vcc_lo, 0x7c00, v150
	s_delay_alu instid0(VALU_DEP_2) | instskip(NEXT) | instid1(VALU_DEP_1)
	v_cmp_gt_f16_e64 s15, v151, v23
	v_cndmask_b32_e64 v23, v23, v151, s15
	s_delay_alu instid0(VALU_DEP_3)
	s_and_b32 s15, s13, vcc_lo
	s_delay_alu instid0(VALU_DEP_1) | instid1(SALU_CYCLE_1)
	v_cndmask_b32_e64 v23, v23, 0x7fff, s15
; %bb.500:                              ;   in Loop: Header=BB4_400 Depth=4
	s_or_b32 exec_lo, exec_lo, s38
.LBB4_501:                              ;   in Loop: Header=BB4_400 Depth=4
	s_delay_alu instid0(SALU_CYCLE_1)
	s_or_b32 exec_lo, exec_lo, s37
	s_mov_b32 s15, 0
.LBB4_502:                              ;   in Loop: Header=BB4_400 Depth=4
	s_delay_alu instid0(SALU_CYCLE_1)
	s_and_not1_b32 vcc_lo, exec_lo, s15
	s_cbranch_vccnz .LBB4_508
; %bb.503:                              ;   in Loop: Header=BB4_400 Depth=4
	v_mov_b32_e32 v23, v8
	s_and_saveexec_b32 s15, s36
	s_cbranch_execz .LBB4_507
; %bb.504:                              ;   in Loop: Header=BB4_400 Depth=4
	v_mov_b32_e32 v23, v12
	s_or_b32 s14, s13, s14
	s_delay_alu instid0(SALU_CYCLE_1)
	s_and_saveexec_b32 s36, s14
; %bb.505:                              ;   in Loop: Header=BB4_400 Depth=4
	v_lshrrev_b32_e32 v23, 16, v151
	v_cmp_lt_u16_e64 vcc_lo, 0x7c00, v150
	s_delay_alu instid0(VALU_DEP_2) | instskip(NEXT) | instid1(VALU_DEP_2)
	v_cmp_gt_f16_e64 s14, v151, v23
	s_and_b32 s13, s13, vcc_lo
	s_delay_alu instid0(VALU_DEP_1) | instskip(NEXT) | instid1(VALU_DEP_1)
	v_cndmask_b32_e64 v23, v151, v23, s14
	v_cndmask_b32_e64 v23, v23, 0x7fff, s13
; %bb.506:                              ;   in Loop: Header=BB4_400 Depth=4
	s_or_b32 exec_lo, exec_lo, s36
.LBB4_507:                              ;   in Loop: Header=BB4_400 Depth=4
	s_delay_alu instid0(SALU_CYCLE_1)
	s_or_b32 exec_lo, exec_lo, s15
.LBB4_508:                              ;   in Loop: Header=BB4_400 Depth=4
	v_mov_b32_e32 v161, v12
	v_lshrrev_b32_e32 v160, 16, v8
	s_mov_b32 s15, -1
	s_and_not1_b32 vcc_lo, exec_lo, s35
	s_delay_alu instid0(VALU_DEP_2) | instskip(NEXT) | instid1(VALU_DEP_2)
	v_lshrrev_b32_e32 v150, 16, v161
	v_and_b32_e32 v151, 0x7fff, v160
	s_delay_alu instid0(VALU_DEP_2) | instskip(NEXT) | instid1(VALU_DEP_1)
	v_and_b32_e32 v12, 0x7fff, v150
	v_cmp_lt_u16_e64 s13, 0x7c00, v12
	v_mov_b32_e32 v12, v13
	s_delay_alu instid0(VALU_DEP_4) | instskip(SKIP_2) | instid1(VALU_DEP_3)
	v_cmp_gt_u16_e64 s14, 0x7c01, v151
	v_mov_b32_e32 v13, v9
	v_perm_b32 v9, v8, v161, 0x7060302
                                        ; implicit-def: $vgpr8
	s_and_b32 s36, s13, s14
	s_delay_alu instid0(SALU_CYCLE_1)
	s_xor_b32 s36, s36, -1
	s_cbranch_vccnz .LBB4_514
; %bb.509:                              ;   in Loop: Header=BB4_400 Depth=4
	v_mov_b32_e32 v8, v160
	s_and_saveexec_b32 s37, s36
	s_cbranch_execz .LBB4_513
; %bb.510:                              ;   in Loop: Header=BB4_400 Depth=4
	v_mov_b32_e32 v8, v150
	s_or_b32 s15, s13, s14
	s_delay_alu instid0(SALU_CYCLE_1)
	s_and_saveexec_b32 s38, s15
; %bb.511:                              ;   in Loop: Header=BB4_400 Depth=4
	v_lshrrev_b32_e32 v8, 16, v9
	v_cmp_lt_u16_e64 vcc_lo, 0x7c00, v151
	s_delay_alu instid0(VALU_DEP_2) | instskip(NEXT) | instid1(VALU_DEP_1)
	v_cmp_gt_f16_e64 s15, v9, v8
	v_cndmask_b32_e64 v8, v8, v9, s15
	s_delay_alu instid0(VALU_DEP_3)
	s_and_b32 s15, s13, vcc_lo
	s_delay_alu instid0(VALU_DEP_1) | instid1(SALU_CYCLE_1)
	v_cndmask_b32_e64 v8, v8, 0x7fff, s15
; %bb.512:                              ;   in Loop: Header=BB4_400 Depth=4
	s_or_b32 exec_lo, exec_lo, s38
.LBB4_513:                              ;   in Loop: Header=BB4_400 Depth=4
	s_delay_alu instid0(SALU_CYCLE_1)
	s_or_b32 exec_lo, exec_lo, s37
	s_mov_b32 s15, 0
.LBB4_514:                              ;   in Loop: Header=BB4_400 Depth=4
	s_delay_alu instid0(SALU_CYCLE_1)
	s_and_not1_b32 vcc_lo, exec_lo, s15
	s_cbranch_vccnz .LBB4_520
; %bb.515:                              ;   in Loop: Header=BB4_400 Depth=4
	s_and_saveexec_b32 s15, s36
	s_cbranch_execz .LBB4_519
; %bb.516:                              ;   in Loop: Header=BB4_400 Depth=4
	s_or_b32 s14, s13, s14
	s_delay_alu instid0(SALU_CYCLE_1)
	s_and_saveexec_b32 s36, s14
; %bb.517:                              ;   in Loop: Header=BB4_400 Depth=4
	v_lshrrev_b32_e32 v8, 16, v9
	v_cmp_lt_u16_e64 vcc_lo, 0x7c00, v151
	s_delay_alu instid0(VALU_DEP_2) | instskip(NEXT) | instid1(VALU_DEP_2)
	v_cmp_gt_f16_e64 s14, v9, v8
	s_and_b32 s13, s13, vcc_lo
	s_delay_alu instid0(VALU_DEP_1) | instskip(NEXT) | instid1(VALU_DEP_1)
	v_cndmask_b32_e64 v8, v9, v8, s14
	v_cndmask_b32_e64 v150, v8, 0x7fff, s13
; %bb.518:                              ;   in Loop: Header=BB4_400 Depth=4
	s_or_b32 exec_lo, exec_lo, s36
	s_delay_alu instid0(VALU_DEP_1)
	v_mov_b32_e32 v160, v150
.LBB4_519:                              ;   in Loop: Header=BB4_400 Depth=4
	s_or_b32 exec_lo, exec_lo, s15
	s_delay_alu instid0(VALU_DEP_1)
	v_mov_b32_e32 v8, v160
.LBB4_520:                              ;   in Loop: Header=BB4_400 Depth=4
	v_and_b32_e32 v9, 0x7fff, v12
	v_and_b32_e32 v150, 0x7fff, v13
	v_perm_b32 v151, v13, v12, 0x5040100
	s_mov_b32 s15, -1
	s_and_not1_b32 vcc_lo, exec_lo, s35
	v_cmp_lt_u16_e64 s13, 0x7c00, v9
	v_cmp_gt_u16_e64 s14, 0x7c01, v150
                                        ; implicit-def: $vgpr9
	s_delay_alu instid0(VALU_DEP_1) | instskip(NEXT) | instid1(SALU_CYCLE_1)
	s_and_b32 s36, s13, s14
	s_xor_b32 s36, s36, -1
	s_cbranch_vccnz .LBB4_526
; %bb.521:                              ;   in Loop: Header=BB4_400 Depth=4
	v_mov_b32_e32 v9, v13
	s_and_saveexec_b32 s37, s36
	s_cbranch_execz .LBB4_525
; %bb.522:                              ;   in Loop: Header=BB4_400 Depth=4
	v_mov_b32_e32 v9, v12
	s_or_b32 s15, s13, s14
	s_delay_alu instid0(SALU_CYCLE_1)
	s_and_saveexec_b32 s38, s15
; %bb.523:                              ;   in Loop: Header=BB4_400 Depth=4
	v_lshrrev_b32_e32 v9, 16, v151
	v_cmp_lt_u16_e64 vcc_lo, 0x7c00, v150
	s_delay_alu instid0(VALU_DEP_2) | instskip(NEXT) | instid1(VALU_DEP_1)
	v_cmp_gt_f16_e64 s15, v151, v9
	v_cndmask_b32_e64 v9, v9, v151, s15
	s_delay_alu instid0(VALU_DEP_3)
	s_and_b32 s15, s13, vcc_lo
	s_delay_alu instid0(VALU_DEP_1) | instid1(SALU_CYCLE_1)
	v_cndmask_b32_e64 v9, v9, 0x7fff, s15
; %bb.524:                              ;   in Loop: Header=BB4_400 Depth=4
	s_or_b32 exec_lo, exec_lo, s38
.LBB4_525:                              ;   in Loop: Header=BB4_400 Depth=4
	s_delay_alu instid0(SALU_CYCLE_1)
	s_or_b32 exec_lo, exec_lo, s37
	s_mov_b32 s15, 0
.LBB4_526:                              ;   in Loop: Header=BB4_400 Depth=4
	s_delay_alu instid0(SALU_CYCLE_1)
	s_and_not1_b32 vcc_lo, exec_lo, s15
	s_cbranch_vccnz .LBB4_532
; %bb.527:                              ;   in Loop: Header=BB4_400 Depth=4
	v_mov_b32_e32 v9, v13
	s_and_saveexec_b32 s15, s36
	s_cbranch_execz .LBB4_531
; %bb.528:                              ;   in Loop: Header=BB4_400 Depth=4
	v_mov_b32_e32 v9, v12
	s_or_b32 s14, s13, s14
	s_delay_alu instid0(SALU_CYCLE_1)
	s_and_saveexec_b32 s36, s14
; %bb.529:                              ;   in Loop: Header=BB4_400 Depth=4
	v_lshrrev_b32_e32 v9, 16, v151
	v_cmp_lt_u16_e64 vcc_lo, 0x7c00, v150
	s_delay_alu instid0(VALU_DEP_2) | instskip(NEXT) | instid1(VALU_DEP_2)
	v_cmp_gt_f16_e64 s14, v151, v9
	s_and_b32 s13, s13, vcc_lo
	s_delay_alu instid0(VALU_DEP_1) | instskip(NEXT) | instid1(VALU_DEP_1)
	v_cndmask_b32_e64 v9, v151, v9, s14
	v_cndmask_b32_e64 v9, v9, 0x7fff, s13
; %bb.530:                              ;   in Loop: Header=BB4_400 Depth=4
	s_or_b32 exec_lo, exec_lo, s36
.LBB4_531:                              ;   in Loop: Header=BB4_400 Depth=4
	s_delay_alu instid0(SALU_CYCLE_1)
	s_or_b32 exec_lo, exec_lo, s15
.LBB4_532:                              ;   in Loop: Header=BB4_400 Depth=4
	v_lshrrev_b32_e32 v150, 16, v12
	v_lshrrev_b32_e32 v160, 16, v13
	v_perm_b32 v13, v13, v12, 0x7060302
	s_mov_b32 s15, -1
	s_and_not1_b32 vcc_lo, exec_lo, s35
	v_and_b32_e32 v161, 0x7fff, v150
	v_and_b32_e32 v151, 0x7fff, v160
                                        ; implicit-def: $vgpr12
	s_delay_alu instid0(VALU_DEP_2) | instskip(NEXT) | instid1(VALU_DEP_2)
	v_cmp_lt_u16_e64 s13, 0x7c00, v161
	v_cmp_gt_u16_e64 s14, 0x7c01, v151
	s_delay_alu instid0(VALU_DEP_1) | instskip(NEXT) | instid1(SALU_CYCLE_1)
	s_and_b32 s36, s13, s14
	s_xor_b32 s36, s36, -1
	s_cbranch_vccnz .LBB4_538
; %bb.533:                              ;   in Loop: Header=BB4_400 Depth=4
	v_mov_b32_e32 v12, v160
	s_and_saveexec_b32 s37, s36
	s_cbranch_execz .LBB4_537
; %bb.534:                              ;   in Loop: Header=BB4_400 Depth=4
	v_mov_b32_e32 v12, v150
	s_or_b32 s15, s13, s14
	s_delay_alu instid0(SALU_CYCLE_1)
	s_and_saveexec_b32 s38, s15
; %bb.535:                              ;   in Loop: Header=BB4_400 Depth=4
	v_lshrrev_b32_e32 v12, 16, v13
	v_cmp_lt_u16_e64 vcc_lo, 0x7c00, v151
	s_delay_alu instid0(VALU_DEP_2) | instskip(NEXT) | instid1(VALU_DEP_1)
	v_cmp_gt_f16_e64 s15, v13, v12
	v_cndmask_b32_e64 v12, v12, v13, s15
	s_delay_alu instid0(VALU_DEP_3)
	s_and_b32 s15, s13, vcc_lo
	s_delay_alu instid0(VALU_DEP_1) | instid1(SALU_CYCLE_1)
	v_cndmask_b32_e64 v12, v12, 0x7fff, s15
; %bb.536:                              ;   in Loop: Header=BB4_400 Depth=4
	s_or_b32 exec_lo, exec_lo, s38
.LBB4_537:                              ;   in Loop: Header=BB4_400 Depth=4
	s_delay_alu instid0(SALU_CYCLE_1)
	s_or_b32 exec_lo, exec_lo, s37
	s_mov_b32 s15, 0
.LBB4_538:                              ;   in Loop: Header=BB4_400 Depth=4
	s_delay_alu instid0(SALU_CYCLE_1)
	s_and_not1_b32 vcc_lo, exec_lo, s15
	s_cbranch_vccnz .LBB4_544
; %bb.539:                              ;   in Loop: Header=BB4_400 Depth=4
	s_and_saveexec_b32 s15, s36
	s_cbranch_execz .LBB4_543
; %bb.540:                              ;   in Loop: Header=BB4_400 Depth=4
	s_or_b32 s14, s13, s14
	s_delay_alu instid0(SALU_CYCLE_1)
	s_and_saveexec_b32 s36, s14
; %bb.541:                              ;   in Loop: Header=BB4_400 Depth=4
	v_lshrrev_b32_e32 v12, 16, v13
	v_cmp_lt_u16_e64 vcc_lo, 0x7c00, v151
	s_delay_alu instid0(VALU_DEP_2) | instskip(NEXT) | instid1(VALU_DEP_2)
	v_cmp_gt_f16_e64 s14, v13, v12
	s_and_b32 s13, s13, vcc_lo
	s_delay_alu instid0(VALU_DEP_1) | instskip(NEXT) | instid1(VALU_DEP_1)
	v_cndmask_b32_e64 v12, v13, v12, s14
	v_cndmask_b32_e64 v150, v12, 0x7fff, s13
; %bb.542:                              ;   in Loop: Header=BB4_400 Depth=4
	s_or_b32 exec_lo, exec_lo, s36
	s_delay_alu instid0(VALU_DEP_1)
	v_mov_b32_e32 v160, v150
.LBB4_543:                              ;   in Loop: Header=BB4_400 Depth=4
	s_or_b32 exec_lo, exec_lo, s15
	s_delay_alu instid0(VALU_DEP_1)
	v_mov_b32_e32 v12, v160
.LBB4_544:                              ;   in Loop: Header=BB4_400 Depth=4
	v_and_b32_e32 v13, 0x7fff, v14
	v_and_b32_e32 v150, 0x7fff, v10
	v_perm_b32 v151, v10, v14, 0x5040100
	s_mov_b32 s15, -1
	s_and_not1_b32 vcc_lo, exec_lo, s35
	v_cmp_lt_u16_e64 s13, 0x7c00, v13
	v_cmp_gt_u16_e64 s14, 0x7c01, v150
                                        ; implicit-def: $vgpr13
	s_delay_alu instid0(VALU_DEP_1) | instskip(NEXT) | instid1(SALU_CYCLE_1)
	s_and_b32 s36, s13, s14
	s_xor_b32 s36, s36, -1
	s_cbranch_vccnz .LBB4_550
; %bb.545:                              ;   in Loop: Header=BB4_400 Depth=4
	v_mov_b32_e32 v13, v10
	s_and_saveexec_b32 s37, s36
	s_cbranch_execz .LBB4_549
; %bb.546:                              ;   in Loop: Header=BB4_400 Depth=4
	v_mov_b32_e32 v13, v14
	s_or_b32 s15, s13, s14
	s_delay_alu instid0(SALU_CYCLE_1)
	s_and_saveexec_b32 s38, s15
; %bb.547:                              ;   in Loop: Header=BB4_400 Depth=4
	v_lshrrev_b32_e32 v13, 16, v151
	v_cmp_lt_u16_e64 vcc_lo, 0x7c00, v150
	s_delay_alu instid0(VALU_DEP_2) | instskip(NEXT) | instid1(VALU_DEP_1)
	v_cmp_gt_f16_e64 s15, v151, v13
	v_cndmask_b32_e64 v13, v13, v151, s15
	s_delay_alu instid0(VALU_DEP_3)
	s_and_b32 s15, s13, vcc_lo
	s_delay_alu instid0(VALU_DEP_1) | instid1(SALU_CYCLE_1)
	v_cndmask_b32_e64 v13, v13, 0x7fff, s15
; %bb.548:                              ;   in Loop: Header=BB4_400 Depth=4
	s_or_b32 exec_lo, exec_lo, s38
.LBB4_549:                              ;   in Loop: Header=BB4_400 Depth=4
	s_delay_alu instid0(SALU_CYCLE_1)
	s_or_b32 exec_lo, exec_lo, s37
	s_mov_b32 s15, 0
.LBB4_550:                              ;   in Loop: Header=BB4_400 Depth=4
	s_delay_alu instid0(SALU_CYCLE_1)
	s_and_not1_b32 vcc_lo, exec_lo, s15
	s_cbranch_vccnz .LBB4_556
; %bb.551:                              ;   in Loop: Header=BB4_400 Depth=4
	v_mov_b32_e32 v13, v10
	s_and_saveexec_b32 s15, s36
	s_cbranch_execz .LBB4_555
; %bb.552:                              ;   in Loop: Header=BB4_400 Depth=4
	v_mov_b32_e32 v13, v14
	s_or_b32 s14, s13, s14
	s_delay_alu instid0(SALU_CYCLE_1)
	s_and_saveexec_b32 s36, s14
; %bb.553:                              ;   in Loop: Header=BB4_400 Depth=4
	v_lshrrev_b32_e32 v13, 16, v151
	v_cmp_lt_u16_e64 vcc_lo, 0x7c00, v150
	s_delay_alu instid0(VALU_DEP_2) | instskip(NEXT) | instid1(VALU_DEP_2)
	v_cmp_gt_f16_e64 s14, v151, v13
	s_and_b32 s13, s13, vcc_lo
	s_delay_alu instid0(VALU_DEP_1) | instskip(NEXT) | instid1(VALU_DEP_1)
	v_cndmask_b32_e64 v13, v151, v13, s14
	v_cndmask_b32_e64 v13, v13, 0x7fff, s13
; %bb.554:                              ;   in Loop: Header=BB4_400 Depth=4
	s_or_b32 exec_lo, exec_lo, s36
.LBB4_555:                              ;   in Loop: Header=BB4_400 Depth=4
	s_delay_alu instid0(SALU_CYCLE_1)
	s_or_b32 exec_lo, exec_lo, s15
.LBB4_556:                              ;   in Loop: Header=BB4_400 Depth=4
	v_mov_b32_e32 v161, v14
	v_lshrrev_b32_e32 v160, 16, v10
	s_mov_b32 s15, -1
	s_and_not1_b32 vcc_lo, exec_lo, s35
	s_delay_alu instid0(VALU_DEP_2) | instskip(NEXT) | instid1(VALU_DEP_2)
	v_lshrrev_b32_e32 v150, 16, v161
	v_and_b32_e32 v151, 0x7fff, v160
	s_delay_alu instid0(VALU_DEP_2) | instskip(NEXT) | instid1(VALU_DEP_1)
	v_and_b32_e32 v14, 0x7fff, v150
	v_cmp_lt_u16_e64 s13, 0x7c00, v14
	v_mov_b32_e32 v14, v15
	s_delay_alu instid0(VALU_DEP_4) | instskip(SKIP_1) | instid1(VALU_DEP_2)
	v_cmp_gt_u16_e64 s14, 0x7c01, v151
	v_perm_b32 v15, v10, v161, 0x7060302
                                        ; implicit-def: $vgpr10
	s_and_b32 s36, s13, s14
	s_delay_alu instid0(SALU_CYCLE_1)
	s_xor_b32 s36, s36, -1
	s_cbranch_vccnz .LBB4_562
; %bb.557:                              ;   in Loop: Header=BB4_400 Depth=4
	v_mov_b32_e32 v10, v160
	s_and_saveexec_b32 s37, s36
	s_cbranch_execz .LBB4_561
; %bb.558:                              ;   in Loop: Header=BB4_400 Depth=4
	v_mov_b32_e32 v10, v150
	s_or_b32 s15, s13, s14
	s_delay_alu instid0(SALU_CYCLE_1)
	s_and_saveexec_b32 s38, s15
; %bb.559:                              ;   in Loop: Header=BB4_400 Depth=4
	v_lshrrev_b32_e32 v10, 16, v15
	v_cmp_lt_u16_e64 vcc_lo, 0x7c00, v151
	s_delay_alu instid0(VALU_DEP_2) | instskip(NEXT) | instid1(VALU_DEP_1)
	v_cmp_gt_f16_e64 s15, v15, v10
	v_cndmask_b32_e64 v10, v10, v15, s15
	s_delay_alu instid0(VALU_DEP_3)
	s_and_b32 s15, s13, vcc_lo
	s_delay_alu instid0(VALU_DEP_1) | instid1(SALU_CYCLE_1)
	v_cndmask_b32_e64 v10, v10, 0x7fff, s15
; %bb.560:                              ;   in Loop: Header=BB4_400 Depth=4
	s_or_b32 exec_lo, exec_lo, s38
.LBB4_561:                              ;   in Loop: Header=BB4_400 Depth=4
	s_delay_alu instid0(SALU_CYCLE_1)
	s_or_b32 exec_lo, exec_lo, s37
	s_mov_b32 s15, 0
.LBB4_562:                              ;   in Loop: Header=BB4_400 Depth=4
	s_delay_alu instid0(SALU_CYCLE_1)
	s_and_not1_b32 vcc_lo, exec_lo, s15
	s_cbranch_vccnz .LBB4_568
; %bb.563:                              ;   in Loop: Header=BB4_400 Depth=4
	s_and_saveexec_b32 s15, s36
	s_cbranch_execz .LBB4_567
; %bb.564:                              ;   in Loop: Header=BB4_400 Depth=4
	s_or_b32 s14, s13, s14
	s_delay_alu instid0(SALU_CYCLE_1)
	s_and_saveexec_b32 s36, s14
; %bb.565:                              ;   in Loop: Header=BB4_400 Depth=4
	v_lshrrev_b32_e32 v10, 16, v15
	v_cmp_lt_u16_e64 vcc_lo, 0x7c00, v151
	s_delay_alu instid0(VALU_DEP_2) | instskip(NEXT) | instid1(VALU_DEP_2)
	v_cmp_gt_f16_e64 s14, v15, v10
	s_and_b32 s13, s13, vcc_lo
	s_delay_alu instid0(VALU_DEP_1) | instskip(NEXT) | instid1(VALU_DEP_1)
	v_cndmask_b32_e64 v10, v15, v10, s14
	v_cndmask_b32_e64 v150, v10, 0x7fff, s13
; %bb.566:                              ;   in Loop: Header=BB4_400 Depth=4
	s_or_b32 exec_lo, exec_lo, s36
	s_delay_alu instid0(VALU_DEP_1)
	v_mov_b32_e32 v160, v150
.LBB4_567:                              ;   in Loop: Header=BB4_400 Depth=4
	s_or_b32 exec_lo, exec_lo, s15
	s_delay_alu instid0(VALU_DEP_1)
	v_mov_b32_e32 v10, v160
.LBB4_568:                              ;   in Loop: Header=BB4_400 Depth=4
	v_and_b32_e32 v15, 0x7fff, v14
	v_and_b32_e32 v150, 0x7fff, v11
	v_perm_b32 v151, v11, v14, 0x5040100
	s_mov_b32 s15, -1
	s_and_not1_b32 vcc_lo, exec_lo, s35
	v_cmp_lt_u16_e64 s13, 0x7c00, v15
	v_cmp_gt_u16_e64 s14, 0x7c01, v150
                                        ; implicit-def: $vgpr15
	s_delay_alu instid0(VALU_DEP_1) | instskip(NEXT) | instid1(SALU_CYCLE_1)
	s_and_b32 s36, s13, s14
	s_xor_b32 s36, s36, -1
	s_cbranch_vccnz .LBB4_574
; %bb.569:                              ;   in Loop: Header=BB4_400 Depth=4
	v_mov_b32_e32 v15, v11
	s_and_saveexec_b32 s37, s36
	s_cbranch_execz .LBB4_573
; %bb.570:                              ;   in Loop: Header=BB4_400 Depth=4
	v_mov_b32_e32 v15, v14
	s_or_b32 s15, s13, s14
	s_delay_alu instid0(SALU_CYCLE_1)
	s_and_saveexec_b32 s38, s15
; %bb.571:                              ;   in Loop: Header=BB4_400 Depth=4
	v_lshrrev_b32_e32 v15, 16, v151
	v_cmp_lt_u16_e64 vcc_lo, 0x7c00, v150
	s_delay_alu instid0(VALU_DEP_2) | instskip(NEXT) | instid1(VALU_DEP_1)
	v_cmp_gt_f16_e64 s15, v151, v15
	v_cndmask_b32_e64 v15, v15, v151, s15
	s_delay_alu instid0(VALU_DEP_3)
	s_and_b32 s15, s13, vcc_lo
	s_delay_alu instid0(VALU_DEP_1) | instid1(SALU_CYCLE_1)
	v_cndmask_b32_e64 v15, v15, 0x7fff, s15
; %bb.572:                              ;   in Loop: Header=BB4_400 Depth=4
	s_or_b32 exec_lo, exec_lo, s38
.LBB4_573:                              ;   in Loop: Header=BB4_400 Depth=4
	s_delay_alu instid0(SALU_CYCLE_1)
	s_or_b32 exec_lo, exec_lo, s37
	s_mov_b32 s15, 0
.LBB4_574:                              ;   in Loop: Header=BB4_400 Depth=4
	s_delay_alu instid0(SALU_CYCLE_1)
	s_and_not1_b32 vcc_lo, exec_lo, s15
	s_cbranch_vccnz .LBB4_580
; %bb.575:                              ;   in Loop: Header=BB4_400 Depth=4
	v_mov_b32_e32 v15, v11
	s_and_saveexec_b32 s15, s36
	s_cbranch_execz .LBB4_579
; %bb.576:                              ;   in Loop: Header=BB4_400 Depth=4
	v_mov_b32_e32 v15, v14
	s_or_b32 s14, s13, s14
	s_delay_alu instid0(SALU_CYCLE_1)
	s_and_saveexec_b32 s36, s14
; %bb.577:                              ;   in Loop: Header=BB4_400 Depth=4
	v_lshrrev_b32_e32 v15, 16, v151
	v_cmp_lt_u16_e64 vcc_lo, 0x7c00, v150
	s_delay_alu instid0(VALU_DEP_2) | instskip(NEXT) | instid1(VALU_DEP_2)
	v_cmp_gt_f16_e64 s14, v151, v15
	s_and_b32 s13, s13, vcc_lo
	s_delay_alu instid0(VALU_DEP_1) | instskip(NEXT) | instid1(VALU_DEP_1)
	v_cndmask_b32_e64 v15, v151, v15, s14
	v_cndmask_b32_e64 v15, v15, 0x7fff, s13
; %bb.578:                              ;   in Loop: Header=BB4_400 Depth=4
	s_or_b32 exec_lo, exec_lo, s36
.LBB4_579:                              ;   in Loop: Header=BB4_400 Depth=4
	s_delay_alu instid0(SALU_CYCLE_1)
	s_or_b32 exec_lo, exec_lo, s15
.LBB4_580:                              ;   in Loop: Header=BB4_400 Depth=4
	v_lshrrev_b32_e32 v150, 16, v14
	v_lshrrev_b32_e32 v160, 16, v11
	v_perm_b32 v11, v11, v14, 0x7060302
	s_mov_b32 s15, -1
	s_and_not1_b32 vcc_lo, exec_lo, s35
	v_and_b32_e32 v161, 0x7fff, v150
	v_and_b32_e32 v151, 0x7fff, v160
                                        ; implicit-def: $vgpr14
	s_delay_alu instid0(VALU_DEP_2) | instskip(NEXT) | instid1(VALU_DEP_2)
	v_cmp_lt_u16_e64 s13, 0x7c00, v161
	v_cmp_gt_u16_e64 s14, 0x7c01, v151
	s_delay_alu instid0(VALU_DEP_1) | instskip(NEXT) | instid1(SALU_CYCLE_1)
	s_and_b32 s36, s13, s14
	s_xor_b32 s36, s36, -1
	s_cbranch_vccnz .LBB4_586
; %bb.581:                              ;   in Loop: Header=BB4_400 Depth=4
	v_mov_b32_e32 v14, v160
	s_and_saveexec_b32 s37, s36
	s_cbranch_execz .LBB4_585
; %bb.582:                              ;   in Loop: Header=BB4_400 Depth=4
	v_mov_b32_e32 v14, v150
	s_or_b32 s15, s13, s14
	s_delay_alu instid0(SALU_CYCLE_1)
	s_and_saveexec_b32 s38, s15
; %bb.583:                              ;   in Loop: Header=BB4_400 Depth=4
	v_lshrrev_b32_e32 v14, 16, v11
	v_cmp_lt_u16_e64 vcc_lo, 0x7c00, v151
	s_delay_alu instid0(VALU_DEP_2) | instskip(NEXT) | instid1(VALU_DEP_1)
	v_cmp_gt_f16_e64 s15, v11, v14
	v_cndmask_b32_e64 v14, v14, v11, s15
	s_delay_alu instid0(VALU_DEP_3)
	s_and_b32 s15, s13, vcc_lo
	s_delay_alu instid0(VALU_DEP_1) | instid1(SALU_CYCLE_1)
	v_cndmask_b32_e64 v14, v14, 0x7fff, s15
; %bb.584:                              ;   in Loop: Header=BB4_400 Depth=4
	s_or_b32 exec_lo, exec_lo, s38
.LBB4_585:                              ;   in Loop: Header=BB4_400 Depth=4
	s_delay_alu instid0(SALU_CYCLE_1)
	s_or_b32 exec_lo, exec_lo, s37
	s_mov_b32 s15, 0
.LBB4_586:                              ;   in Loop: Header=BB4_400 Depth=4
	s_delay_alu instid0(SALU_CYCLE_1)
	s_and_not1_b32 vcc_lo, exec_lo, s15
	s_cbranch_vccnz .LBB4_399
; %bb.587:                              ;   in Loop: Header=BB4_400 Depth=4
	s_and_saveexec_b32 s15, s36
	s_cbranch_execz .LBB4_398
; %bb.588:                              ;   in Loop: Header=BB4_400 Depth=4
	s_or_b32 s14, s13, s14
	s_delay_alu instid0(SALU_CYCLE_1)
	s_and_saveexec_b32 s36, s14
	s_cbranch_execz .LBB4_397
; %bb.589:                              ;   in Loop: Header=BB4_400 Depth=4
	v_lshrrev_b32_e32 v14, 16, v11
	v_cmp_lt_u16_e64 vcc_lo, 0x7c00, v151
	s_delay_alu instid0(VALU_DEP_2) | instskip(NEXT) | instid1(VALU_DEP_2)
	v_cmp_gt_f16_e64 s14, v11, v14
	s_and_b32 s13, s13, vcc_lo
	s_delay_alu instid0(VALU_DEP_1) | instskip(NEXT) | instid1(VALU_DEP_1)
	v_cndmask_b32_e64 v11, v11, v14, s14
	v_cndmask_b32_e64 v150, v11, 0x7fff, s13
	s_branch .LBB4_397
.LBB4_590:                              ;   in Loop: Header=BB4_310 Depth=3
	s_or_b32 exec_lo, exec_lo, s34
.LBB4_591:                              ;   in Loop: Header=BB4_310 Depth=3
	s_delay_alu instid0(SALU_CYCLE_1) | instskip(SKIP_4) | instid1(VALU_DEP_2)
	s_or_b32 exec_lo, exec_lo, s16
	v_lshlrev_b32_e32 v22, 10, v99
	v_mov_b32_e32 v14, 0
	s_mov_b32 s13, 0
	s_mov_b32 s34, exec_lo
                                        ; implicit-def: $vgpr15
                                        ; implicit-def: $vgpr8
	v_cmpx_ne_u32_e64 v2, v22
	s_cbranch_execz .LBB4_696
; %bb.592:                              ;   in Loop: Header=BB4_310 Depth=3
	v_lshlrev_b32_e32 v8, 5, v81
	v_sub_nc_u32_e32 v10, v2, v22
	s_mov_b32 s35, exec_lo
	s_delay_alu instid0(VALU_DEP_2) | instskip(NEXT) | instid1(VALU_DEP_2)
	v_sub_nc_u32_e32 v8, v112, v8
	v_ashrrev_i32_e32 v11, 31, v10
	s_delay_alu instid0(VALU_DEP_2) | instskip(NEXT) | instid1(VALU_DEP_2)
	v_ashrrev_i32_e32 v9, 31, v8
	v_lshrrev_b32_e32 v11, 23, v11
	s_delay_alu instid0(VALU_DEP_2) | instskip(NEXT) | instid1(VALU_DEP_2)
	v_lshrrev_b32_e32 v9, 27, v9
	v_add_nc_u32_e32 v11, v10, v11
	s_delay_alu instid0(VALU_DEP_2) | instskip(NEXT) | instid1(VALU_DEP_2)
	v_add_nc_u32_e32 v9, v8, v9
	v_and_b32_e32 v23, 0xfffffe00, v11
	v_ashrrev_i32_e32 v11, 9, v11
	s_delay_alu instid0(VALU_DEP_3) | instskip(NEXT) | instid1(VALU_DEP_3)
	v_and_b32_e32 v12, 0xffffffe0, v9
	v_sub_nc_u32_e32 v84, v10, v23
	v_ashrrev_i32_e32 v9, 5, v9
	s_delay_alu instid0(VALU_DEP_3) | instskip(NEXT) | instid1(VALU_DEP_3)
	v_sub_nc_u32_e32 v81, v8, v12
	v_cmp_lt_i32_e64 s13, 15, v84
	s_delay_alu instid0(VALU_DEP_2) | instskip(NEXT) | instid1(VALU_DEP_2)
	v_lshlrev_b32_e32 v8, 4, v81
	v_add_co_ci_u32_e64 v11, vcc_lo, 0, v11, s13
	s_delay_alu instid0(VALU_DEP_2) | instskip(NEXT) | instid1(VALU_DEP_2)
	v_lshl_add_u32 v8, v9, 9, v8
	v_sub_nc_u32_e32 v85, v11, v9
	s_delay_alu instid0(VALU_DEP_2) | instskip(NEXT) | instid1(VALU_DEP_1)
	v_sub_nc_u32_e32 v86, v10, v8
	v_cmpx_lt_i32_e32 15, v86
	s_cbranch_execz .LBB4_693
; %bb.593:                              ;   in Loop: Header=BB4_310 Depth=3
	s_cbranch_execnz .LBB4_2958
; %bb.594:                              ;   in Loop: Header=BB4_310 Depth=3
	ds_load_b128 v[9:12], v0
	ds_load_b64 v[13:14], v0
	v_add_nc_u32_e32 v8, v8, v22
	s_bitcmp1_b32 s31, 0
	s_mov_b32 s36, 0
	s_cselect_b32 s37, -1, 0
	s_delay_alu instid0(VALU_DEP_1) | instskip(SKIP_2) | instid1(VALU_DEP_2)
	v_ashrrev_i32_e32 v15, 31, v8
	s_waitcnt lgkmcnt(1)
	v_add_co_u32 v16, vcc_lo, v9, v8
	v_add_co_ci_u32_e32 v17, vcc_lo, v10, v15, vcc_lo
	v_add_co_u32 v18, vcc_lo, v11, v8
	v_add_co_ci_u32_e32 v19, vcc_lo, v12, v15, vcc_lo
	s_waitcnt lgkmcnt(0)
	v_add_co_u32 v20, vcc_lo, v13, v8
	v_add_co_ci_u32_e32 v21, vcc_lo, v14, v15, vcc_lo
	s_branch .LBB4_598
.LBB4_595:                              ;   in Loop: Header=BB4_598 Depth=4
	s_or_b32 exec_lo, exec_lo, s38
	s_delay_alu instid0(VALU_DEP_1)
	v_mov_b32_e32 v99, v96
.LBB4_596:                              ;   in Loop: Header=BB4_598 Depth=4
	s_or_b32 exec_lo, exec_lo, s16
	s_delay_alu instid0(VALU_DEP_1)
	v_mov_b32_e32 v15, v99
.LBB4_597:                              ;   in Loop: Header=BB4_598 Depth=4
	v_lshlrev_b32_e32 v8, 16, v8
	v_and_b32_e32 v11, 0xffff, v87
	v_lshlrev_b32_e32 v14, 16, v14
	v_and_b32_e32 v13, 0xffff, v13
	;; [unrolled: 2-line block ×3, first 2 shown]
	v_or_b32_e32 v8, v8, v11
	v_lshlrev_b32_e32 v11, 16, v15
	v_and_b32_e32 v10, 0xffff, v10
	v_or_b32_e32 v13, v14, v13
	v_add_co_u32 v16, vcc_lo, v16, v131
	v_or3_b32 v9, v12, v9, 0
	v_or3_b32 v8, 0, 0, v8
	;; [unrolled: 1-line block ×4, first 2 shown]
	v_sub_nc_u32_e32 v86, v86, v115
	v_add_co_ci_u32_e32 v17, vcc_lo, v17, v132, vcc_lo
	v_add_co_u32 v18, vcc_lo, v18, v131
	v_add_co_ci_u32_e32 v19, vcc_lo, v19, v132, vcc_lo
	global_store_b128 v[20:21], v[8:11], off glc slc dlc
	v_cmp_gt_i32_e32 vcc_lo, 16, v86
	v_add_co_u32 v20, s14, v20, v131
	s_delay_alu instid0(VALU_DEP_1) | instskip(SKIP_2) | instid1(SALU_CYCLE_1)
	v_add_co_ci_u32_e64 v21, s14, v21, v132, s14
	v_sub_nc_u32_e32 v85, v85, v113
	s_or_b32 s36, vcc_lo, s36
	s_and_not1_b32 exec_lo, exec_lo, s36
	s_cbranch_execz .LBB4_692
.LBB4_598:                              ;   Parent Loop BB4_51 Depth=1
                                        ;     Parent Loop BB4_308 Depth=2
                                        ;       Parent Loop BB4_310 Depth=3
                                        ; =>      This Inner Loop Header: Depth=4
	global_load_b128 v[12:15], v[16:17], off slc dlc
	global_load_b128 v[8:11], v[18:19], off slc dlc
	s_mov_b32 s16, -1
	s_and_b32 vcc_lo, exec_lo, s37
	s_waitcnt vmcnt(1)
	v_and_b32_e32 v87, 0x7fff, v12
	s_waitcnt vmcnt(0)
	v_and_b32_e32 v96, 0x7fff, v8
	v_perm_b32 v97, v8, v12, 0x5040100
	s_delay_alu instid0(VALU_DEP_3) | instskip(NEXT) | instid1(VALU_DEP_3)
	v_cmp_lt_u16_e64 s14, 0x7c00, v87
	v_cmp_gt_u16_e64 s15, 0x7c01, v96
                                        ; implicit-def: $vgpr87
	s_delay_alu instid0(VALU_DEP_1) | instskip(NEXT) | instid1(SALU_CYCLE_1)
	s_and_b32 s38, s14, s15
	s_xor_b32 s38, s38, -1
	s_cbranch_vccz .LBB4_604
; %bb.599:                              ;   in Loop: Header=BB4_598 Depth=4
	v_mov_b32_e32 v87, v8
	s_and_saveexec_b32 s39, s38
	s_cbranch_execz .LBB4_603
; %bb.600:                              ;   in Loop: Header=BB4_598 Depth=4
	v_mov_b32_e32 v87, v12
	s_or_b32 s16, s14, s15
	s_delay_alu instid0(SALU_CYCLE_1)
	s_and_saveexec_b32 s40, s16
; %bb.601:                              ;   in Loop: Header=BB4_598 Depth=4
	v_lshrrev_b32_e32 v87, 16, v97
	v_cmp_lt_u16_e32 vcc_lo, 0x7c00, v96
	s_delay_alu instid0(VALU_DEP_2) | instskip(NEXT) | instid1(VALU_DEP_1)
	v_cmp_gt_f16_e64 s16, v97, v87
	v_cndmask_b32_e64 v87, v87, v97, s16
	s_and_b32 s16, s14, vcc_lo
	s_delay_alu instid0(VALU_DEP_1) | instid1(SALU_CYCLE_1)
	v_cndmask_b32_e64 v87, v87, 0x7fff, s16
; %bb.602:                              ;   in Loop: Header=BB4_598 Depth=4
	s_or_b32 exec_lo, exec_lo, s40
.LBB4_603:                              ;   in Loop: Header=BB4_598 Depth=4
	s_delay_alu instid0(SALU_CYCLE_1)
	s_or_b32 exec_lo, exec_lo, s39
	s_mov_b32 s16, 0
.LBB4_604:                              ;   in Loop: Header=BB4_598 Depth=4
	s_delay_alu instid0(SALU_CYCLE_1)
	s_and_not1_b32 vcc_lo, exec_lo, s16
	s_cbranch_vccnz .LBB4_610
; %bb.605:                              ;   in Loop: Header=BB4_598 Depth=4
	v_mov_b32_e32 v87, v8
	s_and_saveexec_b32 s16, s38
	s_cbranch_execz .LBB4_609
; %bb.606:                              ;   in Loop: Header=BB4_598 Depth=4
	v_mov_b32_e32 v87, v12
	s_or_b32 s15, s14, s15
	s_delay_alu instid0(SALU_CYCLE_1)
	s_and_saveexec_b32 s38, s15
; %bb.607:                              ;   in Loop: Header=BB4_598 Depth=4
	v_lshrrev_b32_e32 v87, 16, v97
	v_cmp_lt_u16_e32 vcc_lo, 0x7c00, v96
	s_delay_alu instid0(VALU_DEP_2) | instskip(SKIP_1) | instid1(VALU_DEP_1)
	v_cmp_gt_f16_e64 s15, v97, v87
	s_and_b32 s14, s14, vcc_lo
	v_cndmask_b32_e64 v87, v97, v87, s15
	s_delay_alu instid0(VALU_DEP_1)
	v_cndmask_b32_e64 v87, v87, 0x7fff, s14
; %bb.608:                              ;   in Loop: Header=BB4_598 Depth=4
	s_or_b32 exec_lo, exec_lo, s38
.LBB4_609:                              ;   in Loop: Header=BB4_598 Depth=4
	s_delay_alu instid0(SALU_CYCLE_1)
	s_or_b32 exec_lo, exec_lo, s16
.LBB4_610:                              ;   in Loop: Header=BB4_598 Depth=4
	v_mov_b32_e32 v149, v12
	v_mov_b32_e32 v150, v8
	v_mov_b32_e32 v12, v13
	v_mov_b32_e32 v13, v9
	s_mov_b32 s16, -1
	v_lshrrev_b32_e32 v96, 16, v149
	v_lshrrev_b32_e32 v99, 16, v150
	s_and_b32 vcc_lo, exec_lo, s37
	s_delay_alu instid0(VALU_DEP_2) | instskip(NEXT) | instid1(VALU_DEP_2)
	v_and_b32_e32 v8, 0x7fff, v96
	v_and_b32_e32 v97, 0x7fff, v99
	v_perm_b32 v9, v150, v149, 0x7060302
	s_delay_alu instid0(VALU_DEP_3) | instskip(NEXT) | instid1(VALU_DEP_3)
	v_cmp_lt_u16_e64 s14, 0x7c00, v8
	v_cmp_gt_u16_e64 s15, 0x7c01, v97
                                        ; implicit-def: $vgpr8
	s_delay_alu instid0(VALU_DEP_1) | instskip(NEXT) | instid1(SALU_CYCLE_1)
	s_and_b32 s38, s14, s15
	s_xor_b32 s38, s38, -1
	s_cbranch_vccz .LBB4_616
; %bb.611:                              ;   in Loop: Header=BB4_598 Depth=4
	v_mov_b32_e32 v8, v99
	s_and_saveexec_b32 s39, s38
	s_cbranch_execz .LBB4_615
; %bb.612:                              ;   in Loop: Header=BB4_598 Depth=4
	v_mov_b32_e32 v8, v96
	s_or_b32 s16, s14, s15
	s_delay_alu instid0(SALU_CYCLE_1)
	s_and_saveexec_b32 s40, s16
; %bb.613:                              ;   in Loop: Header=BB4_598 Depth=4
	v_lshrrev_b32_e32 v8, 16, v9
	v_cmp_lt_u16_e32 vcc_lo, 0x7c00, v97
	s_delay_alu instid0(VALU_DEP_2) | instskip(NEXT) | instid1(VALU_DEP_1)
	v_cmp_gt_f16_e64 s16, v9, v8
	v_cndmask_b32_e64 v8, v8, v9, s16
	s_and_b32 s16, s14, vcc_lo
	s_delay_alu instid0(VALU_DEP_1) | instid1(SALU_CYCLE_1)
	v_cndmask_b32_e64 v8, v8, 0x7fff, s16
; %bb.614:                              ;   in Loop: Header=BB4_598 Depth=4
	s_or_b32 exec_lo, exec_lo, s40
.LBB4_615:                              ;   in Loop: Header=BB4_598 Depth=4
	s_delay_alu instid0(SALU_CYCLE_1)
	s_or_b32 exec_lo, exec_lo, s39
	s_mov_b32 s16, 0
.LBB4_616:                              ;   in Loop: Header=BB4_598 Depth=4
	s_delay_alu instid0(SALU_CYCLE_1)
	s_and_not1_b32 vcc_lo, exec_lo, s16
	s_cbranch_vccnz .LBB4_622
; %bb.617:                              ;   in Loop: Header=BB4_598 Depth=4
	s_and_saveexec_b32 s16, s38
	s_cbranch_execz .LBB4_621
; %bb.618:                              ;   in Loop: Header=BB4_598 Depth=4
	s_or_b32 s15, s14, s15
	s_delay_alu instid0(SALU_CYCLE_1)
	s_and_saveexec_b32 s38, s15
; %bb.619:                              ;   in Loop: Header=BB4_598 Depth=4
	v_lshrrev_b32_e32 v8, 16, v9
	v_cmp_lt_u16_e32 vcc_lo, 0x7c00, v97
	s_delay_alu instid0(VALU_DEP_2) | instskip(SKIP_1) | instid1(VALU_DEP_1)
	v_cmp_gt_f16_e64 s15, v9, v8
	s_and_b32 s14, s14, vcc_lo
	v_cndmask_b32_e64 v8, v9, v8, s15
	s_delay_alu instid0(VALU_DEP_1)
	v_cndmask_b32_e64 v96, v8, 0x7fff, s14
; %bb.620:                              ;   in Loop: Header=BB4_598 Depth=4
	s_or_b32 exec_lo, exec_lo, s38
	s_delay_alu instid0(VALU_DEP_1)
	v_mov_b32_e32 v99, v96
.LBB4_621:                              ;   in Loop: Header=BB4_598 Depth=4
	s_or_b32 exec_lo, exec_lo, s16
	s_delay_alu instid0(VALU_DEP_1)
	v_mov_b32_e32 v8, v99
.LBB4_622:                              ;   in Loop: Header=BB4_598 Depth=4
	v_and_b32_e32 v9, 0x7fff, v12
	v_and_b32_e32 v96, 0x7fff, v13
	v_perm_b32 v97, v13, v12, 0x5040100
	s_mov_b32 s16, -1
	s_and_b32 vcc_lo, exec_lo, s37
	v_cmp_lt_u16_e64 s14, 0x7c00, v9
	v_cmp_gt_u16_e64 s15, 0x7c01, v96
                                        ; implicit-def: $vgpr9
	s_delay_alu instid0(VALU_DEP_1) | instskip(NEXT) | instid1(SALU_CYCLE_1)
	s_and_b32 s38, s14, s15
	s_xor_b32 s38, s38, -1
	s_cbranch_vccz .LBB4_628
; %bb.623:                              ;   in Loop: Header=BB4_598 Depth=4
	v_mov_b32_e32 v9, v13
	s_and_saveexec_b32 s39, s38
	s_cbranch_execz .LBB4_627
; %bb.624:                              ;   in Loop: Header=BB4_598 Depth=4
	v_mov_b32_e32 v9, v12
	s_or_b32 s16, s14, s15
	s_delay_alu instid0(SALU_CYCLE_1)
	s_and_saveexec_b32 s40, s16
; %bb.625:                              ;   in Loop: Header=BB4_598 Depth=4
	v_lshrrev_b32_e32 v9, 16, v97
	v_cmp_lt_u16_e32 vcc_lo, 0x7c00, v96
	s_delay_alu instid0(VALU_DEP_2) | instskip(NEXT) | instid1(VALU_DEP_1)
	v_cmp_gt_f16_e64 s16, v97, v9
	v_cndmask_b32_e64 v9, v9, v97, s16
	s_and_b32 s16, s14, vcc_lo
	s_delay_alu instid0(VALU_DEP_1) | instid1(SALU_CYCLE_1)
	v_cndmask_b32_e64 v9, v9, 0x7fff, s16
; %bb.626:                              ;   in Loop: Header=BB4_598 Depth=4
	s_or_b32 exec_lo, exec_lo, s40
.LBB4_627:                              ;   in Loop: Header=BB4_598 Depth=4
	s_delay_alu instid0(SALU_CYCLE_1)
	s_or_b32 exec_lo, exec_lo, s39
	s_mov_b32 s16, 0
.LBB4_628:                              ;   in Loop: Header=BB4_598 Depth=4
	s_delay_alu instid0(SALU_CYCLE_1)
	s_and_not1_b32 vcc_lo, exec_lo, s16
	s_cbranch_vccnz .LBB4_634
; %bb.629:                              ;   in Loop: Header=BB4_598 Depth=4
	v_mov_b32_e32 v9, v13
	s_and_saveexec_b32 s16, s38
	s_cbranch_execz .LBB4_633
; %bb.630:                              ;   in Loop: Header=BB4_598 Depth=4
	v_mov_b32_e32 v9, v12
	s_or_b32 s15, s14, s15
	s_delay_alu instid0(SALU_CYCLE_1)
	s_and_saveexec_b32 s38, s15
; %bb.631:                              ;   in Loop: Header=BB4_598 Depth=4
	v_lshrrev_b32_e32 v9, 16, v97
	v_cmp_lt_u16_e32 vcc_lo, 0x7c00, v96
	s_delay_alu instid0(VALU_DEP_2) | instskip(SKIP_1) | instid1(VALU_DEP_1)
	v_cmp_gt_f16_e64 s15, v97, v9
	s_and_b32 s14, s14, vcc_lo
	v_cndmask_b32_e64 v9, v97, v9, s15
	s_delay_alu instid0(VALU_DEP_1)
	v_cndmask_b32_e64 v9, v9, 0x7fff, s14
; %bb.632:                              ;   in Loop: Header=BB4_598 Depth=4
	s_or_b32 exec_lo, exec_lo, s38
.LBB4_633:                              ;   in Loop: Header=BB4_598 Depth=4
	s_delay_alu instid0(SALU_CYCLE_1)
	s_or_b32 exec_lo, exec_lo, s16
.LBB4_634:                              ;   in Loop: Header=BB4_598 Depth=4
	v_lshrrev_b32_e32 v96, 16, v12
	v_lshrrev_b32_e32 v99, 16, v13
	v_perm_b32 v13, v13, v12, 0x7060302
	s_mov_b32 s16, -1
	s_and_b32 vcc_lo, exec_lo, s37
	v_and_b32_e32 v149, 0x7fff, v96
	v_and_b32_e32 v97, 0x7fff, v99
                                        ; implicit-def: $vgpr12
	s_delay_alu instid0(VALU_DEP_2) | instskip(NEXT) | instid1(VALU_DEP_2)
	v_cmp_lt_u16_e64 s14, 0x7c00, v149
	v_cmp_gt_u16_e64 s15, 0x7c01, v97
	s_delay_alu instid0(VALU_DEP_1) | instskip(NEXT) | instid1(SALU_CYCLE_1)
	s_and_b32 s38, s14, s15
	s_xor_b32 s38, s38, -1
	s_cbranch_vccz .LBB4_640
; %bb.635:                              ;   in Loop: Header=BB4_598 Depth=4
	v_mov_b32_e32 v12, v99
	s_and_saveexec_b32 s39, s38
	s_cbranch_execz .LBB4_639
; %bb.636:                              ;   in Loop: Header=BB4_598 Depth=4
	v_mov_b32_e32 v12, v96
	s_or_b32 s16, s14, s15
	s_delay_alu instid0(SALU_CYCLE_1)
	s_and_saveexec_b32 s40, s16
; %bb.637:                              ;   in Loop: Header=BB4_598 Depth=4
	v_lshrrev_b32_e32 v12, 16, v13
	v_cmp_lt_u16_e32 vcc_lo, 0x7c00, v97
	s_delay_alu instid0(VALU_DEP_2) | instskip(NEXT) | instid1(VALU_DEP_1)
	v_cmp_gt_f16_e64 s16, v13, v12
	v_cndmask_b32_e64 v12, v12, v13, s16
	s_and_b32 s16, s14, vcc_lo
	s_delay_alu instid0(VALU_DEP_1) | instid1(SALU_CYCLE_1)
	v_cndmask_b32_e64 v12, v12, 0x7fff, s16
; %bb.638:                              ;   in Loop: Header=BB4_598 Depth=4
	s_or_b32 exec_lo, exec_lo, s40
.LBB4_639:                              ;   in Loop: Header=BB4_598 Depth=4
	s_delay_alu instid0(SALU_CYCLE_1)
	s_or_b32 exec_lo, exec_lo, s39
	s_mov_b32 s16, 0
.LBB4_640:                              ;   in Loop: Header=BB4_598 Depth=4
	s_delay_alu instid0(SALU_CYCLE_1)
	s_and_not1_b32 vcc_lo, exec_lo, s16
	s_cbranch_vccnz .LBB4_646
; %bb.641:                              ;   in Loop: Header=BB4_598 Depth=4
	s_and_saveexec_b32 s16, s38
	s_cbranch_execz .LBB4_645
; %bb.642:                              ;   in Loop: Header=BB4_598 Depth=4
	s_or_b32 s15, s14, s15
	s_delay_alu instid0(SALU_CYCLE_1)
	s_and_saveexec_b32 s38, s15
; %bb.643:                              ;   in Loop: Header=BB4_598 Depth=4
	v_lshrrev_b32_e32 v12, 16, v13
	v_cmp_lt_u16_e32 vcc_lo, 0x7c00, v97
	s_delay_alu instid0(VALU_DEP_2) | instskip(SKIP_1) | instid1(VALU_DEP_1)
	v_cmp_gt_f16_e64 s15, v13, v12
	s_and_b32 s14, s14, vcc_lo
	v_cndmask_b32_e64 v12, v13, v12, s15
	s_delay_alu instid0(VALU_DEP_1)
	v_cndmask_b32_e64 v96, v12, 0x7fff, s14
; %bb.644:                              ;   in Loop: Header=BB4_598 Depth=4
	s_or_b32 exec_lo, exec_lo, s38
	s_delay_alu instid0(VALU_DEP_1)
	v_mov_b32_e32 v99, v96
.LBB4_645:                              ;   in Loop: Header=BB4_598 Depth=4
	s_or_b32 exec_lo, exec_lo, s16
	s_delay_alu instid0(VALU_DEP_1)
	v_mov_b32_e32 v12, v99
.LBB4_646:                              ;   in Loop: Header=BB4_598 Depth=4
	v_and_b32_e32 v13, 0x7fff, v14
	v_and_b32_e32 v96, 0x7fff, v10
	v_perm_b32 v97, v10, v14, 0x5040100
	s_mov_b32 s16, -1
	s_and_b32 vcc_lo, exec_lo, s37
	v_cmp_lt_u16_e64 s14, 0x7c00, v13
	v_cmp_gt_u16_e64 s15, 0x7c01, v96
                                        ; implicit-def: $vgpr13
	s_delay_alu instid0(VALU_DEP_1) | instskip(NEXT) | instid1(SALU_CYCLE_1)
	s_and_b32 s38, s14, s15
	s_xor_b32 s38, s38, -1
	s_cbranch_vccz .LBB4_652
; %bb.647:                              ;   in Loop: Header=BB4_598 Depth=4
	v_mov_b32_e32 v13, v10
	s_and_saveexec_b32 s39, s38
	s_cbranch_execz .LBB4_651
; %bb.648:                              ;   in Loop: Header=BB4_598 Depth=4
	v_mov_b32_e32 v13, v14
	s_or_b32 s16, s14, s15
	s_delay_alu instid0(SALU_CYCLE_1)
	s_and_saveexec_b32 s40, s16
; %bb.649:                              ;   in Loop: Header=BB4_598 Depth=4
	v_lshrrev_b32_e32 v13, 16, v97
	v_cmp_lt_u16_e32 vcc_lo, 0x7c00, v96
	s_delay_alu instid0(VALU_DEP_2) | instskip(NEXT) | instid1(VALU_DEP_1)
	v_cmp_gt_f16_e64 s16, v97, v13
	v_cndmask_b32_e64 v13, v13, v97, s16
	s_and_b32 s16, s14, vcc_lo
	s_delay_alu instid0(VALU_DEP_1) | instid1(SALU_CYCLE_1)
	v_cndmask_b32_e64 v13, v13, 0x7fff, s16
; %bb.650:                              ;   in Loop: Header=BB4_598 Depth=4
	s_or_b32 exec_lo, exec_lo, s40
.LBB4_651:                              ;   in Loop: Header=BB4_598 Depth=4
	s_delay_alu instid0(SALU_CYCLE_1)
	s_or_b32 exec_lo, exec_lo, s39
	s_mov_b32 s16, 0
.LBB4_652:                              ;   in Loop: Header=BB4_598 Depth=4
	s_delay_alu instid0(SALU_CYCLE_1)
	s_and_not1_b32 vcc_lo, exec_lo, s16
	s_cbranch_vccnz .LBB4_658
; %bb.653:                              ;   in Loop: Header=BB4_598 Depth=4
	v_mov_b32_e32 v13, v10
	s_and_saveexec_b32 s16, s38
	s_cbranch_execz .LBB4_657
; %bb.654:                              ;   in Loop: Header=BB4_598 Depth=4
	v_mov_b32_e32 v13, v14
	s_or_b32 s15, s14, s15
	s_delay_alu instid0(SALU_CYCLE_1)
	s_and_saveexec_b32 s38, s15
; %bb.655:                              ;   in Loop: Header=BB4_598 Depth=4
	v_lshrrev_b32_e32 v13, 16, v97
	v_cmp_lt_u16_e32 vcc_lo, 0x7c00, v96
	s_delay_alu instid0(VALU_DEP_2) | instskip(SKIP_1) | instid1(VALU_DEP_1)
	v_cmp_gt_f16_e64 s15, v97, v13
	s_and_b32 s14, s14, vcc_lo
	v_cndmask_b32_e64 v13, v97, v13, s15
	s_delay_alu instid0(VALU_DEP_1)
	v_cndmask_b32_e64 v13, v13, 0x7fff, s14
; %bb.656:                              ;   in Loop: Header=BB4_598 Depth=4
	s_or_b32 exec_lo, exec_lo, s38
.LBB4_657:                              ;   in Loop: Header=BB4_598 Depth=4
	s_delay_alu instid0(SALU_CYCLE_1)
	s_or_b32 exec_lo, exec_lo, s16
.LBB4_658:                              ;   in Loop: Header=BB4_598 Depth=4
	v_mov_b32_e32 v149, v14
	v_lshrrev_b32_e32 v99, 16, v10
	s_mov_b32 s16, -1
	s_and_b32 vcc_lo, exec_lo, s37
	s_delay_alu instid0(VALU_DEP_2) | instskip(NEXT) | instid1(VALU_DEP_2)
	v_lshrrev_b32_e32 v96, 16, v149
	v_and_b32_e32 v97, 0x7fff, v99
	s_delay_alu instid0(VALU_DEP_2) | instskip(NEXT) | instid1(VALU_DEP_2)
	v_and_b32_e32 v14, 0x7fff, v96
	v_cmp_gt_u16_e64 s15, 0x7c01, v97
	v_perm_b32 v10, v10, v149, 0x7060302
	s_delay_alu instid0(VALU_DEP_3) | instskip(NEXT) | instid1(VALU_DEP_1)
	v_cmp_lt_u16_e64 s14, 0x7c00, v14
                                        ; implicit-def: $vgpr14
	s_and_b32 s38, s14, s15
	s_delay_alu instid0(SALU_CYCLE_1)
	s_xor_b32 s38, s38, -1
	s_cbranch_vccz .LBB4_664
; %bb.659:                              ;   in Loop: Header=BB4_598 Depth=4
	v_mov_b32_e32 v14, v99
	s_and_saveexec_b32 s39, s38
	s_cbranch_execz .LBB4_663
; %bb.660:                              ;   in Loop: Header=BB4_598 Depth=4
	v_mov_b32_e32 v14, v96
	s_or_b32 s16, s14, s15
	s_delay_alu instid0(SALU_CYCLE_1)
	s_and_saveexec_b32 s40, s16
; %bb.661:                              ;   in Loop: Header=BB4_598 Depth=4
	v_lshrrev_b32_e32 v14, 16, v10
	v_cmp_lt_u16_e32 vcc_lo, 0x7c00, v97
	s_delay_alu instid0(VALU_DEP_2) | instskip(NEXT) | instid1(VALU_DEP_1)
	v_cmp_gt_f16_e64 s16, v10, v14
	v_cndmask_b32_e64 v14, v14, v10, s16
	s_and_b32 s16, s14, vcc_lo
	s_delay_alu instid0(VALU_DEP_1) | instid1(SALU_CYCLE_1)
	v_cndmask_b32_e64 v14, v14, 0x7fff, s16
; %bb.662:                              ;   in Loop: Header=BB4_598 Depth=4
	s_or_b32 exec_lo, exec_lo, s40
.LBB4_663:                              ;   in Loop: Header=BB4_598 Depth=4
	s_delay_alu instid0(SALU_CYCLE_1)
	s_or_b32 exec_lo, exec_lo, s39
	s_mov_b32 s16, 0
.LBB4_664:                              ;   in Loop: Header=BB4_598 Depth=4
	s_delay_alu instid0(SALU_CYCLE_1)
	s_and_not1_b32 vcc_lo, exec_lo, s16
	s_cbranch_vccnz .LBB4_670
; %bb.665:                              ;   in Loop: Header=BB4_598 Depth=4
	s_and_saveexec_b32 s16, s38
	s_cbranch_execz .LBB4_669
; %bb.666:                              ;   in Loop: Header=BB4_598 Depth=4
	s_or_b32 s15, s14, s15
	s_delay_alu instid0(SALU_CYCLE_1)
	s_and_saveexec_b32 s38, s15
; %bb.667:                              ;   in Loop: Header=BB4_598 Depth=4
	v_lshrrev_b32_e32 v14, 16, v10
	v_cmp_lt_u16_e32 vcc_lo, 0x7c00, v97
	s_delay_alu instid0(VALU_DEP_2) | instskip(SKIP_1) | instid1(VALU_DEP_1)
	v_cmp_gt_f16_e64 s15, v10, v14
	s_and_b32 s14, s14, vcc_lo
	v_cndmask_b32_e64 v10, v10, v14, s15
	s_delay_alu instid0(VALU_DEP_1)
	v_cndmask_b32_e64 v96, v10, 0x7fff, s14
; %bb.668:                              ;   in Loop: Header=BB4_598 Depth=4
	s_or_b32 exec_lo, exec_lo, s38
	s_delay_alu instid0(VALU_DEP_1)
	v_mov_b32_e32 v99, v96
.LBB4_669:                              ;   in Loop: Header=BB4_598 Depth=4
	s_or_b32 exec_lo, exec_lo, s16
	s_delay_alu instid0(VALU_DEP_1)
	v_mov_b32_e32 v14, v99
.LBB4_670:                              ;   in Loop: Header=BB4_598 Depth=4
	v_and_b32_e32 v10, 0x7fff, v15
	v_and_b32_e32 v96, 0x7fff, v11
	v_perm_b32 v97, v11, v15, 0x5040100
	s_mov_b32 s16, -1
	s_and_b32 vcc_lo, exec_lo, s37
	v_cmp_lt_u16_e64 s14, 0x7c00, v10
	v_cmp_gt_u16_e64 s15, 0x7c01, v96
                                        ; implicit-def: $vgpr10
	s_delay_alu instid0(VALU_DEP_1) | instskip(NEXT) | instid1(SALU_CYCLE_1)
	s_and_b32 s38, s14, s15
	s_xor_b32 s38, s38, -1
	s_cbranch_vccz .LBB4_676
; %bb.671:                              ;   in Loop: Header=BB4_598 Depth=4
	v_mov_b32_e32 v10, v11
	s_and_saveexec_b32 s39, s38
	s_cbranch_execz .LBB4_675
; %bb.672:                              ;   in Loop: Header=BB4_598 Depth=4
	v_mov_b32_e32 v10, v15
	s_or_b32 s16, s14, s15
	s_delay_alu instid0(SALU_CYCLE_1)
	s_and_saveexec_b32 s40, s16
; %bb.673:                              ;   in Loop: Header=BB4_598 Depth=4
	v_lshrrev_b32_e32 v10, 16, v97
	v_cmp_lt_u16_e32 vcc_lo, 0x7c00, v96
	s_delay_alu instid0(VALU_DEP_2) | instskip(NEXT) | instid1(VALU_DEP_1)
	v_cmp_gt_f16_e64 s16, v97, v10
	v_cndmask_b32_e64 v10, v10, v97, s16
	s_and_b32 s16, s14, vcc_lo
	s_delay_alu instid0(VALU_DEP_1) | instid1(SALU_CYCLE_1)
	v_cndmask_b32_e64 v10, v10, 0x7fff, s16
; %bb.674:                              ;   in Loop: Header=BB4_598 Depth=4
	s_or_b32 exec_lo, exec_lo, s40
.LBB4_675:                              ;   in Loop: Header=BB4_598 Depth=4
	s_delay_alu instid0(SALU_CYCLE_1)
	s_or_b32 exec_lo, exec_lo, s39
	s_mov_b32 s16, 0
.LBB4_676:                              ;   in Loop: Header=BB4_598 Depth=4
	s_delay_alu instid0(SALU_CYCLE_1)
	s_and_not1_b32 vcc_lo, exec_lo, s16
	s_cbranch_vccnz .LBB4_682
; %bb.677:                              ;   in Loop: Header=BB4_598 Depth=4
	v_mov_b32_e32 v10, v11
	s_and_saveexec_b32 s16, s38
	s_cbranch_execz .LBB4_681
; %bb.678:                              ;   in Loop: Header=BB4_598 Depth=4
	v_mov_b32_e32 v10, v15
	s_or_b32 s15, s14, s15
	s_delay_alu instid0(SALU_CYCLE_1)
	s_and_saveexec_b32 s38, s15
; %bb.679:                              ;   in Loop: Header=BB4_598 Depth=4
	v_lshrrev_b32_e32 v10, 16, v97
	v_cmp_lt_u16_e32 vcc_lo, 0x7c00, v96
	s_delay_alu instid0(VALU_DEP_2) | instskip(SKIP_1) | instid1(VALU_DEP_1)
	v_cmp_gt_f16_e64 s15, v97, v10
	s_and_b32 s14, s14, vcc_lo
	v_cndmask_b32_e64 v10, v97, v10, s15
	s_delay_alu instid0(VALU_DEP_1)
	v_cndmask_b32_e64 v10, v10, 0x7fff, s14
; %bb.680:                              ;   in Loop: Header=BB4_598 Depth=4
	s_or_b32 exec_lo, exec_lo, s38
.LBB4_681:                              ;   in Loop: Header=BB4_598 Depth=4
	s_delay_alu instid0(SALU_CYCLE_1)
	s_or_b32 exec_lo, exec_lo, s16
.LBB4_682:                              ;   in Loop: Header=BB4_598 Depth=4
	v_lshrrev_b32_e32 v96, 16, v15
	v_lshrrev_b32_e32 v99, 16, v11
	v_perm_b32 v11, v11, v15, 0x7060302
	s_mov_b32 s16, -1
	s_and_b32 vcc_lo, exec_lo, s37
	v_and_b32_e32 v149, 0x7fff, v96
	v_and_b32_e32 v97, 0x7fff, v99
                                        ; implicit-def: $vgpr15
	s_delay_alu instid0(VALU_DEP_2) | instskip(NEXT) | instid1(VALU_DEP_2)
	v_cmp_lt_u16_e64 s14, 0x7c00, v149
	v_cmp_gt_u16_e64 s15, 0x7c01, v97
	s_delay_alu instid0(VALU_DEP_1) | instskip(NEXT) | instid1(SALU_CYCLE_1)
	s_and_b32 s38, s14, s15
	s_xor_b32 s38, s38, -1
	s_cbranch_vccz .LBB4_688
; %bb.683:                              ;   in Loop: Header=BB4_598 Depth=4
	v_mov_b32_e32 v15, v99
	s_and_saveexec_b32 s39, s38
	s_cbranch_execz .LBB4_687
; %bb.684:                              ;   in Loop: Header=BB4_598 Depth=4
	v_mov_b32_e32 v15, v96
	s_or_b32 s16, s14, s15
	s_delay_alu instid0(SALU_CYCLE_1)
	s_and_saveexec_b32 s40, s16
; %bb.685:                              ;   in Loop: Header=BB4_598 Depth=4
	v_lshrrev_b32_e32 v15, 16, v11
	v_cmp_lt_u16_e32 vcc_lo, 0x7c00, v97
	s_delay_alu instid0(VALU_DEP_2) | instskip(NEXT) | instid1(VALU_DEP_1)
	v_cmp_gt_f16_e64 s16, v11, v15
	v_cndmask_b32_e64 v15, v15, v11, s16
	s_and_b32 s16, s14, vcc_lo
	s_delay_alu instid0(VALU_DEP_1) | instid1(SALU_CYCLE_1)
	v_cndmask_b32_e64 v15, v15, 0x7fff, s16
; %bb.686:                              ;   in Loop: Header=BB4_598 Depth=4
	s_or_b32 exec_lo, exec_lo, s40
.LBB4_687:                              ;   in Loop: Header=BB4_598 Depth=4
	s_delay_alu instid0(SALU_CYCLE_1)
	s_or_b32 exec_lo, exec_lo, s39
	s_mov_b32 s16, 0
.LBB4_688:                              ;   in Loop: Header=BB4_598 Depth=4
	s_delay_alu instid0(SALU_CYCLE_1)
	s_and_not1_b32 vcc_lo, exec_lo, s16
	s_cbranch_vccnz .LBB4_597
; %bb.689:                              ;   in Loop: Header=BB4_598 Depth=4
	s_and_saveexec_b32 s16, s38
	s_cbranch_execz .LBB4_596
; %bb.690:                              ;   in Loop: Header=BB4_598 Depth=4
	s_or_b32 s15, s14, s15
	s_delay_alu instid0(SALU_CYCLE_1)
	s_and_saveexec_b32 s38, s15
	s_cbranch_execz .LBB4_595
; %bb.691:                              ;   in Loop: Header=BB4_598 Depth=4
	v_lshrrev_b32_e32 v15, 16, v11
	v_cmp_lt_u16_e32 vcc_lo, 0x7c00, v97
	s_delay_alu instid0(VALU_DEP_2) | instskip(SKIP_1) | instid1(VALU_DEP_1)
	v_cmp_gt_f16_e64 s15, v11, v15
	s_and_b32 s14, s14, vcc_lo
	v_cndmask_b32_e64 v11, v11, v15, s15
	s_delay_alu instid0(VALU_DEP_1)
	v_cndmask_b32_e64 v96, v11, 0x7fff, s14
	s_branch .LBB4_595
.LBB4_692:                              ;   in Loop: Header=BB4_310 Depth=3
	s_or_b32 exec_lo, exec_lo, s36
.LBB4_693:                              ;   in Loop: Header=BB4_310 Depth=3
	s_delay_alu instid0(SALU_CYCLE_1) | instskip(SKIP_3) | instid1(VALU_DEP_1)
	s_or_b32 exec_lo, exec_lo, s35
	v_dual_mov_b32 v14, 0 :: v_dual_and_b32 v9, 14, v2
	s_mov_b32 s14, 0
	s_mov_b32 s15, exec_lo
                                        ; implicit-def: $vgpr15
                                        ; implicit-def: $vgpr8
	v_cndmask_b32_e64 v2, v84, v9, s13
	s_delay_alu instid0(VALU_DEP_1)
	v_cmpx_ne_u32_e32 0, v2
	s_cbranch_execz .LBB4_695
; %bb.694:                              ;   in Loop: Header=BB4_310 Depth=3
	v_cmp_lt_i32_e32 vcc_lo, 0, v85
	v_sub_nc_u32_e32 v9, v84, v9
	s_mov_b32 s14, exec_lo
	v_cndmask_b32_e32 v8, 0, v113, vcc_lo
	s_delay_alu instid0(VALU_DEP_2) | instskip(NEXT) | instid1(VALU_DEP_2)
	v_cndmask_b32_e64 v9, 0, v9, s13
	v_sub_nc_u32_e32 v8, v8, v85
	s_delay_alu instid0(VALU_DEP_2) | instskip(NEXT) | instid1(VALU_DEP_2)
	v_add3_u32 v14, v23, v22, v9
	v_lshl_add_u32 v15, v8, 5, v81
	s_delay_alu instid0(VALU_DEP_1) | instskip(NEXT) | instid1(VALU_DEP_1)
	v_ashrrev_i32_e32 v8, 31, v15
	v_lshrrev_b32_e32 v8, 27, v8
	s_delay_alu instid0(VALU_DEP_1) | instskip(NEXT) | instid1(VALU_DEP_1)
	v_add_nc_u32_e32 v8, v15, v8
	v_ashrrev_i32_e32 v8, 5, v8
.LBB4_695:                              ;   in Loop: Header=BB4_310 Depth=3
	s_or_b32 exec_lo, exec_lo, s15
	s_delay_alu instid0(SALU_CYCLE_1)
	s_and_b32 s13, s14, exec_lo
.LBB4_696:                              ;   in Loop: Header=BB4_310 Depth=3
	s_or_b32 exec_lo, exec_lo, s34
.LBB4_697:                              ;   in Loop: Header=BB4_310 Depth=3
	s_and_saveexec_b32 s16, s13
	s_cbranch_execz .LBB4_817
; %bb.698:                              ;   in Loop: Header=BB4_310 Depth=3
	v_ashrrev_i32_e32 v9, 31, v2
	s_mov_b32 s34, exec_lo
	s_delay_alu instid0(VALU_DEP_1) | instskip(NEXT) | instid1(VALU_DEP_1)
	v_lshrrev_b32_e32 v9, 23, v9
	v_add_nc_u32_e32 v9, v2, v9
	s_delay_alu instid0(VALU_DEP_1) | instskip(NEXT) | instid1(VALU_DEP_1)
	v_ashrrev_i32_e32 v17, 9, v9
	v_sub_nc_u32_e32 v16, v17, v8
	s_delay_alu instid0(VALU_DEP_1)
	v_cmpx_lt_i32_e32 0, v16
	s_cbranch_execz .LBB4_799
; %bb.699:                              ;   in Loop: Header=BB4_310 Depth=3
	s_cbranch_execnz .LBB4_2894
; %bb.700:                              ;   in Loop: Header=BB4_310 Depth=3
	v_ashrrev_i32_e32 v9, 31, v15
	ds_load_b64 v[18:19], v0
	v_lshlrev_b32_e32 v8, 9, v8
	s_bitcmp1_b32 s31, 0
	s_mov_b32 s36, 0
	v_lshrrev_b32_e32 v9, 27, v9
	s_cselect_b32 s35, -1, 0
	s_delay_alu instid0(VALU_DEP_1) | instskip(NEXT) | instid1(VALU_DEP_1)
	v_add_nc_u32_e32 v9, v15, v9
	v_and_b32_e32 v9, 0x7fffffe0, v9
	s_delay_alu instid0(VALU_DEP_1)
	v_sub_nc_u32_e32 v13, v15, v9
	ds_load_b128 v[9:12], v0
	s_waitcnt lgkmcnt(1)
	v_add_co_u32 v18, vcc_lo, 0x1c0, v18
	v_add_co_ci_u32_e32 v19, vcc_lo, 0, v19, vcc_lo
	v_lshlrev_b32_e32 v13, 1, v13
	s_delay_alu instid0(VALU_DEP_1) | instskip(NEXT) | instid1(VALU_DEP_1)
	v_add3_u32 v13, v13, v14, v8
	v_ashrrev_i32_e32 v20, 31, v13
	s_waitcnt lgkmcnt(0)
	v_add_co_u32 v8, vcc_lo, v9, v13
	s_delay_alu instid0(VALU_DEP_2)
	v_add_co_ci_u32_e32 v9, vcc_lo, v10, v20, vcc_lo
	v_add_co_u32 v10, vcc_lo, v11, v13
	v_add_co_ci_u32_e32 v11, vcc_lo, v12, v20, vcc_lo
	v_add_co_u32 v12, vcc_lo, v18, v13
	v_add_co_ci_u32_e32 v13, vcc_lo, v19, v20, vcc_lo
	s_branch .LBB4_704
.LBB4_701:                              ;   in Loop: Header=BB4_704 Depth=4
	s_or_b32 exec_lo, exec_lo, s37
	s_delay_alu instid0(VALU_DEP_1)
	v_mov_b32_e32 v19, v18
.LBB4_702:                              ;   in Loop: Header=BB4_704 Depth=4
	s_or_b32 exec_lo, exec_lo, s15
	s_delay_alu instid0(VALU_DEP_1)
	v_mov_b32_e32 v21, v19
.LBB4_703:                              ;   in Loop: Header=BB4_704 Depth=4
	v_add_co_u32 v18, vcc_lo, 0xfffffe40, v12
	v_add_co_ci_u32_e32 v19, vcc_lo, -1, v13, vcc_lo
	v_add_co_u32 v149, vcc_lo, 0xfffffe80, v12
	v_add_co_ci_u32_e32 v150, vcc_lo, -1, v13, vcc_lo
	v_sub_nc_u32_e32 v16, v16, v113
	flat_store_b16 v[18:19], v20 glc slc dlc
	flat_store_b16 v[149:150], v23 glc slc dlc
	v_add_co_u32 v18, vcc_lo, 0xfffffec0, v12
	v_add_co_ci_u32_e32 v19, vcc_lo, -1, v13, vcc_lo
	v_add_co_u32 v22, vcc_lo, 0xffffff00, v12
	v_add_co_ci_u32_e32 v23, vcc_lo, -1, v13, vcc_lo
	;; [unrolled: 2-line block ×5, first 2 shown]
	v_add_co_u32 v8, vcc_lo, v8, v131
	v_add_co_ci_u32_e32 v9, vcc_lo, v9, v132, vcc_lo
	v_add_co_u32 v10, vcc_lo, v10, v131
	v_add_co_ci_u32_e32 v11, vcc_lo, v11, v132, vcc_lo
	flat_store_b16 v[18:19], v85 glc slc dlc
	flat_store_b16 v[22:23], v96 glc slc dlc
	flat_store_b16 v[149:150], v97 glc slc dlc
	flat_store_b16 v[160:161], v86 glc slc dlc
	flat_store_b16 v[162:163], v81 glc slc dlc
	flat_store_b16 v[12:13], v21 glc slc dlc
	v_cmp_gt_i32_e32 vcc_lo, 1, v16
	v_add_co_u32 v12, s13, v12, v131
	s_delay_alu instid0(VALU_DEP_1) | instskip(SKIP_1) | instid1(SALU_CYCLE_1)
	v_add_co_ci_u32_e64 v13, s13, v13, v132, s13
	s_or_b32 s36, vcc_lo, s36
	s_and_not1_b32 exec_lo, exec_lo, s36
	s_cbranch_execz .LBB4_798
.LBB4_704:                              ;   Parent Loop BB4_51 Depth=1
                                        ;     Parent Loop BB4_308 Depth=2
                                        ;       Parent Loop BB4_310 Depth=3
                                        ; =>      This Inner Loop Header: Depth=4
	flat_load_u16 v23, v[8:9] slc dlc
	flat_load_u16 v151, v[10:11] slc dlc
	s_clause 0x6
	flat_load_u16 v85, v[8:9] offset:64 slc dlc
	flat_load_u16 v96, v[8:9] offset:128 slc dlc
	;; [unrolled: 1-line block ×7, first 2 shown]
	s_clause 0x6
	flat_load_u16 v150, v[10:11] offset:64 slc dlc
	flat_load_u16 v149, v[10:11] offset:128 slc dlc
	;; [unrolled: 1-line block ×7, first 2 shown]
	s_mov_b32 s15, -1
	s_and_b32 vcc_lo, exec_lo, s35
	s_waitcnt vmcnt(15) lgkmcnt(15)
	v_and_b32_e32 v20, 0x7fff, v23
	s_waitcnt vmcnt(14) lgkmcnt(14)
	v_and_b32_e32 v160, 0x7fff, v151
	s_delay_alu instid0(VALU_DEP_2) | instskip(NEXT) | instid1(VALU_DEP_2)
	v_cmp_lt_u16_e64 s13, 0x7c00, v20
	v_cmp_gt_u16_e64 s14, 0x7c01, v160
                                        ; implicit-def: $vgpr20
	s_delay_alu instid0(VALU_DEP_1) | instskip(NEXT) | instid1(SALU_CYCLE_1)
	s_and_b32 s37, s13, s14
	s_xor_b32 s37, s37, -1
	s_cbranch_vccz .LBB4_710
; %bb.705:                              ;   in Loop: Header=BB4_704 Depth=4
	v_mov_b32_e32 v20, v151
	s_and_saveexec_b32 s38, s37
	s_cbranch_execz .LBB4_709
; %bb.706:                              ;   in Loop: Header=BB4_704 Depth=4
	v_mov_b32_e32 v20, v23
	s_or_b32 s15, s13, s14
	s_delay_alu instid0(SALU_CYCLE_1)
	s_and_saveexec_b32 s39, s15
; %bb.707:                              ;   in Loop: Header=BB4_704 Depth=4
	v_cmp_gt_f16_e64 s15, v23, v151
	v_cmp_lt_u16_e64 vcc_lo, 0x7c00, v160
	s_delay_alu instid0(VALU_DEP_2) | instskip(NEXT) | instid1(VALU_DEP_2)
	v_cndmask_b32_e64 v20, v151, v23, s15
	s_and_b32 s15, s13, vcc_lo
	s_delay_alu instid0(VALU_DEP_1) | instid1(SALU_CYCLE_1)
	v_cndmask_b32_e64 v20, v20, 0x7fff, s15
; %bb.708:                              ;   in Loop: Header=BB4_704 Depth=4
	s_or_b32 exec_lo, exec_lo, s39
.LBB4_709:                              ;   in Loop: Header=BB4_704 Depth=4
	s_delay_alu instid0(SALU_CYCLE_1)
	s_or_b32 exec_lo, exec_lo, s38
	s_mov_b32 s15, 0
.LBB4_710:                              ;   in Loop: Header=BB4_704 Depth=4
	s_delay_alu instid0(SALU_CYCLE_1)
	s_and_not1_b32 vcc_lo, exec_lo, s15
	s_cbranch_vccnz .LBB4_716
; %bb.711:                              ;   in Loop: Header=BB4_704 Depth=4
	s_and_saveexec_b32 s15, s37
	s_cbranch_execz .LBB4_715
; %bb.712:                              ;   in Loop: Header=BB4_704 Depth=4
	s_or_b32 s14, s13, s14
	s_delay_alu instid0(SALU_CYCLE_1)
	s_and_saveexec_b32 s37, s14
; %bb.713:                              ;   in Loop: Header=BB4_704 Depth=4
	v_cmp_gt_f16_e64 s14, v23, v151
	v_cmp_lt_u16_e64 vcc_lo, 0x7c00, v160
	s_delay_alu instid0(VALU_DEP_2) | instskip(NEXT) | instid1(VALU_DEP_2)
	v_cndmask_b32_e64 v20, v23, v151, s14
	s_and_b32 s13, s13, vcc_lo
	s_delay_alu instid0(VALU_DEP_1) | instid1(SALU_CYCLE_1)
	v_cndmask_b32_e64 v23, v20, 0x7fff, s13
; %bb.714:                              ;   in Loop: Header=BB4_704 Depth=4
	s_or_b32 exec_lo, exec_lo, s37
	s_delay_alu instid0(VALU_DEP_1)
	v_mov_b32_e32 v151, v23
.LBB4_715:                              ;   in Loop: Header=BB4_704 Depth=4
	s_or_b32 exec_lo, exec_lo, s15
	s_delay_alu instid0(VALU_DEP_1)
	v_mov_b32_e32 v20, v151
.LBB4_716:                              ;   in Loop: Header=BB4_704 Depth=4
	s_waitcnt vmcnt(13) lgkmcnt(13)
	v_and_b32_e32 v23, 0x7fff, v85
	s_waitcnt vmcnt(6) lgkmcnt(6)
	v_and_b32_e32 v151, 0x7fff, v150
	s_mov_b32 s15, -1
	s_and_not1_b32 vcc_lo, exec_lo, s35
	v_cmp_lt_u16_e64 s13, 0x7c00, v23
	s_delay_alu instid0(VALU_DEP_2) | instskip(NEXT) | instid1(VALU_DEP_1)
	v_cmp_gt_u16_e64 s14, 0x7c01, v151
                                        ; implicit-def: $vgpr23
	s_and_b32 s37, s13, s14
	s_delay_alu instid0(SALU_CYCLE_1)
	s_xor_b32 s37, s37, -1
	s_cbranch_vccnz .LBB4_722
; %bb.717:                              ;   in Loop: Header=BB4_704 Depth=4
	v_mov_b32_e32 v23, v150
	s_and_saveexec_b32 s38, s37
	s_cbranch_execz .LBB4_721
; %bb.718:                              ;   in Loop: Header=BB4_704 Depth=4
	v_mov_b32_e32 v23, v85
	s_or_b32 s15, s13, s14
	s_delay_alu instid0(SALU_CYCLE_1)
	s_and_saveexec_b32 s39, s15
; %bb.719:                              ;   in Loop: Header=BB4_704 Depth=4
	v_cmp_gt_f16_e64 s15, v85, v150
	v_cmp_lt_u16_e64 vcc_lo, 0x7c00, v151
	s_delay_alu instid0(VALU_DEP_2) | instskip(NEXT) | instid1(VALU_DEP_2)
	v_cndmask_b32_e64 v23, v150, v85, s15
	s_and_b32 s15, s13, vcc_lo
	s_delay_alu instid0(VALU_DEP_1) | instid1(SALU_CYCLE_1)
	v_cndmask_b32_e64 v23, v23, 0x7fff, s15
; %bb.720:                              ;   in Loop: Header=BB4_704 Depth=4
	s_or_b32 exec_lo, exec_lo, s39
.LBB4_721:                              ;   in Loop: Header=BB4_704 Depth=4
	s_delay_alu instid0(SALU_CYCLE_1)
	s_or_b32 exec_lo, exec_lo, s38
	s_mov_b32 s15, 0
.LBB4_722:                              ;   in Loop: Header=BB4_704 Depth=4
	s_delay_alu instid0(SALU_CYCLE_1)
	s_and_not1_b32 vcc_lo, exec_lo, s15
	s_cbranch_vccnz .LBB4_728
; %bb.723:                              ;   in Loop: Header=BB4_704 Depth=4
	s_and_saveexec_b32 s15, s37
	s_cbranch_execz .LBB4_727
; %bb.724:                              ;   in Loop: Header=BB4_704 Depth=4
	s_or_b32 s14, s13, s14
	s_delay_alu instid0(SALU_CYCLE_1)
	s_and_saveexec_b32 s37, s14
; %bb.725:                              ;   in Loop: Header=BB4_704 Depth=4
	v_cmp_gt_f16_e64 s14, v85, v150
	v_cmp_lt_u16_e64 vcc_lo, 0x7c00, v151
	s_delay_alu instid0(VALU_DEP_2) | instskip(NEXT) | instid1(VALU_DEP_2)
	v_cndmask_b32_e64 v23, v85, v150, s14
	s_and_b32 s13, s13, vcc_lo
	s_delay_alu instid0(VALU_DEP_1) | instid1(SALU_CYCLE_1)
	v_cndmask_b32_e64 v85, v23, 0x7fff, s13
; %bb.726:                              ;   in Loop: Header=BB4_704 Depth=4
	s_or_b32 exec_lo, exec_lo, s37
	s_delay_alu instid0(VALU_DEP_1)
	v_mov_b32_e32 v150, v85
.LBB4_727:                              ;   in Loop: Header=BB4_704 Depth=4
	s_or_b32 exec_lo, exec_lo, s15
	s_delay_alu instid0(VALU_DEP_1)
	v_mov_b32_e32 v23, v150
.LBB4_728:                              ;   in Loop: Header=BB4_704 Depth=4
	v_and_b32_e32 v85, 0x7fff, v96
	s_waitcnt vmcnt(5) lgkmcnt(5)
	v_and_b32_e32 v150, 0x7fff, v149
	s_mov_b32 s15, -1
	s_and_not1_b32 vcc_lo, exec_lo, s35
	v_cmp_lt_u16_e64 s13, 0x7c00, v85
	s_delay_alu instid0(VALU_DEP_2) | instskip(NEXT) | instid1(VALU_DEP_1)
	v_cmp_gt_u16_e64 s14, 0x7c01, v150
                                        ; implicit-def: $vgpr85
	s_and_b32 s37, s13, s14
	s_delay_alu instid0(SALU_CYCLE_1)
	s_xor_b32 s37, s37, -1
	s_cbranch_vccnz .LBB4_734
; %bb.729:                              ;   in Loop: Header=BB4_704 Depth=4
	v_mov_b32_e32 v85, v149
	s_and_saveexec_b32 s38, s37
	s_cbranch_execz .LBB4_733
; %bb.730:                              ;   in Loop: Header=BB4_704 Depth=4
	v_mov_b32_e32 v85, v96
	s_or_b32 s15, s13, s14
	s_delay_alu instid0(SALU_CYCLE_1)
	s_and_saveexec_b32 s39, s15
; %bb.731:                              ;   in Loop: Header=BB4_704 Depth=4
	v_cmp_gt_f16_e64 s15, v96, v149
	v_cmp_lt_u16_e64 vcc_lo, 0x7c00, v150
	s_delay_alu instid0(VALU_DEP_2) | instskip(NEXT) | instid1(VALU_DEP_2)
	v_cndmask_b32_e64 v85, v149, v96, s15
	s_and_b32 s15, s13, vcc_lo
	s_delay_alu instid0(VALU_DEP_1) | instid1(SALU_CYCLE_1)
	v_cndmask_b32_e64 v85, v85, 0x7fff, s15
; %bb.732:                              ;   in Loop: Header=BB4_704 Depth=4
	s_or_b32 exec_lo, exec_lo, s39
.LBB4_733:                              ;   in Loop: Header=BB4_704 Depth=4
	s_delay_alu instid0(SALU_CYCLE_1)
	s_or_b32 exec_lo, exec_lo, s38
	s_mov_b32 s15, 0
.LBB4_734:                              ;   in Loop: Header=BB4_704 Depth=4
	s_delay_alu instid0(SALU_CYCLE_1)
	s_and_not1_b32 vcc_lo, exec_lo, s15
	s_cbranch_vccnz .LBB4_740
; %bb.735:                              ;   in Loop: Header=BB4_704 Depth=4
	s_and_saveexec_b32 s15, s37
	s_cbranch_execz .LBB4_739
; %bb.736:                              ;   in Loop: Header=BB4_704 Depth=4
	s_or_b32 s14, s13, s14
	s_delay_alu instid0(SALU_CYCLE_1)
	s_and_saveexec_b32 s37, s14
; %bb.737:                              ;   in Loop: Header=BB4_704 Depth=4
	v_cmp_gt_f16_e64 s14, v96, v149
	v_cmp_lt_u16_e64 vcc_lo, 0x7c00, v150
	s_delay_alu instid0(VALU_DEP_2) | instskip(NEXT) | instid1(VALU_DEP_2)
	v_cndmask_b32_e64 v85, v96, v149, s14
	s_and_b32 s13, s13, vcc_lo
	s_delay_alu instid0(VALU_DEP_1) | instid1(SALU_CYCLE_1)
	v_cndmask_b32_e64 v96, v85, 0x7fff, s13
; %bb.738:                              ;   in Loop: Header=BB4_704 Depth=4
	s_or_b32 exec_lo, exec_lo, s37
	s_delay_alu instid0(VALU_DEP_1)
	v_mov_b32_e32 v149, v96
.LBB4_739:                              ;   in Loop: Header=BB4_704 Depth=4
	s_or_b32 exec_lo, exec_lo, s15
	s_delay_alu instid0(VALU_DEP_1)
	v_mov_b32_e32 v85, v149
.LBB4_740:                              ;   in Loop: Header=BB4_704 Depth=4
	v_and_b32_e32 v96, 0x7fff, v97
	s_waitcnt vmcnt(4) lgkmcnt(4)
	v_and_b32_e32 v149, 0x7fff, v99
	s_mov_b32 s15, -1
	s_and_not1_b32 vcc_lo, exec_lo, s35
	v_cmp_lt_u16_e64 s13, 0x7c00, v96
	s_delay_alu instid0(VALU_DEP_2) | instskip(NEXT) | instid1(VALU_DEP_1)
	v_cmp_gt_u16_e64 s14, 0x7c01, v149
                                        ; implicit-def: $vgpr96
	s_and_b32 s37, s13, s14
	s_delay_alu instid0(SALU_CYCLE_1)
	s_xor_b32 s37, s37, -1
	s_cbranch_vccnz .LBB4_746
; %bb.741:                              ;   in Loop: Header=BB4_704 Depth=4
	v_mov_b32_e32 v96, v99
	s_and_saveexec_b32 s38, s37
	s_cbranch_execz .LBB4_745
; %bb.742:                              ;   in Loop: Header=BB4_704 Depth=4
	v_mov_b32_e32 v96, v97
	s_or_b32 s15, s13, s14
	s_delay_alu instid0(SALU_CYCLE_1)
	s_and_saveexec_b32 s39, s15
; %bb.743:                              ;   in Loop: Header=BB4_704 Depth=4
	v_cmp_gt_f16_e64 s15, v97, v99
	v_cmp_lt_u16_e64 vcc_lo, 0x7c00, v149
	s_delay_alu instid0(VALU_DEP_2) | instskip(NEXT) | instid1(VALU_DEP_2)
	v_cndmask_b32_e64 v96, v99, v97, s15
	s_and_b32 s15, s13, vcc_lo
	s_delay_alu instid0(VALU_DEP_1) | instid1(SALU_CYCLE_1)
	v_cndmask_b32_e64 v96, v96, 0x7fff, s15
; %bb.744:                              ;   in Loop: Header=BB4_704 Depth=4
	s_or_b32 exec_lo, exec_lo, s39
.LBB4_745:                              ;   in Loop: Header=BB4_704 Depth=4
	s_delay_alu instid0(SALU_CYCLE_1)
	s_or_b32 exec_lo, exec_lo, s38
	s_mov_b32 s15, 0
.LBB4_746:                              ;   in Loop: Header=BB4_704 Depth=4
	s_delay_alu instid0(SALU_CYCLE_1)
	s_and_not1_b32 vcc_lo, exec_lo, s15
	s_cbranch_vccnz .LBB4_752
; %bb.747:                              ;   in Loop: Header=BB4_704 Depth=4
	s_and_saveexec_b32 s15, s37
	s_cbranch_execz .LBB4_751
; %bb.748:                              ;   in Loop: Header=BB4_704 Depth=4
	s_or_b32 s14, s13, s14
	s_delay_alu instid0(SALU_CYCLE_1)
	s_and_saveexec_b32 s37, s14
; %bb.749:                              ;   in Loop: Header=BB4_704 Depth=4
	v_cmp_gt_f16_e64 s14, v97, v99
	v_cmp_lt_u16_e64 vcc_lo, 0x7c00, v149
	s_delay_alu instid0(VALU_DEP_2) | instskip(NEXT) | instid1(VALU_DEP_2)
	v_cndmask_b32_e64 v96, v97, v99, s14
	s_and_b32 s13, s13, vcc_lo
	s_delay_alu instid0(VALU_DEP_1) | instid1(SALU_CYCLE_1)
	v_cndmask_b32_e64 v97, v96, 0x7fff, s13
; %bb.750:                              ;   in Loop: Header=BB4_704 Depth=4
	s_or_b32 exec_lo, exec_lo, s37
	s_delay_alu instid0(VALU_DEP_1)
	v_mov_b32_e32 v99, v97
.LBB4_751:                              ;   in Loop: Header=BB4_704 Depth=4
	s_or_b32 exec_lo, exec_lo, s15
	s_delay_alu instid0(VALU_DEP_1)
	v_mov_b32_e32 v96, v99
.LBB4_752:                              ;   in Loop: Header=BB4_704 Depth=4
	v_and_b32_e32 v97, 0x7fff, v86
	s_waitcnt vmcnt(3) lgkmcnt(3)
	v_and_b32_e32 v99, 0x7fff, v87
	s_mov_b32 s15, -1
	s_and_not1_b32 vcc_lo, exec_lo, s35
	v_cmp_lt_u16_e64 s13, 0x7c00, v97
	s_delay_alu instid0(VALU_DEP_2) | instskip(NEXT) | instid1(VALU_DEP_1)
	v_cmp_gt_u16_e64 s14, 0x7c01, v99
                                        ; implicit-def: $vgpr97
	s_and_b32 s37, s13, s14
	s_delay_alu instid0(SALU_CYCLE_1)
	s_xor_b32 s37, s37, -1
	s_cbranch_vccnz .LBB4_758
; %bb.753:                              ;   in Loop: Header=BB4_704 Depth=4
	v_mov_b32_e32 v97, v87
	s_and_saveexec_b32 s38, s37
	s_cbranch_execz .LBB4_757
; %bb.754:                              ;   in Loop: Header=BB4_704 Depth=4
	v_mov_b32_e32 v97, v86
	s_or_b32 s15, s13, s14
	s_delay_alu instid0(SALU_CYCLE_1)
	s_and_saveexec_b32 s39, s15
; %bb.755:                              ;   in Loop: Header=BB4_704 Depth=4
	v_cmp_gt_f16_e64 s15, v86, v87
	v_cmp_lt_u16_e32 vcc_lo, 0x7c00, v99
	s_delay_alu instid0(VALU_DEP_2)
	v_cndmask_b32_e64 v97, v87, v86, s15
	s_and_b32 s15, s13, vcc_lo
	s_delay_alu instid0(VALU_DEP_1) | instid1(SALU_CYCLE_1)
	v_cndmask_b32_e64 v97, v97, 0x7fff, s15
; %bb.756:                              ;   in Loop: Header=BB4_704 Depth=4
	s_or_b32 exec_lo, exec_lo, s39
.LBB4_757:                              ;   in Loop: Header=BB4_704 Depth=4
	s_delay_alu instid0(SALU_CYCLE_1)
	s_or_b32 exec_lo, exec_lo, s38
	s_mov_b32 s15, 0
.LBB4_758:                              ;   in Loop: Header=BB4_704 Depth=4
	s_delay_alu instid0(SALU_CYCLE_1)
	s_and_not1_b32 vcc_lo, exec_lo, s15
	s_cbranch_vccnz .LBB4_764
; %bb.759:                              ;   in Loop: Header=BB4_704 Depth=4
	s_and_saveexec_b32 s15, s37
	s_cbranch_execz .LBB4_763
; %bb.760:                              ;   in Loop: Header=BB4_704 Depth=4
	s_or_b32 s14, s13, s14
	s_delay_alu instid0(SALU_CYCLE_1)
	s_and_saveexec_b32 s37, s14
; %bb.761:                              ;   in Loop: Header=BB4_704 Depth=4
	v_cmp_gt_f16_e64 s14, v86, v87
	v_cmp_lt_u16_e32 vcc_lo, 0x7c00, v99
	s_delay_alu instid0(VALU_DEP_2)
	v_cndmask_b32_e64 v86, v86, v87, s14
	s_and_b32 s13, s13, vcc_lo
	s_delay_alu instid0(VALU_DEP_1) | instid1(SALU_CYCLE_1)
	v_cndmask_b32_e64 v86, v86, 0x7fff, s13
; %bb.762:                              ;   in Loop: Header=BB4_704 Depth=4
	s_or_b32 exec_lo, exec_lo, s37
	s_delay_alu instid0(VALU_DEP_1)
	v_mov_b32_e32 v87, v86
.LBB4_763:                              ;   in Loop: Header=BB4_704 Depth=4
	s_or_b32 exec_lo, exec_lo, s15
	s_delay_alu instid0(VALU_DEP_1)
	v_mov_b32_e32 v97, v87
.LBB4_764:                              ;   in Loop: Header=BB4_704 Depth=4
	v_and_b32_e32 v86, 0x7fff, v81
	s_waitcnt vmcnt(2) lgkmcnt(2)
	v_and_b32_e32 v87, 0x7fff, v84
	s_mov_b32 s15, -1
	s_and_not1_b32 vcc_lo, exec_lo, s35
	v_cmp_lt_u16_e64 s13, 0x7c00, v86
	s_delay_alu instid0(VALU_DEP_2) | instskip(NEXT) | instid1(VALU_DEP_1)
	v_cmp_gt_u16_e64 s14, 0x7c01, v87
                                        ; implicit-def: $vgpr86
	s_and_b32 s37, s13, s14
	s_delay_alu instid0(SALU_CYCLE_1)
	s_xor_b32 s37, s37, -1
	s_cbranch_vccnz .LBB4_770
; %bb.765:                              ;   in Loop: Header=BB4_704 Depth=4
	v_mov_b32_e32 v86, v84
	s_and_saveexec_b32 s38, s37
	s_cbranch_execz .LBB4_769
; %bb.766:                              ;   in Loop: Header=BB4_704 Depth=4
	v_mov_b32_e32 v86, v81
	s_or_b32 s15, s13, s14
	s_delay_alu instid0(SALU_CYCLE_1)
	s_and_saveexec_b32 s39, s15
; %bb.767:                              ;   in Loop: Header=BB4_704 Depth=4
	v_cmp_gt_f16_e64 s15, v81, v84
	v_cmp_lt_u16_e32 vcc_lo, 0x7c00, v87
	s_delay_alu instid0(VALU_DEP_2)
	v_cndmask_b32_e64 v86, v84, v81, s15
	s_and_b32 s15, s13, vcc_lo
	s_delay_alu instid0(VALU_DEP_1) | instid1(SALU_CYCLE_1)
	v_cndmask_b32_e64 v86, v86, 0x7fff, s15
; %bb.768:                              ;   in Loop: Header=BB4_704 Depth=4
	s_or_b32 exec_lo, exec_lo, s39
.LBB4_769:                              ;   in Loop: Header=BB4_704 Depth=4
	s_delay_alu instid0(SALU_CYCLE_1)
	s_or_b32 exec_lo, exec_lo, s38
	s_mov_b32 s15, 0
.LBB4_770:                              ;   in Loop: Header=BB4_704 Depth=4
	s_delay_alu instid0(SALU_CYCLE_1)
	s_and_not1_b32 vcc_lo, exec_lo, s15
	s_cbranch_vccnz .LBB4_776
; %bb.771:                              ;   in Loop: Header=BB4_704 Depth=4
	s_and_saveexec_b32 s15, s37
	s_cbranch_execz .LBB4_775
; %bb.772:                              ;   in Loop: Header=BB4_704 Depth=4
	s_or_b32 s14, s13, s14
	s_delay_alu instid0(SALU_CYCLE_1)
	s_and_saveexec_b32 s37, s14
; %bb.773:                              ;   in Loop: Header=BB4_704 Depth=4
	v_cmp_gt_f16_e64 s14, v81, v84
	v_cmp_lt_u16_e32 vcc_lo, 0x7c00, v87
	s_delay_alu instid0(VALU_DEP_2)
	v_cndmask_b32_e64 v81, v81, v84, s14
	s_and_b32 s13, s13, vcc_lo
	s_delay_alu instid0(VALU_DEP_1) | instid1(SALU_CYCLE_1)
	v_cndmask_b32_e64 v81, v81, 0x7fff, s13
; %bb.774:                              ;   in Loop: Header=BB4_704 Depth=4
	s_or_b32 exec_lo, exec_lo, s37
	s_delay_alu instid0(VALU_DEP_1)
	v_mov_b32_e32 v84, v81
.LBB4_775:                              ;   in Loop: Header=BB4_704 Depth=4
	s_or_b32 exec_lo, exec_lo, s15
	s_delay_alu instid0(VALU_DEP_1)
	v_mov_b32_e32 v86, v84
.LBB4_776:                              ;   in Loop: Header=BB4_704 Depth=4
	v_and_b32_e32 v81, 0x7fff, v21
	s_waitcnt vmcnt(1) lgkmcnt(1)
	v_and_b32_e32 v84, 0x7fff, v22
	s_mov_b32 s15, -1
	s_and_not1_b32 vcc_lo, exec_lo, s35
	v_cmp_lt_u16_e64 s13, 0x7c00, v81
	s_delay_alu instid0(VALU_DEP_2) | instskip(NEXT) | instid1(VALU_DEP_1)
	v_cmp_gt_u16_e64 s14, 0x7c01, v84
                                        ; implicit-def: $vgpr81
	s_and_b32 s37, s13, s14
	s_delay_alu instid0(SALU_CYCLE_1)
	s_xor_b32 s37, s37, -1
	s_cbranch_vccnz .LBB4_782
; %bb.777:                              ;   in Loop: Header=BB4_704 Depth=4
	v_mov_b32_e32 v81, v22
	s_and_saveexec_b32 s38, s37
	s_cbranch_execz .LBB4_781
; %bb.778:                              ;   in Loop: Header=BB4_704 Depth=4
	v_mov_b32_e32 v81, v21
	s_or_b32 s15, s13, s14
	s_delay_alu instid0(SALU_CYCLE_1)
	s_and_saveexec_b32 s39, s15
; %bb.779:                              ;   in Loop: Header=BB4_704 Depth=4
	v_cmp_gt_f16_e64 s15, v21, v22
	v_cmp_lt_u16_e32 vcc_lo, 0x7c00, v84
	s_delay_alu instid0(VALU_DEP_2)
	v_cndmask_b32_e64 v81, v22, v21, s15
	s_and_b32 s15, s13, vcc_lo
	s_delay_alu instid0(VALU_DEP_1) | instid1(SALU_CYCLE_1)
	v_cndmask_b32_e64 v81, v81, 0x7fff, s15
; %bb.780:                              ;   in Loop: Header=BB4_704 Depth=4
	s_or_b32 exec_lo, exec_lo, s39
.LBB4_781:                              ;   in Loop: Header=BB4_704 Depth=4
	s_delay_alu instid0(SALU_CYCLE_1)
	s_or_b32 exec_lo, exec_lo, s38
	s_mov_b32 s15, 0
.LBB4_782:                              ;   in Loop: Header=BB4_704 Depth=4
	s_delay_alu instid0(SALU_CYCLE_1)
	s_and_not1_b32 vcc_lo, exec_lo, s15
	s_cbranch_vccnz .LBB4_788
; %bb.783:                              ;   in Loop: Header=BB4_704 Depth=4
	s_and_saveexec_b32 s15, s37
	s_cbranch_execz .LBB4_787
; %bb.784:                              ;   in Loop: Header=BB4_704 Depth=4
	s_or_b32 s14, s13, s14
	s_delay_alu instid0(SALU_CYCLE_1)
	s_and_saveexec_b32 s37, s14
; %bb.785:                              ;   in Loop: Header=BB4_704 Depth=4
	v_cmp_gt_f16_e64 s14, v21, v22
	v_cmp_lt_u16_e32 vcc_lo, 0x7c00, v84
	s_delay_alu instid0(VALU_DEP_2)
	v_cndmask_b32_e64 v21, v21, v22, s14
	s_and_b32 s13, s13, vcc_lo
	s_delay_alu instid0(VALU_DEP_1) | instid1(SALU_CYCLE_1)
	v_cndmask_b32_e64 v21, v21, 0x7fff, s13
; %bb.786:                              ;   in Loop: Header=BB4_704 Depth=4
	s_or_b32 exec_lo, exec_lo, s37
	s_delay_alu instid0(VALU_DEP_1)
	v_mov_b32_e32 v22, v21
.LBB4_787:                              ;   in Loop: Header=BB4_704 Depth=4
	s_or_b32 exec_lo, exec_lo, s15
	s_delay_alu instid0(VALU_DEP_1)
	v_mov_b32_e32 v81, v22
.LBB4_788:                              ;   in Loop: Header=BB4_704 Depth=4
	v_and_b32_e32 v21, 0x7fff, v18
	s_waitcnt vmcnt(0) lgkmcnt(0)
	v_and_b32_e32 v22, 0x7fff, v19
	s_mov_b32 s15, -1
	s_and_not1_b32 vcc_lo, exec_lo, s35
	v_cmp_lt_u16_e64 s13, 0x7c00, v21
	s_delay_alu instid0(VALU_DEP_2) | instskip(NEXT) | instid1(VALU_DEP_1)
	v_cmp_gt_u16_e64 s14, 0x7c01, v22
                                        ; implicit-def: $vgpr21
	s_and_b32 s37, s13, s14
	s_delay_alu instid0(SALU_CYCLE_1)
	s_xor_b32 s37, s37, -1
	s_cbranch_vccnz .LBB4_794
; %bb.789:                              ;   in Loop: Header=BB4_704 Depth=4
	v_mov_b32_e32 v21, v19
	s_and_saveexec_b32 s38, s37
	s_cbranch_execz .LBB4_793
; %bb.790:                              ;   in Loop: Header=BB4_704 Depth=4
	v_mov_b32_e32 v21, v18
	s_or_b32 s15, s13, s14
	s_delay_alu instid0(SALU_CYCLE_1)
	s_and_saveexec_b32 s39, s15
; %bb.791:                              ;   in Loop: Header=BB4_704 Depth=4
	v_cmp_gt_f16_e64 s15, v18, v19
	v_cmp_lt_u16_e32 vcc_lo, 0x7c00, v22
	s_delay_alu instid0(VALU_DEP_2)
	v_cndmask_b32_e64 v21, v19, v18, s15
	s_and_b32 s15, s13, vcc_lo
	s_delay_alu instid0(VALU_DEP_1) | instid1(SALU_CYCLE_1)
	v_cndmask_b32_e64 v21, v21, 0x7fff, s15
; %bb.792:                              ;   in Loop: Header=BB4_704 Depth=4
	s_or_b32 exec_lo, exec_lo, s39
.LBB4_793:                              ;   in Loop: Header=BB4_704 Depth=4
	s_delay_alu instid0(SALU_CYCLE_1)
	s_or_b32 exec_lo, exec_lo, s38
	s_mov_b32 s15, 0
.LBB4_794:                              ;   in Loop: Header=BB4_704 Depth=4
	s_delay_alu instid0(SALU_CYCLE_1)
	s_and_not1_b32 vcc_lo, exec_lo, s15
	s_cbranch_vccnz .LBB4_703
; %bb.795:                              ;   in Loop: Header=BB4_704 Depth=4
	s_and_saveexec_b32 s15, s37
	s_cbranch_execz .LBB4_702
; %bb.796:                              ;   in Loop: Header=BB4_704 Depth=4
	s_or_b32 s14, s13, s14
	s_delay_alu instid0(SALU_CYCLE_1)
	s_and_saveexec_b32 s37, s14
	s_cbranch_execz .LBB4_701
; %bb.797:                              ;   in Loop: Header=BB4_704 Depth=4
	v_cmp_gt_f16_e64 s14, v18, v19
	v_cmp_lt_u16_e32 vcc_lo, 0x7c00, v22
	s_delay_alu instid0(VALU_DEP_2)
	v_cndmask_b32_e64 v18, v18, v19, s14
	s_and_b32 s13, s13, vcc_lo
	s_delay_alu instid0(VALU_DEP_1) | instid1(SALU_CYCLE_1)
	v_cndmask_b32_e64 v18, v18, 0x7fff, s13
	s_branch .LBB4_701
.LBB4_798:                              ;   in Loop: Header=BB4_310 Depth=3
	s_or_b32 exec_lo, exec_lo, s36
.LBB4_799:                              ;   in Loop: Header=BB4_310 Depth=3
	s_delay_alu instid0(SALU_CYCLE_1) | instskip(SKIP_2) | instid1(VALU_DEP_1)
	s_or_b32 exec_lo, exec_lo, s34
	v_lshlrev_b32_e32 v8, 9, v17
	s_mov_b32 s34, exec_lo
	v_cmpx_ne_u32_e64 v2, v8
	s_cbranch_execz .LBB4_816
; %bb.800:                              ;   in Loop: Header=BB4_310 Depth=3
	v_ashrrev_i32_e32 v9, 31, v15
	v_lshlrev_b32_e32 v10, 5, v16
	s_delay_alu instid0(VALU_DEP_2) | instskip(NEXT) | instid1(VALU_DEP_1)
	v_lshrrev_b32_e32 v9, 27, v9
	v_add_nc_u32_e32 v9, v15, v9
	s_delay_alu instid0(VALU_DEP_1) | instskip(NEXT) | instid1(VALU_DEP_1)
	v_and_b32_e32 v9, 0xffffffe0, v9
	v_sub_nc_u32_e32 v9, v15, v9
	s_delay_alu instid0(VALU_DEP_1) | instskip(NEXT) | instid1(VALU_DEP_1)
	v_sub_nc_u32_e32 v9, v9, v10
	v_ashrrev_i32_e32 v10, 31, v9
	s_delay_alu instid0(VALU_DEP_1) | instskip(NEXT) | instid1(VALU_DEP_1)
	v_lshrrev_b32_e32 v10, 27, v10
	v_add_nc_u32_e32 v10, v9, v10
	s_delay_alu instid0(VALU_DEP_1) | instskip(SKIP_1) | instid1(VALU_DEP_2)
	v_and_b32_e32 v11, 0x7fffffe0, v10
	v_lshlrev_b32_e32 v10, 1, v10
	v_sub_nc_u32_e32 v9, v9, v11
	s_delay_alu instid0(VALU_DEP_2) | instskip(NEXT) | instid1(VALU_DEP_2)
	v_and_b32_e32 v10, 0xffffffc0, v10
	v_lshlrev_b32_e32 v9, 1, v9
	s_delay_alu instid0(VALU_DEP_1) | instskip(NEXT) | instid1(VALU_DEP_1)
	v_add3_u32 v8, v10, v9, v8
	v_sub_nc_u32_e32 v2, v2, v8
	s_delay_alu instid0(VALU_DEP_1)
	v_cmp_lt_i32_e32 vcc_lo, 1, v2
	s_and_b32 exec_lo, exec_lo, vcc_lo
	s_cbranch_execz .LBB4_816
; %bb.801:                              ;   in Loop: Header=BB4_310 Depth=3
	s_cbranch_execnz .LBB4_2948
; %bb.802:                              ;   in Loop: Header=BB4_310 Depth=3
	ds_load_b128 v[9:12], v0
	ds_load_b64 v[15:16], v0
	v_add_nc_u32_e32 v13, v8, v14
	s_bitcmp1_b32 s31, 0
	s_mov_b32 s31, 0
	s_cselect_b32 s35, -1, 0
	s_delay_alu instid0(VALU_DEP_1) | instskip(SKIP_2) | instid1(VALU_DEP_2)
	v_ashrrev_i32_e32 v14, 31, v13
	s_waitcnt lgkmcnt(1)
	v_add_co_u32 v8, vcc_lo, v9, v13
	v_add_co_ci_u32_e32 v9, vcc_lo, v10, v14, vcc_lo
	v_add_co_u32 v10, vcc_lo, v11, v13
	v_add_co_ci_u32_e32 v11, vcc_lo, v12, v14, vcc_lo
	s_waitcnt lgkmcnt(0)
	v_add_co_u32 v12, vcc_lo, v15, v13
	v_add_co_ci_u32_e32 v13, vcc_lo, v16, v14, vcc_lo
	s_branch .LBB4_806
.LBB4_803:                              ;   in Loop: Header=BB4_806 Depth=4
	s_or_b32 exec_lo, exec_lo, s36
	s_delay_alu instid0(VALU_DEP_1)
	v_mov_b32_e32 v15, v14
.LBB4_804:                              ;   in Loop: Header=BB4_806 Depth=4
	s_or_b32 exec_lo, exec_lo, s15
	s_delay_alu instid0(VALU_DEP_1)
	v_mov_b32_e32 v17, v15
.LBB4_805:                              ;   in Loop: Header=BB4_806 Depth=4
	v_add_co_u32 v8, vcc_lo, v8, v134
	v_sub_nc_u32_e32 v2, v2, v118
	v_add_co_ci_u32_e32 v9, vcc_lo, v9, v135, vcc_lo
	v_add_co_u32 v10, vcc_lo, v10, v134
	v_add_co_ci_u32_e32 v11, vcc_lo, v11, v135, vcc_lo
	flat_store_b16 v[12:13], v17 glc slc dlc
	v_cmp_gt_i32_e32 vcc_lo, 2, v2
	v_add_co_u32 v12, s13, v12, v134
	s_delay_alu instid0(VALU_DEP_1) | instskip(SKIP_1) | instid1(SALU_CYCLE_1)
	v_add_co_ci_u32_e64 v13, s13, v13, v135, s13
	s_or_b32 s31, vcc_lo, s31
	s_and_not1_b32 exec_lo, exec_lo, s31
	s_cbranch_execz .LBB4_816
.LBB4_806:                              ;   Parent Loop BB4_51 Depth=1
                                        ;     Parent Loop BB4_308 Depth=2
                                        ;       Parent Loop BB4_310 Depth=3
                                        ; =>      This Inner Loop Header: Depth=4
	flat_load_u16 v14, v[8:9] slc dlc
	flat_load_u16 v15, v[10:11] slc dlc
	s_mov_b32 s15, -1
	s_and_b32 vcc_lo, exec_lo, s35
	s_waitcnt vmcnt(1) lgkmcnt(1)
	v_and_b32_e32 v17, 0x7fff, v14
	s_waitcnt vmcnt(0) lgkmcnt(0)
	v_and_b32_e32 v16, 0x7fff, v15
	s_delay_alu instid0(VALU_DEP_2) | instskip(NEXT) | instid1(VALU_DEP_2)
	v_cmp_lt_u16_e64 s13, 0x7c00, v17
	v_cmp_gt_u16_e64 s14, 0x7c01, v16
                                        ; implicit-def: $vgpr17
	s_delay_alu instid0(VALU_DEP_1) | instskip(NEXT) | instid1(SALU_CYCLE_1)
	s_and_b32 s36, s13, s14
	s_xor_b32 s36, s36, -1
	s_cbranch_vccz .LBB4_812
; %bb.807:                              ;   in Loop: Header=BB4_806 Depth=4
	v_mov_b32_e32 v17, v15
	s_and_saveexec_b32 s37, s36
	s_cbranch_execz .LBB4_811
; %bb.808:                              ;   in Loop: Header=BB4_806 Depth=4
	v_mov_b32_e32 v17, v14
	s_or_b32 s15, s13, s14
	s_delay_alu instid0(SALU_CYCLE_1)
	s_and_saveexec_b32 s38, s15
; %bb.809:                              ;   in Loop: Header=BB4_806 Depth=4
	v_cmp_gt_f16_e64 s15, v14, v15
	v_cmp_lt_u16_e32 vcc_lo, 0x7c00, v16
	s_delay_alu instid0(VALU_DEP_2)
	v_cndmask_b32_e64 v17, v15, v14, s15
	s_and_b32 s15, s13, vcc_lo
	s_delay_alu instid0(VALU_DEP_1) | instid1(SALU_CYCLE_1)
	v_cndmask_b32_e64 v17, v17, 0x7fff, s15
; %bb.810:                              ;   in Loop: Header=BB4_806 Depth=4
	s_or_b32 exec_lo, exec_lo, s38
.LBB4_811:                              ;   in Loop: Header=BB4_806 Depth=4
	s_delay_alu instid0(SALU_CYCLE_1)
	s_or_b32 exec_lo, exec_lo, s37
	s_mov_b32 s15, 0
.LBB4_812:                              ;   in Loop: Header=BB4_806 Depth=4
	s_delay_alu instid0(SALU_CYCLE_1)
	s_and_not1_b32 vcc_lo, exec_lo, s15
	s_cbranch_vccnz .LBB4_805
; %bb.813:                              ;   in Loop: Header=BB4_806 Depth=4
	s_and_saveexec_b32 s15, s36
	s_cbranch_execz .LBB4_804
; %bb.814:                              ;   in Loop: Header=BB4_806 Depth=4
	s_or_b32 s14, s13, s14
	s_delay_alu instid0(SALU_CYCLE_1)
	s_and_saveexec_b32 s36, s14
	s_cbranch_execz .LBB4_803
; %bb.815:                              ;   in Loop: Header=BB4_806 Depth=4
	v_cmp_gt_f16_e64 s14, v14, v15
	v_cmp_lt_u16_e32 vcc_lo, 0x7c00, v16
	s_delay_alu instid0(VALU_DEP_2)
	v_cndmask_b32_e64 v14, v14, v15, s14
	s_and_b32 s13, s13, vcc_lo
	s_delay_alu instid0(VALU_DEP_1) | instid1(SALU_CYCLE_1)
	v_cndmask_b32_e64 v14, v14, 0x7fff, s13
	s_branch .LBB4_803
.LBB4_816:                              ;   in Loop: Header=BB4_310 Depth=3
	s_or_b32 exec_lo, exec_lo, s34
.LBB4_817:                              ;   in Loop: Header=BB4_310 Depth=3
	s_delay_alu instid0(SALU_CYCLE_1)
	s_or_b32 exec_lo, exec_lo, s16
.LBB4_818:                              ;   in Loop: Header=BB4_310 Depth=3
	s_and_saveexec_b32 s13, s3
	s_cbranch_execz .LBB4_840
; %bb.819:                              ;   in Loop: Header=BB4_310 Depth=3
	s_and_saveexec_b32 s14, s4
	s_delay_alu instid0(SALU_CYCLE_1)
	s_xor_b32 s14, exec_lo, s14
	s_cbranch_execz .LBB4_837
; %bb.820:                              ;   in Loop: Header=BB4_310 Depth=3
	s_and_saveexec_b32 s15, s1
	s_cbranch_execz .LBB4_836
; %bb.821:                              ;   in Loop: Header=BB4_310 Depth=3
	s_mov_b32 s31, exec_lo
	s_mov_b32 s16, exec_lo
	v_mbcnt_lo_u32_b32 v2, s31, 0
	s_waitcnt lgkmcnt(0)
	s_waitcnt_vscnt null, 0x0
	buffer_gl1_inv
	buffer_gl0_inv
	v_cmpx_eq_u32_e32 0, v2
	s_cbranch_execz .LBB4_823
; %bb.822:                              ;   in Loop: Header=BB4_310 Depth=3
	s_bcnt1_i32_b32 vcc_lo, s31
	s_delay_alu instid0(SALU_CYCLE_1)
	v_mov_b32_e32 v2, vcc_lo
	ds_add_u64 v0, v[2:3]
	s_cbranch_execnz .LBB4_2910
.LBB4_823:                              ;   in Loop: Header=BB4_310 Depth=3
	s_or_b32 exec_lo, exec_lo, s16
	s_cbranch_execnz .LBB4_2880
; %bb.824:                              ;   in Loop: Header=BB4_310 Depth=3
	ds_load_b64 v[8:9], v0
	v_add_co_u32 v48, vcc_lo, v48, v113
	v_add_co_ci_u32_e32 v49, vcc_lo, 0, v49, vcc_lo
	s_mov_b32 s16, exec_lo
	s_waitcnt lgkmcnt(0)
	s_delay_alu instid0(VALU_DEP_1)
	v_cmpx_lt_u64_e64 v[8:9], v[48:49]
	s_cbranch_execz .LBB4_835
; %bb.825:                              ;   in Loop: Header=BB4_310 Depth=3
	s_mov_b32 s31, 0
	s_mov_b32 s36, 0
                                        ; implicit-def: $sgpr34
                                        ; implicit-def: $sgpr35
	s_branch .LBB4_827
.LBB4_826:                              ;   in Loop: Header=BB4_827 Depth=4
	s_or_b32 exec_lo, exec_lo, s38
	s_delay_alu instid0(SALU_CYCLE_1) | instskip(NEXT) | instid1(SALU_CYCLE_1)
	s_and_b32 vcc_lo, exec_lo, vcc_lo
	s_or_b32 s31, vcc_lo, s31
	s_and_not1_b32 vcc_lo, s34, exec_lo
	s_and_b32 s34, s35, exec_lo
	s_delay_alu instid0(SALU_CYCLE_1)
	s_or_b32 s34, vcc_lo, s34
	s_and_not1_b32 exec_lo, exec_lo, s31
	s_cbranch_execz .LBB4_833
.LBB4_827:                              ;   Parent Loop BB4_51 Depth=1
                                        ;     Parent Loop BB4_308 Depth=2
                                        ;       Parent Loop BB4_310 Depth=3
                                        ; =>      This Inner Loop Header: Depth=4
	s_add_i32 s36, s36, 1
                                        ; implicit-def: $sgpr38
	s_delay_alu instid0(SALU_CYCLE_1) | instskip(SKIP_1) | instid1(SALU_CYCLE_1)
	s_cmpk_lg_i32 s36, 0x2710
	s_cselect_b32 s37, -1, 0
	s_and_b32 vcc_lo, exec_lo, s37
	s_cbranch_vccz .LBB4_831
.LBB4_828:                              ;   in Loop: Header=BB4_827 Depth=4
	s_and_not1_b32 s35, s35, exec_lo
	s_and_b32 s38, s38, exec_lo
	s_mov_b32 vcc_lo, -1
	s_or_b32 s35, s35, s38
	s_and_saveexec_b32 s38, s37
	s_cbranch_execz .LBB4_826
; %bb.829:                              ;   in Loop: Header=BB4_827 Depth=4
	s_sleep 1
	s_cbranch_execnz .LBB4_2962
; %bb.830:                              ;   in Loop: Header=BB4_827 Depth=4
	ds_load_b64 v[8:9], v0
	s_and_not1_b32 s35, s35, exec_lo
	s_waitcnt lgkmcnt(0)
	v_cmp_ge_u64_e32 vcc_lo, v[8:9], v[48:49]
	s_or_not1_b32 vcc_lo, vcc_lo, exec_lo
	s_branch .LBB4_826
.LBB4_831:                              ;   in Loop: Header=BB4_827 Depth=4
	s_cbranch_execnz .LBB4_2978
; %bb.832:                              ;   in Loop: Header=BB4_827 Depth=4
	ds_load_b64 v[8:9], v0
	s_and_not1_b32 s37, s37, exec_lo
	s_mov_b32 s36, 0
	s_mov_b32 s38, -1
	s_waitcnt lgkmcnt(0)
	flat_load_b32 v2, v[8:9] glc
	s_waitcnt vmcnt(0) lgkmcnt(0)
	buffer_gl1_inv
	buffer_gl0_inv
	v_cmp_eq_u32_e32 vcc_lo, 0, v2
	s_and_b32 vcc_lo, vcc_lo, exec_lo
	s_delay_alu instid0(SALU_CYCLE_1)
	s_or_b32 s37, s37, vcc_lo
	s_branch .LBB4_828
.LBB4_833:                              ;   in Loop: Header=BB4_310 Depth=3
	s_or_b32 exec_lo, exec_lo, s31
	s_and_saveexec_b32 vcc_lo, s34
	s_delay_alu instid0(SALU_CYCLE_1)
	s_xor_b32 vcc_lo, exec_lo, vcc_lo
	s_cbranch_execz .LBB4_835
; %bb.834:                              ;   in Loop: Header=BB4_310 Depth=3
	ds_store_b32 v0, v148
	s_cbranch_execnz .LBB4_3098
.LBB4_835:                              ;   in Loop: Header=BB4_310 Depth=3
	s_or_b32 exec_lo, exec_lo, s16
	;;#ASMSTART
	s_wakeup
	;;#ASMEND
.LBB4_836:                              ;   in Loop: Header=BB4_310 Depth=3
	s_or_b32 exec_lo, exec_lo, s15
.LBB4_837:                              ;   in Loop: Header=BB4_310 Depth=3
	s_and_not1_saveexec_b32 s14, s14
	s_cbranch_execz .LBB4_839
; %bb.838:                              ;   in Loop: Header=BB4_310 Depth=3
	s_waitcnt lgkmcnt(0)
	s_waitcnt_vscnt null, 0x0
	buffer_gl1_inv
	buffer_gl0_inv
	s_barrier
.LBB4_839:                              ;   in Loop: Header=BB4_310 Depth=3
	s_or_b32 exec_lo, exec_lo, s14
.LBB4_840:                              ;   in Loop: Header=BB4_310 Depth=3
	s_delay_alu instid0(SALU_CYCLE_1) | instskip(SKIP_1) | instid1(SALU_CYCLE_1)
	s_or_b32 exec_lo, exec_lo, s13
                                        ; implicit-def: $vgpr2
	s_and_saveexec_b32 s13, s7
	s_xor_b32 s14, exec_lo, s13
	s_cbranch_execz .LBB4_844
; %bb.841:                              ;   in Loop: Header=BB4_310 Depth=3
	v_and_b32_e32 v2, 16, v30
	v_cmp_lt_i32_e32 vcc_lo, 0, v71
	s_delay_alu instid0(VALU_DEP_2) | instskip(SKIP_1) | instid1(VALU_DEP_2)
	v_cmp_ne_u32_e64 s13, 0, v2
	v_and_b32_e32 v2, 16, v30
	s_and_b32 s15, s13, vcc_lo
	s_delay_alu instid0(SALU_CYCLE_1)
	s_and_saveexec_b32 s13, s15
	s_cbranch_execz .LBB4_843
; %bb.842:                              ;   in Loop: Header=BB4_310 Depth=3
	v_mov_b32_e32 v2, 1
	s_waitcnt lgkmcnt(0)
	s_waitcnt_vscnt null, 0x0
	buffer_gl1_inv
	buffer_gl0_inv
.LBB4_843:                              ;   in Loop: Header=BB4_310 Depth=3
	s_or_b32 exec_lo, exec_lo, s13
.LBB4_844:                              ;   in Loop: Header=BB4_310 Depth=3
	s_and_not1_saveexec_b32 s13, s14
	s_cbranch_execz .LBB4_866
; %bb.845:                              ;   in Loop: Header=BB4_310 Depth=3
	s_and_saveexec_b32 s14, s4
	s_delay_alu instid0(SALU_CYCLE_1)
	s_xor_b32 s14, exec_lo, s14
	s_cbranch_execz .LBB4_863
; %bb.846:                              ;   in Loop: Header=BB4_310 Depth=3
	s_and_saveexec_b32 s15, s1
	s_cbranch_execz .LBB4_862
; %bb.847:                              ;   in Loop: Header=BB4_310 Depth=3
	s_mov_b32 s31, exec_lo
	s_mov_b32 s16, exec_lo
	v_mbcnt_lo_u32_b32 v2, s31, 0
	;;#ASMSTART
	s_waitcnt lgkmcnt(0) vmcnt(0)
	;;#ASMEND
	s_delay_alu instid0(VALU_DEP_1)
	v_cmpx_eq_u32_e32 0, v2
	s_cbranch_execz .LBB4_849
; %bb.848:                              ;   in Loop: Header=BB4_310 Depth=3
	s_bcnt1_i32_b32 vcc_lo, s31
	s_delay_alu instid0(SALU_CYCLE_1)
	v_mov_b32_e32 v2, vcc_lo
	ds_add_u64 v0, v[2:3]
	s_cbranch_execnz .LBB4_2922
.LBB4_849:                              ;   in Loop: Header=BB4_310 Depth=3
	s_or_b32 exec_lo, exec_lo, s16
	s_cbranch_execnz .LBB4_2890
; %bb.850:                              ;   in Loop: Header=BB4_310 Depth=3
	ds_load_b64 v[8:9], v0
	v_add_co_u32 v48, vcc_lo, v48, v113
	v_add_co_ci_u32_e32 v49, vcc_lo, 0, v49, vcc_lo
	s_mov_b32 s16, exec_lo
	s_waitcnt lgkmcnt(0)
	s_delay_alu instid0(VALU_DEP_1)
	v_cmpx_lt_u64_e64 v[8:9], v[48:49]
	s_cbranch_execz .LBB4_861
; %bb.851:                              ;   in Loop: Header=BB4_310 Depth=3
	s_mov_b32 s31, 0
	s_mov_b32 s36, 0
                                        ; implicit-def: $sgpr34
                                        ; implicit-def: $sgpr35
	s_branch .LBB4_853
.LBB4_852:                              ;   in Loop: Header=BB4_853 Depth=4
	s_or_b32 exec_lo, exec_lo, s38
	s_delay_alu instid0(SALU_CYCLE_1) | instskip(NEXT) | instid1(SALU_CYCLE_1)
	s_and_b32 vcc_lo, exec_lo, vcc_lo
	s_or_b32 s31, vcc_lo, s31
	s_and_not1_b32 vcc_lo, s34, exec_lo
	s_and_b32 s34, s35, exec_lo
	s_delay_alu instid0(SALU_CYCLE_1)
	s_or_b32 s34, vcc_lo, s34
	s_and_not1_b32 exec_lo, exec_lo, s31
	s_cbranch_execz .LBB4_859
.LBB4_853:                              ;   Parent Loop BB4_51 Depth=1
                                        ;     Parent Loop BB4_308 Depth=2
                                        ;       Parent Loop BB4_310 Depth=3
                                        ; =>      This Inner Loop Header: Depth=4
	s_add_i32 s36, s36, 1
                                        ; implicit-def: $sgpr38
	s_delay_alu instid0(SALU_CYCLE_1) | instskip(SKIP_1) | instid1(SALU_CYCLE_1)
	s_cmpk_lg_i32 s36, 0x2710
	s_cselect_b32 s37, -1, 0
	s_and_b32 vcc_lo, exec_lo, s37
	s_cbranch_vccz .LBB4_857
.LBB4_854:                              ;   in Loop: Header=BB4_853 Depth=4
	s_and_not1_b32 s35, s35, exec_lo
	s_and_b32 s38, s38, exec_lo
	s_mov_b32 vcc_lo, -1
	s_or_b32 s35, s35, s38
	s_and_saveexec_b32 s38, s37
	s_cbranch_execz .LBB4_852
; %bb.855:                              ;   in Loop: Header=BB4_853 Depth=4
	s_sleep 1
	s_cbranch_execnz .LBB4_2970
; %bb.856:                              ;   in Loop: Header=BB4_853 Depth=4
	ds_load_b64 v[8:9], v0
	s_and_not1_b32 s35, s35, exec_lo
	s_waitcnt lgkmcnt(0)
	v_cmp_ge_u64_e32 vcc_lo, v[8:9], v[48:49]
	s_or_not1_b32 vcc_lo, vcc_lo, exec_lo
	s_branch .LBB4_852
.LBB4_857:                              ;   in Loop: Header=BB4_853 Depth=4
	s_cbranch_execnz .LBB4_2992
; %bb.858:                              ;   in Loop: Header=BB4_853 Depth=4
	ds_load_b64 v[8:9], v0
	s_and_not1_b32 s37, s37, exec_lo
	s_mov_b32 s36, 0
	s_mov_b32 s38, -1
	s_waitcnt lgkmcnt(0)
	s_waitcnt_vscnt null, 0x0
	flat_load_b32 v2, v[8:9] glc
	s_waitcnt vmcnt(0) lgkmcnt(0)
	buffer_gl1_inv
	buffer_gl0_inv
	v_cmp_eq_u32_e32 vcc_lo, 0, v2
	s_and_b32 vcc_lo, vcc_lo, exec_lo
	s_delay_alu instid0(SALU_CYCLE_1)
	s_or_b32 s37, s37, vcc_lo
	s_branch .LBB4_854
.LBB4_859:                              ;   in Loop: Header=BB4_310 Depth=3
	s_or_b32 exec_lo, exec_lo, s31
	s_and_saveexec_b32 vcc_lo, s34
	s_delay_alu instid0(SALU_CYCLE_1)
	s_xor_b32 vcc_lo, exec_lo, vcc_lo
	s_cbranch_execz .LBB4_861
; %bb.860:                              ;   in Loop: Header=BB4_310 Depth=3
	ds_store_b32 v0, v148
	s_cbranch_execnz .LBB4_3106
.LBB4_861:                              ;   in Loop: Header=BB4_310 Depth=3
	s_or_b32 exec_lo, exec_lo, s16
	;;#ASMSTART
	s_wakeup
	;;#ASMEND
.LBB4_862:                              ;   in Loop: Header=BB4_310 Depth=3
	s_or_b32 exec_lo, exec_lo, s15
.LBB4_863:                              ;   in Loop: Header=BB4_310 Depth=3
	s_and_not1_saveexec_b32 s14, s14
	s_cbranch_execz .LBB4_865
; %bb.864:                              ;   in Loop: Header=BB4_310 Depth=3
	;;#ASMSTART
	s_waitcnt lgkmcnt(0) vmcnt(0)
	;;#ASMEND
	s_waitcnt lgkmcnt(0)
	s_waitcnt_vscnt null, 0x0
	s_barrier
.LBB4_865:                              ;   in Loop: Header=BB4_310 Depth=3
	s_or_b32 exec_lo, exec_lo, s14
	v_and_b32_e32 v2, 16, v30
.LBB4_866:                              ;   in Loop: Header=BB4_310 Depth=3
	s_or_b32 exec_lo, exec_lo, s13
	s_delay_alu instid0(VALU_DEP_1) | instskip(SKIP_1) | instid1(SALU_CYCLE_1)
	v_cmp_ne_u32_e32 vcc_lo, 0, v2
	s_xor_b32 s13, s10, -1
	s_and_b32 s14, vcc_lo, s13
	s_delay_alu instid0(SALU_CYCLE_1)
	s_and_saveexec_b32 s13, s14
	s_cbranch_execz .LBB4_868
; %bb.867:                              ;   in Loop: Header=BB4_310 Depth=3
	s_waitcnt lgkmcnt(0)
	s_waitcnt_vscnt null, 0x0
	flat_store_b32 v[38:39], v148
.LBB4_868:                              ;   in Loop: Header=BB4_310 Depth=3
	s_or_b32 exec_lo, exec_lo, s13
	v_and_b32_e32 v2, 48, v30
	s_mov_b32 s13, exec_lo
	s_delay_alu instid0(VALU_DEP_1)
	v_cmpx_ne_u32_e32 0, v2
	s_cbranch_execz .LBB4_870
; %bb.869:                              ;   in Loop: Header=BB4_310 Depth=3
	v_add_co_u32 v34, vcc_lo, v34, 2
	v_add_co_ci_u32_e32 v35, vcc_lo, 0, v35, vcc_lo
	s_waitcnt lgkmcnt(0)
	s_waitcnt_vscnt null, 0x0
	flat_store_b64 v[32:33], v[34:35]
.LBB4_870:                              ;   in Loop: Header=BB4_310 Depth=3
	s_or_b32 exec_lo, exec_lo, s13
	v_add_nc_u32_e32 v80, v70, v80
	v_readlane_b32 s13, v42, 9
	v_readlane_b32 s15, v42, 8
	;; [unrolled: 1-line block ×4, first 2 shown]
	v_cmp_ge_i32_e32 vcc_lo, v80, v98
	s_xor_b32 s13, s13, -1
	v_readlane_b32 s16, v42, 7
	v_readlane_b32 s35, v42, 6
	s_mov_b32 s36, 0
	s_or_b32 s13, s13, vcc_lo
	s_mov_b32 s37, 2
	s_and_b32 s14, exec_lo, s13
	v_readlane_b32 s13, v42, 10
	s_or_b32 s15, s14, s15
	v_readlane_b32 s14, v42, 3
	s_delay_alu instid0(VALU_DEP_2)
	v_mov_b32_e32 v2, s13
	s_and_not1_b32 exec_lo, exec_lo, s15
	s_cbranch_execnz .LBB4_310
; %bb.871:                              ;   in Loop: Header=BB4_308 Depth=2
	s_or_b32 exec_lo, exec_lo, s15
.LBB4_872:                              ;   in Loop: Header=BB4_308 Depth=2
	s_delay_alu instid0(SALU_CYCLE_1) | instskip(NEXT) | instid1(SALU_CYCLE_1)
	s_or_b32 exec_lo, exec_lo, s30
	s_mov_b32 s15, exec_lo
	v_cmpx_gt_i32_e32 2, v2
	s_cbranch_execz .LBB4_958
; %bb.873:                              ;   in Loop: Header=BB4_308 Depth=2
	v_cmp_eq_u32_e64 s13, 0, v2
	s_mov_b32 s30, 0
.LBB4_874:                              ;   Parent Loop BB4_51 Depth=1
                                        ;     Parent Loop BB4_308 Depth=2
                                        ; =>    This Loop Header: Depth=3
                                        ;         Child Loop BB4_880 Depth 4
                                        ;         Child Loop BB4_912 Depth 4
	;; [unrolled: 1-line block ×3, first 2 shown]
	v_and_b32_e32 v2, 12, v30
	s_mov_b32 s37, -1
	s_mov_b32 s36, exec_lo
	s_delay_alu instid0(VALU_DEP_1)
	v_cmpx_ne_u32_e32 0, v2
	s_cbranch_execz .LBB4_888
; %bb.875:                              ;   in Loop: Header=BB4_874 Depth=3
	v_and_b32_e32 v2, 8, v30
	s_delay_alu instid0(VALU_DEP_1) | instskip(SKIP_3) | instid1(VALU_DEP_1)
	v_add_co_u32 v10, vcc_lo, v50, v2
	v_add_co_ci_u32_e32 v11, vcc_lo, 0, v51, vcc_lo
	v_add_co_u32 v8, vcc_lo, v34, 2
	v_add_co_ci_u32_e32 v9, vcc_lo, 0, v35, vcc_lo
	v_cmp_lt_u64_e32 vcc_lo, v[10:11], v[8:9]
	v_mov_b32_e32 v10, 1
	s_and_saveexec_b32 s37, vcc_lo
	s_cbranch_execz .LBB4_887
; %bb.876:                              ;   in Loop: Header=BB4_874 Depth=3
	v_mov_b32_e32 v10, 0
	s_mov_b32 s38, 0
                                        ; implicit-def: $sgpr39
	s_branch .LBB4_880
.LBB4_877:                              ;   in Loop: Header=BB4_880 Depth=4
	s_or_b32 exec_lo, exec_lo, s43
	v_mov_b32_e32 v11, 0
	s_or_not1_b32 s42, s42, exec_lo
.LBB4_878:                              ;   in Loop: Header=BB4_880 Depth=4
	s_or_b32 exec_lo, exec_lo, s41
	s_delay_alu instid0(VALU_DEP_1) | instskip(SKIP_2) | instid1(SALU_CYCLE_1)
	v_mov_b32_e32 v10, v11
	s_and_not1_b32 vcc_lo, s39, exec_lo
	s_and_b32 s39, s42, exec_lo
	s_or_b32 s39, vcc_lo, s39
.LBB4_879:                              ;   in Loop: Header=BB4_880 Depth=4
	s_or_b32 exec_lo, exec_lo, s40
	s_waitcnt vmcnt(0) lgkmcnt(0)
	v_add_co_u32 v11, vcc_lo, v50, v2
	v_add_co_ci_u32_e32 v12, vcc_lo, 0, v51, vcc_lo
	s_xor_b32 s40, s39, -1
	s_delay_alu instid0(VALU_DEP_1) | instskip(SKIP_1) | instid1(SALU_CYCLE_1)
	v_cmp_ge_u64_e32 vcc_lo, v[11:12], v[8:9]
	s_or_b32 vcc_lo, s40, vcc_lo
	s_and_b32 vcc_lo, exec_lo, vcc_lo
	s_delay_alu instid0(SALU_CYCLE_1) | instskip(NEXT) | instid1(SALU_CYCLE_1)
	s_or_b32 s38, vcc_lo, s38
	s_and_not1_b32 exec_lo, exec_lo, s38
	s_cbranch_execz .LBB4_886
.LBB4_880:                              ;   Parent Loop BB4_51 Depth=1
                                        ;     Parent Loop BB4_308 Depth=2
                                        ;       Parent Loop BB4_874 Depth=3
                                        ; =>      This Inner Loop Header: Depth=4
	s_sleep 1
	flat_load_b64 v[50:51], v[32:33] glc
	v_and_b32_e32 v11, 64, v30
	s_and_not1_b32 s39, s39, exec_lo
	s_mov_b32 s40, exec_lo
	s_delay_alu instid0(VALU_DEP_1)
	v_cmpx_eq_u32_e32 0, v11
	s_cbranch_execz .LBB4_879
; %bb.881:                              ;   in Loop: Header=BB4_880 Depth=4
	v_add_nc_u32_e32 v11, 1, v10
	s_mov_b32 s42, -1
	s_mov_b32 s41, exec_lo
	v_cmpx_lt_i32_e32 0x270e, v10
	s_cbranch_execz .LBB4_878
; %bb.882:                              ;   in Loop: Header=BB4_880 Depth=4
	s_cbranch_execnz .LBB4_2696
; %bb.883:                              ;   in Loop: Header=BB4_880 Depth=4
	ds_load_b64 v[10:11], v0
	s_mov_b32 s43, exec_lo
	s_waitcnt vmcnt(0) lgkmcnt(0)
	s_waitcnt_vscnt null, 0x0
	flat_load_b32 v10, v[10:11] glc
	s_waitcnt vmcnt(0) lgkmcnt(0)
	buffer_gl1_inv
	buffer_gl0_inv
	v_cmpx_ne_u32_e32 0, v10
	s_cbranch_execz .LBB4_877
; %bb.884:                              ;   in Loop: Header=BB4_880 Depth=4
	ds_store_b32 v0, v10
	s_cbranch_execnz .LBB4_2744
; %bb.885:                              ;   in Loop: Header=BB4_880 Depth=4
	v_or_b32_e32 v30, 64, v30
	s_xor_b32 s42, exec_lo, -1
	s_branch .LBB4_877
.LBB4_886:                              ;   in Loop: Header=BB4_874 Depth=3
	s_or_b32 exec_lo, exec_lo, s38
	v_and_b32_e32 v10, 12, v30
.LBB4_887:                              ;   in Loop: Header=BB4_874 Depth=3
	s_or_b32 exec_lo, exec_lo, s37
	s_delay_alu instid0(VALU_DEP_1)
	v_cmp_eq_u32_e32 vcc_lo, 0, v10
	;;#ASMSTART
	s_wakeup
	;;#ASMEND
	s_or_not1_b32 s37, vcc_lo, exec_lo
.LBB4_888:                              ;   in Loop: Header=BB4_874 Depth=3
	s_or_b32 exec_lo, exec_lo, s36
	v_sub_nc_u32_e32 v2, v98, v80
	s_xor_b32 s13, s13, -1
	s_delay_alu instid0(SALU_CYCLE_1) | instskip(NEXT) | instid1(SALU_CYCLE_1)
	s_and_b32 s13, exec_lo, s13
	s_or_b32 s30, s13, s30
	s_delay_alu instid0(VALU_DEP_1) | instskip(SKIP_1) | instid1(SALU_CYCLE_1)
	v_min_i32_e32 v70, v70, v2
	s_xor_b32 s13, s37, -1
	s_and_saveexec_b32 s36, s13
	s_cbranch_execz .LBB4_903
; %bb.889:                              ;   in Loop: Header=BB4_874 Depth=3
	v_and_b32_e32 v2, 0x108, v30
	s_mov_b32 s13, exec_lo
	s_delay_alu instid0(VALU_DEP_1)
	v_cmpx_ne_u32_e32 0x108, v2
	s_xor_b32 s13, exec_lo, s13
                                        ; implicit-def: $vgpr8_vgpr9
; %bb.890:                              ;   in Loop: Header=BB4_874 Depth=3
	v_and_b32_e32 v8, 7, v34
; %bb.891:                              ;   in Loop: Header=BB4_874 Depth=3
	s_and_not1_saveexec_b32 s13, s13
	s_cbranch_execz .LBB4_893
; %bb.892:                              ;   in Loop: Header=BB4_874 Depth=3
	v_and_b32_e32 v8, 7, v34
	v_ashrrev_i32_e32 v71, 31, v70
	s_delay_alu instid0(VALU_DEP_2) | instskip(NEXT) | instid1(VALU_DEP_2)
	v_mad_u64_u32 v[9:10], null, v8, 24, v[6:7]
	v_lshlrev_b64 v[11:12], 1, v[70:71]
	flat_store_b64 v[9:10], v[11:12] offset:8
.LBB4_893:                              ;   in Loop: Header=BB4_874 Depth=3
	s_or_b32 exec_lo, exec_lo, s13
	v_and_b32_e32 v2, 0x100, v30
	s_mov_b32 s13, -1
	s_mov_b32 s37, exec_lo
                                        ; implicit-def: $vgpr9_vgpr10
	s_delay_alu instid0(VALU_DEP_1)
	v_cmpx_ne_u32_e32 0, v2
	s_cbranch_execnz .LBB4_896
; %bb.894:                              ;   in Loop: Header=BB4_874 Depth=3
	s_or_b32 exec_lo, exec_lo, s37
	s_and_saveexec_b32 vcc_lo, s13
	s_cbranch_execnz .LBB4_899
.LBB4_895:                              ;   in Loop: Header=BB4_874 Depth=3
	s_or_b32 exec_lo, exec_lo, vcc_lo
	s_cbranch_execnz .LBB4_2688
	s_branch .LBB4_900
.LBB4_896:                              ;   in Loop: Header=BB4_874 Depth=3
	v_mad_u64_u32 v[11:12], null, v8, 24, v[6:7]
	s_mov_b32 s38, exec_lo
	s_delay_alu instid0(VALU_DEP_1) | instskip(NEXT) | instid1(VALU_DEP_1)
	v_mov_b32_e32 v2, v12
	v_mad_u64_u32 v[9:10], null, v3, 24, v[2:3]
	s_delay_alu instid0(VALU_DEP_1)
	v_mov_b32_e32 v12, v9
                                        ; implicit-def: $vgpr9_vgpr10
	flat_load_b32 v2, v[11:12]
	s_waitcnt vmcnt(0) lgkmcnt(0)
	v_cmp_ne_u32_e32 vcc_lo, 1, v2
	v_cmpx_eq_u32_e32 1, v2
	s_cbranch_execz .LBB4_898
; %bb.897:                              ;   in Loop: Header=BB4_874 Depth=3
	flat_load_b32 v9, v[11:12] offset:4 glc
	s_waitcnt vmcnt(0) lgkmcnt(0)
	v_ashrrev_i32_e32 v10, 31, v9
	s_delay_alu instid0(VALU_DEP_1)
	v_lshrrev_b64 v[9:10], 1, v[9:10]
.LBB4_898:                              ;   in Loop: Header=BB4_874 Depth=3
	s_or_b32 exec_lo, exec_lo, s38
	s_delay_alu instid0(SALU_CYCLE_1)
	s_or_not1_b32 s13, vcc_lo, exec_lo
	s_or_b32 exec_lo, exec_lo, s37
	s_and_saveexec_b32 vcc_lo, s13
	s_cbranch_execz .LBB4_895
.LBB4_899:                              ;   in Loop: Header=BB4_874 Depth=3
	v_mul_lo_u32 v2, v3, v101
	v_mul_lo_u32 v11, v8, v102
	v_mad_u64_u32 v[9:10], null, v8, v101, 0
	s_delay_alu instid0(VALU_DEP_1)
	v_add3_u32 v10, v10, v11, v2
	s_or_b32 exec_lo, exec_lo, vcc_lo
	s_cbranch_execnz .LBB4_2688
.LBB4_900:                              ;   in Loop: Header=BB4_874 Depth=3
	s_delay_alu instid0(VALU_DEP_1) | instskip(SKIP_2) | instid1(VALU_DEP_2)
	v_lshlrev_b64 v[8:9], 1, v[9:10]
	v_and_b32_e32 v2, 0x2000, v30
	s_mov_b32 s13, exec_lo
	v_add_co_u32 v8, vcc_lo, v36, v8
	s_delay_alu instid0(VALU_DEP_3)
	v_add_co_ci_u32_e32 v9, vcc_lo, v37, v9, vcc_lo
	ds_store_b64 v0, v[8:9]
	v_cmpx_ne_u32_e32 0, v2
	s_cbranch_execz .LBB4_902
; %bb.901:                              ;   in Loop: Header=BB4_874 Depth=3
	ds_load_b64 v[8:9], v0 offset:584
	s_waitcnt lgkmcnt(0)
	v_add_co_u32 v8, vcc_lo, v8, 1
	v_add_co_ci_u32_e32 v9, vcc_lo, 0, v9, vcc_lo
	ds_store_b64 v0, v[8:9] offset:584
.LBB4_902:                              ;   in Loop: Header=BB4_874 Depth=3
	s_or_b32 exec_lo, exec_lo, s13
	v_add_co_u32 v34, vcc_lo, v34, 2
	v_add_co_ci_u32_e32 v35, vcc_lo, 0, v35, vcc_lo
.LBB4_903:                              ;   in Loop: Header=BB4_874 Depth=3
	s_or_b32 exec_lo, exec_lo, s36
	s_and_saveexec_b32 s13, s3
	s_cbranch_execz .LBB4_925
; %bb.904:                              ;   in Loop: Header=BB4_874 Depth=3
	s_and_saveexec_b32 vcc_lo, s4
	s_delay_alu instid0(SALU_CYCLE_1)
	s_xor_b32 s36, exec_lo, vcc_lo
	s_cbranch_execz .LBB4_922
; %bb.905:                              ;   in Loop: Header=BB4_874 Depth=3
	s_and_saveexec_b32 s37, s1
	s_cbranch_execz .LBB4_921
; %bb.906:                              ;   in Loop: Header=BB4_874 Depth=3
	s_mov_b32 s39, exec_lo
	s_mov_b32 s38, exec_lo
	v_mbcnt_lo_u32_b32 v2, s39, 0
	s_waitcnt lgkmcnt(0)
	s_waitcnt_vscnt null, 0x0
	buffer_gl1_inv
	buffer_gl0_inv
	v_cmpx_eq_u32_e32 0, v2
	s_cbranch_execz .LBB4_908
; %bb.907:                              ;   in Loop: Header=BB4_874 Depth=3
	s_bcnt1_i32_b32 vcc_lo, s39
	s_delay_alu instid0(SALU_CYCLE_1)
	v_mov_b32_e32 v2, vcc_lo
	ds_add_u64 v0, v[2:3]
	s_cbranch_execnz .LBB4_2800
.LBB4_908:                              ;   in Loop: Header=BB4_874 Depth=3
	s_or_b32 exec_lo, exec_lo, s38
	s_cbranch_execnz .LBB4_2766
; %bb.909:                              ;   in Loop: Header=BB4_874 Depth=3
	ds_load_b64 v[8:9], v0
	v_add_co_u32 v48, vcc_lo, v48, v113
	v_add_co_ci_u32_e32 v49, vcc_lo, 0, v49, vcc_lo
	s_mov_b32 s38, exec_lo
	s_waitcnt lgkmcnt(0)
	s_delay_alu instid0(VALU_DEP_1)
	v_cmpx_lt_u64_e64 v[8:9], v[48:49]
	s_cbranch_execz .LBB4_920
; %bb.910:                              ;   in Loop: Header=BB4_874 Depth=3
	s_mov_b32 s39, 0
	s_mov_b32 s42, 0
                                        ; implicit-def: $sgpr40
                                        ; implicit-def: $sgpr41
	s_branch .LBB4_912
.LBB4_911:                              ;   in Loop: Header=BB4_912 Depth=4
	s_or_b32 exec_lo, exec_lo, s44
	s_delay_alu instid0(SALU_CYCLE_1) | instskip(NEXT) | instid1(SALU_CYCLE_1)
	s_and_b32 vcc_lo, exec_lo, vcc_lo
	s_or_b32 s39, vcc_lo, s39
	s_and_not1_b32 vcc_lo, s40, exec_lo
	s_and_b32 s40, s41, exec_lo
	s_delay_alu instid0(SALU_CYCLE_1)
	s_or_b32 s40, vcc_lo, s40
	s_and_not1_b32 exec_lo, exec_lo, s39
	s_cbranch_execz .LBB4_918
.LBB4_912:                              ;   Parent Loop BB4_51 Depth=1
                                        ;     Parent Loop BB4_308 Depth=2
                                        ;       Parent Loop BB4_874 Depth=3
                                        ; =>      This Inner Loop Header: Depth=4
	s_add_i32 s42, s42, 1
                                        ; implicit-def: $sgpr44
	s_delay_alu instid0(SALU_CYCLE_1) | instskip(SKIP_1) | instid1(SALU_CYCLE_1)
	s_cmpk_lg_i32 s42, 0x2710
	s_cselect_b32 s43, -1, 0
	s_and_b32 vcc_lo, exec_lo, s43
	s_cbranch_vccz .LBB4_916
.LBB4_913:                              ;   in Loop: Header=BB4_912 Depth=4
	s_and_not1_b32 s41, s41, exec_lo
	s_and_b32 s44, s44, exec_lo
	s_mov_b32 vcc_lo, -1
	s_or_b32 s41, s41, s44
	s_and_saveexec_b32 s44, s43
	s_cbranch_execz .LBB4_911
; %bb.914:                              ;   in Loop: Header=BB4_912 Depth=4
	s_sleep 1
	s_cbranch_execnz .LBB4_2848
; %bb.915:                              ;   in Loop: Header=BB4_912 Depth=4
	ds_load_b64 v[8:9], v0
	s_and_not1_b32 s41, s41, exec_lo
	s_waitcnt lgkmcnt(0)
	v_cmp_ge_u64_e32 vcc_lo, v[8:9], v[48:49]
	s_or_not1_b32 vcc_lo, vcc_lo, exec_lo
	s_branch .LBB4_911
.LBB4_916:                              ;   in Loop: Header=BB4_912 Depth=4
	s_cbranch_execnz .LBB4_2856
; %bb.917:                              ;   in Loop: Header=BB4_912 Depth=4
	ds_load_b64 v[8:9], v0
	s_and_not1_b32 s43, s43, exec_lo
	s_mov_b32 s42, 0
	s_mov_b32 s44, -1
	s_waitcnt lgkmcnt(0)
	flat_load_b32 v2, v[8:9] glc
	s_waitcnt vmcnt(0) lgkmcnt(0)
	buffer_gl1_inv
	buffer_gl0_inv
	v_cmp_eq_u32_e32 vcc_lo, 0, v2
	s_and_b32 vcc_lo, vcc_lo, exec_lo
	s_delay_alu instid0(SALU_CYCLE_1)
	s_or_b32 s43, s43, vcc_lo
	s_branch .LBB4_913
.LBB4_918:                              ;   in Loop: Header=BB4_874 Depth=3
	s_or_b32 exec_lo, exec_lo, s39
	s_and_saveexec_b32 vcc_lo, s40
	s_delay_alu instid0(SALU_CYCLE_1)
	s_xor_b32 vcc_lo, exec_lo, vcc_lo
	s_cbranch_execz .LBB4_920
; %bb.919:                              ;   in Loop: Header=BB4_874 Depth=3
	ds_store_b32 v0, v148
	s_cbranch_execnz .LBB4_3058
.LBB4_920:                              ;   in Loop: Header=BB4_874 Depth=3
	s_or_b32 exec_lo, exec_lo, s38
	;;#ASMSTART
	s_wakeup
	;;#ASMEND
.LBB4_921:                              ;   in Loop: Header=BB4_874 Depth=3
	s_or_b32 exec_lo, exec_lo, s37
.LBB4_922:                              ;   in Loop: Header=BB4_874 Depth=3
	s_and_not1_saveexec_b32 vcc_lo, s36
	s_cbranch_execz .LBB4_924
; %bb.923:                              ;   in Loop: Header=BB4_874 Depth=3
	s_waitcnt lgkmcnt(0)
	s_waitcnt_vscnt null, 0x0
	buffer_gl1_inv
	buffer_gl0_inv
	s_barrier
.LBB4_924:                              ;   in Loop: Header=BB4_874 Depth=3
	s_or_b32 exec_lo, exec_lo, vcc_lo
.LBB4_925:                              ;   in Loop: Header=BB4_874 Depth=3
	s_delay_alu instid0(SALU_CYCLE_1) | instskip(SKIP_1) | instid1(SALU_CYCLE_1)
	s_or_b32 exec_lo, exec_lo, s13
                                        ; implicit-def: $vgpr2
	s_and_saveexec_b32 s13, vcc_hi
	s_xor_b32 s13, exec_lo, s13
	s_cbranch_execz .LBB4_947
; %bb.926:                              ;   in Loop: Header=BB4_874 Depth=3
	s_and_saveexec_b32 vcc_lo, s4
	s_delay_alu instid0(SALU_CYCLE_1)
	s_xor_b32 s36, exec_lo, vcc_lo
	s_cbranch_execz .LBB4_944
; %bb.927:                              ;   in Loop: Header=BB4_874 Depth=3
	s_and_saveexec_b32 s37, s1
	s_cbranch_execz .LBB4_943
; %bb.928:                              ;   in Loop: Header=BB4_874 Depth=3
	s_mov_b32 s39, exec_lo
	s_mov_b32 s38, exec_lo
	v_mbcnt_lo_u32_b32 v2, s39, 0
	;;#ASMSTART
	s_waitcnt lgkmcnt(0) vmcnt(0)
	;;#ASMEND
	s_delay_alu instid0(VALU_DEP_1)
	v_cmpx_eq_u32_e32 0, v2
	s_cbranch_execz .LBB4_930
; %bb.929:                              ;   in Loop: Header=BB4_874 Depth=3
	s_bcnt1_i32_b32 vcc_lo, s39
	s_delay_alu instid0(SALU_CYCLE_1)
	v_mov_b32_e32 v2, vcc_lo
	ds_add_u64 v0, v[2:3]
	s_cbranch_execnz .LBB4_2810
.LBB4_930:                              ;   in Loop: Header=BB4_874 Depth=3
	s_or_b32 exec_lo, exec_lo, s38
	s_cbranch_execnz .LBB4_2776
; %bb.931:                              ;   in Loop: Header=BB4_874 Depth=3
	ds_load_b64 v[8:9], v0
	v_add_co_u32 v48, vcc_lo, v48, v113
	v_add_co_ci_u32_e32 v49, vcc_lo, 0, v49, vcc_lo
	s_mov_b32 s38, exec_lo
	s_waitcnt lgkmcnt(0)
	s_delay_alu instid0(VALU_DEP_1)
	v_cmpx_lt_u64_e64 v[8:9], v[48:49]
	s_cbranch_execz .LBB4_942
; %bb.932:                              ;   in Loop: Header=BB4_874 Depth=3
	s_mov_b32 s39, 0
	s_mov_b32 s42, 0
                                        ; implicit-def: $sgpr40
                                        ; implicit-def: $sgpr41
	s_branch .LBB4_934
.LBB4_933:                              ;   in Loop: Header=BB4_934 Depth=4
	s_or_b32 exec_lo, exec_lo, s44
	s_delay_alu instid0(SALU_CYCLE_1) | instskip(NEXT) | instid1(SALU_CYCLE_1)
	s_and_b32 vcc_lo, exec_lo, vcc_lo
	s_or_b32 s39, vcc_lo, s39
	s_and_not1_b32 vcc_lo, s40, exec_lo
	s_and_b32 s40, s41, exec_lo
	s_delay_alu instid0(SALU_CYCLE_1)
	s_or_b32 s40, vcc_lo, s40
	s_and_not1_b32 exec_lo, exec_lo, s39
	s_cbranch_execz .LBB4_940
.LBB4_934:                              ;   Parent Loop BB4_51 Depth=1
                                        ;     Parent Loop BB4_308 Depth=2
                                        ;       Parent Loop BB4_874 Depth=3
                                        ; =>      This Inner Loop Header: Depth=4
	s_add_i32 s42, s42, 1
                                        ; implicit-def: $sgpr44
	s_delay_alu instid0(SALU_CYCLE_1) | instskip(SKIP_1) | instid1(SALU_CYCLE_1)
	s_cmpk_lg_i32 s42, 0x2710
	s_cselect_b32 s43, -1, 0
	s_and_b32 vcc_lo, exec_lo, s43
	s_cbranch_vccz .LBB4_938
.LBB4_935:                              ;   in Loop: Header=BB4_934 Depth=4
	s_and_not1_b32 s41, s41, exec_lo
	s_and_b32 s44, s44, exec_lo
	s_mov_b32 vcc_lo, -1
	s_or_b32 s41, s41, s44
	s_and_saveexec_b32 s44, s43
	s_cbranch_execz .LBB4_933
; %bb.936:                              ;   in Loop: Header=BB4_934 Depth=4
	s_sleep 1
	s_cbranch_execnz .LBB4_2850
; %bb.937:                              ;   in Loop: Header=BB4_934 Depth=4
	ds_load_b64 v[8:9], v0
	s_and_not1_b32 s41, s41, exec_lo
	s_waitcnt lgkmcnt(0)
	v_cmp_ge_u64_e32 vcc_lo, v[8:9], v[48:49]
	s_or_not1_b32 vcc_lo, vcc_lo, exec_lo
	s_branch .LBB4_933
.LBB4_938:                              ;   in Loop: Header=BB4_934 Depth=4
	s_cbranch_execnz .LBB4_2866
; %bb.939:                              ;   in Loop: Header=BB4_934 Depth=4
	ds_load_b64 v[8:9], v0
	s_and_not1_b32 s43, s43, exec_lo
	s_mov_b32 s42, 0
	s_mov_b32 s44, -1
	s_waitcnt lgkmcnt(0)
	s_waitcnt_vscnt null, 0x0
	flat_load_b32 v2, v[8:9] glc
	s_waitcnt vmcnt(0) lgkmcnt(0)
	buffer_gl1_inv
	buffer_gl0_inv
	v_cmp_eq_u32_e32 vcc_lo, 0, v2
	s_and_b32 vcc_lo, vcc_lo, exec_lo
	s_delay_alu instid0(SALU_CYCLE_1)
	s_or_b32 s43, s43, vcc_lo
	s_branch .LBB4_935
.LBB4_940:                              ;   in Loop: Header=BB4_874 Depth=3
	s_or_b32 exec_lo, exec_lo, s39
	s_and_saveexec_b32 vcc_lo, s40
	s_delay_alu instid0(SALU_CYCLE_1)
	s_xor_b32 vcc_lo, exec_lo, vcc_lo
	s_cbranch_execz .LBB4_942
; %bb.941:                              ;   in Loop: Header=BB4_874 Depth=3
	ds_store_b32 v0, v148
	s_cbranch_execnz .LBB4_3062
.LBB4_942:                              ;   in Loop: Header=BB4_874 Depth=3
	s_or_b32 exec_lo, exec_lo, s38
	;;#ASMSTART
	s_wakeup
	;;#ASMEND
.LBB4_943:                              ;   in Loop: Header=BB4_874 Depth=3
	s_or_b32 exec_lo, exec_lo, s37
.LBB4_944:                              ;   in Loop: Header=BB4_874 Depth=3
	s_and_not1_saveexec_b32 vcc_lo, s36
	s_cbranch_execz .LBB4_946
; %bb.945:                              ;   in Loop: Header=BB4_874 Depth=3
	;;#ASMSTART
	s_waitcnt lgkmcnt(0) vmcnt(0)
	;;#ASMEND
	s_waitcnt lgkmcnt(0)
	s_waitcnt_vscnt null, 0x0
	s_barrier
.LBB4_946:                              ;   in Loop: Header=BB4_874 Depth=3
	s_or_b32 exec_lo, exec_lo, vcc_lo
	v_and_b32_e32 v2, 16, v30
.LBB4_947:                              ;   in Loop: Header=BB4_874 Depth=3
	s_and_not1_saveexec_b32 s36, s13
	s_cbranch_execz .LBB4_952
; %bb.948:                              ;   in Loop: Header=BB4_874 Depth=3
	s_cbranch_execnz .LBB4_2710
; %bb.949:                              ;   in Loop: Header=BB4_874 Depth=3
	ds_load_b32 v2, v0
	v_cmp_lt_i32_e32 vcc_lo, 0, v70
	s_waitcnt lgkmcnt(0)
	v_readfirstlane_b32 s13, v2
	v_and_b32_e32 v2, 16, v30
	s_delay_alu instid0(VALU_DEP_2) | instskip(NEXT) | instid1(VALU_DEP_1)
	s_cmp_eq_u32 s13, 0
	v_cmp_ne_u32_e64 s13, 0, v2
	s_cselect_b32 s37, -1, 0
	v_and_b32_e32 v2, 16, v30
	s_and_b32 vcc_lo, vcc_lo, s37
	s_delay_alu instid0(VALU_DEP_2) | instid1(SALU_CYCLE_1)
	s_and_b32 vcc_lo, s13, vcc_lo
	s_delay_alu instid0(SALU_CYCLE_1)
	s_and_saveexec_b32 s13, vcc_lo
	s_cbranch_execz .LBB4_951
; %bb.950:                              ;   in Loop: Header=BB4_874 Depth=3
	v_mov_b32_e32 v2, 1
	s_waitcnt_vscnt null, 0x0
	buffer_gl1_inv
	buffer_gl0_inv
.LBB4_951:                              ;   in Loop: Header=BB4_874 Depth=3
	s_or_b32 exec_lo, exec_lo, s13
.LBB4_952:                              ;   in Loop: Header=BB4_874 Depth=3
	s_delay_alu instid0(SALU_CYCLE_1) | instskip(NEXT) | instid1(VALU_DEP_1)
	s_or_b32 exec_lo, exec_lo, s36
	v_cmp_ne_u32_e32 vcc_lo, 0, v2
	s_xor_b32 s13, s10, -1
	s_delay_alu instid0(SALU_CYCLE_1) | instskip(NEXT) | instid1(SALU_CYCLE_1)
	s_and_b32 vcc_lo, vcc_lo, s13
	s_and_saveexec_b32 s13, vcc_lo
	s_cbranch_execz .LBB4_954
; %bb.953:                              ;   in Loop: Header=BB4_874 Depth=3
	s_waitcnt lgkmcnt(0)
	s_waitcnt_vscnt null, 0x0
	flat_store_b32 v[38:39], v148
.LBB4_954:                              ;   in Loop: Header=BB4_874 Depth=3
	s_or_b32 exec_lo, exec_lo, s13
	v_and_b32_e32 v2, 48, v30
	s_mov_b32 s13, exec_lo
	s_delay_alu instid0(VALU_DEP_1)
	v_cmpx_ne_u32_e32 0, v2
	s_cbranch_execz .LBB4_956
; %bb.955:                              ;   in Loop: Header=BB4_874 Depth=3
	v_add_co_u32 v34, vcc_lo, v34, 2
	v_add_co_ci_u32_e32 v35, vcc_lo, 0, v35, vcc_lo
	s_waitcnt lgkmcnt(0)
	s_waitcnt_vscnt null, 0x0
	flat_store_b64 v[32:33], v[34:35]
.LBB4_956:                              ;   in Loop: Header=BB4_874 Depth=3
	s_or_b32 exec_lo, exec_lo, s13
	v_add_nc_u32_e32 v80, v70, v80
	s_mov_b32 s13, 0
	s_and_not1_b32 exec_lo, exec_lo, s30
	s_cbranch_execnz .LBB4_874
; %bb.957:                              ;   in Loop: Header=BB4_308 Depth=2
	s_or_b32 exec_lo, exec_lo, s30
.LBB4_958:                              ;   in Loop: Header=BB4_308 Depth=2
	s_delay_alu instid0(SALU_CYCLE_1) | instskip(SKIP_1) | instid1(SALU_CYCLE_1)
	s_or_b32 exec_lo, exec_lo, s15
	s_add_i32 s17, s17, 1
	s_cmp_eq_u32 s17, s19
	s_cbranch_scc0 .LBB4_308
.LBB4_959:                              ;   in Loop: Header=BB4_51 Depth=1
	v_mul_lo_u32 v2, v65, s19
	v_mul_lo_u32 v10, v64, s21
	v_mad_u64_u32 v[8:9], null, v64, s19, 0
	v_mov_b32_e32 v80, 0
	s_mov_b32 s36, 0
	s_delay_alu instid0(VALU_DEP_2) | instskip(NEXT) | instid1(VALU_DEP_3)
	v_add3_u32 v9, v9, v10, v2
	v_sub_co_u32 v10, vcc_lo, v66, v8
	s_delay_alu instid0(VALU_DEP_2) | instskip(NEXT) | instid1(VALU_DEP_1)
	v_sub_co_ci_u32_e32 v11, vcc_lo, v67, v9, vcc_lo
	v_cmp_lt_i64_e32 vcc_lo, v[64:65], v[10:11]
	v_cndmask_b32_e32 v10, v10, v64, vcc_lo
	s_delay_alu instid0(VALU_DEP_1) | instskip(NEXT) | instid1(VALU_DEP_1)
	v_max_i32_e32 v149, 0, v10
	v_add_nc_u32_e32 v2, 31, v149
	s_delay_alu instid0(VALU_DEP_1) | instskip(NEXT) | instid1(VALU_DEP_1)
	v_lshrrev_b32_e32 v2, 1, v2
	v_and_b32_e32 v11, 0x3ffffff0, v2
	v_cmp_lt_i32_e32 vcc_lo, 0, v10
	v_mov_b32_e32 v2, 0
	s_delay_alu instid0(VALU_DEP_3) | instskip(SKIP_1) | instid1(SALU_CYCLE_1)
	v_max_i32_e32 v70, s28, v11
	s_and_b32 s13, s16, vcc_lo
	s_and_saveexec_b32 s17, s13
	s_cbranch_execz .LBB4_1958
; %bb.960:                              ;   in Loop: Header=BB4_51 Depth=1
	v_add_co_u32 v8, vcc_lo, v8, v68
	v_add_co_ci_u32_e32 v9, vcc_lo, v9, v69, vcc_lo
	v_mov_b32_e32 v80, 0
	s_mov_b32 s30, 1
	s_mov_b32 s37, -1
	s_delay_alu instid0(VALU_DEP_2)
	v_lshlrev_b64 v[82:83], 1, v[8:9]
.LBB4_961:                              ;   Parent Loop BB4_51 Depth=1
                                        ; =>  This Loop Header: Depth=2
                                        ;       Child Loop BB4_970 Depth 3
                                        ;       Child Loop BB4_1000 Depth 3
	;; [unrolled: 1-line block ×5, first 2 shown]
                                        ;         Child Loop BB4_1343 Depth 4
                                        ;       Child Loop BB4_1357 Depth 3
                                        ;       Child Loop BB4_1456 Depth 3
                                        ;         Child Loop BB4_1469 Depth 4
                                        ;       Child Loop BB4_1486 Depth 3
                                        ;       Child Loop BB4_1684 Depth 3
	;; [unrolled: 1-line block ×6, first 2 shown]
	s_and_saveexec_b32 s15, s0
	s_cbranch_execz .LBB4_964
; %bb.962:                              ;   in Loop: Header=BB4_961 Depth=2
	s_cbranch_execnz .LBB4_2678
; %bb.963:                              ;   in Loop: Header=BB4_961 Depth=2
	ds_load_2addr_b64 v[8:11], v0 offset1:1
	ds_load_b64 v[12:13], v0
	v_ashrrev_i32_e32 v81, 31, v80
	s_delay_alu instid0(VALU_DEP_1)
	v_lshlrev_b64 v[14:15], 1, v[80:81]
	s_waitcnt lgkmcnt(1)
	v_add_co_u32 v2, vcc_lo, v8, v82
	v_add_co_ci_u32_e32 v9, vcc_lo, v9, v83, vcc_lo
	v_add_co_u32 v10, vcc_lo, v10, v82
	v_add_co_ci_u32_e32 v11, vcc_lo, v11, v83, vcc_lo
	s_waitcnt lgkmcnt(0)
	v_add_co_u32 v16, vcc_lo, v12, v82
	v_add_co_ci_u32_e32 v17, vcc_lo, v13, v83, vcc_lo
	v_add_co_u32 v8, vcc_lo, v2, v14
	v_add_co_ci_u32_e32 v9, vcc_lo, v9, v15, vcc_lo
	s_delay_alu instid0(VALU_DEP_4) | instskip(NEXT) | instid1(VALU_DEP_4)
	v_add_co_u32 v2, vcc_lo, v16, v14
	v_add_co_ci_u32_e32 v16, vcc_lo, v17, v15, vcc_lo
	v_cmp_ne_u64_e32 vcc_lo, 0, v[12:13]
	v_add_co_u32 v10, s13, v10, v14
	s_delay_alu instid0(VALU_DEP_1) | instskip(NEXT) | instid1(VALU_DEP_4)
	v_add_co_ci_u32_e64 v11, s13, v11, v15, s13
	v_dual_cndmask_b32 v13, 0, v16 :: v_dual_cndmask_b32 v12, 0, v2
	ds_store_b64 v0, v[8:9]
	ds_store_b64 v0, v[10:11]
	;; [unrolled: 1-line block ×3, first 2 shown]
.LBB4_964:                              ;   in Loop: Header=BB4_961 Depth=2
	s_or_b32 exec_lo, exec_lo, s15
	v_and_b32_e32 v2, 12, v30
	s_mov_b32 s38, -1
	s_mov_b32 s13, exec_lo
	s_delay_alu instid0(VALU_DEP_1)
	v_cmpx_ne_u32_e32 0, v2
	s_cbranch_execz .LBB4_978
; %bb.965:                              ;   in Loop: Header=BB4_961 Depth=2
	v_and_b32_e32 v2, 8, v30
	s_mov_b32 s15, s30
	s_mov_b32 s30, s37
	s_delay_alu instid0(VALU_DEP_1) | instskip(SKIP_3) | instid1(VALU_DEP_1)
	v_add_co_u32 v10, vcc_lo, v50, v2
	v_add_co_ci_u32_e32 v11, vcc_lo, 0, v51, vcc_lo
	v_add_co_u32 v8, vcc_lo, v34, 2
	v_add_co_ci_u32_e32 v9, vcc_lo, 0, v35, vcc_lo
	v_cmp_lt_u64_e32 vcc_lo, v[10:11], v[8:9]
	v_mov_b32_e32 v10, 1
	s_and_saveexec_b32 s37, vcc_lo
	s_cbranch_execz .LBB4_977
; %bb.966:                              ;   in Loop: Header=BB4_961 Depth=2
	v_mov_b32_e32 v10, 0
	s_mov_b32 s38, 0
                                        ; implicit-def: $sgpr39
	s_branch .LBB4_970
.LBB4_967:                              ;   in Loop: Header=BB4_970 Depth=3
	s_or_b32 exec_lo, exec_lo, s43
	v_mov_b32_e32 v11, 0
	s_or_not1_b32 s42, s42, exec_lo
.LBB4_968:                              ;   in Loop: Header=BB4_970 Depth=3
	s_or_b32 exec_lo, exec_lo, s41
	s_delay_alu instid0(VALU_DEP_1) | instskip(SKIP_2) | instid1(SALU_CYCLE_1)
	v_mov_b32_e32 v10, v11
	s_and_not1_b32 vcc_lo, s39, exec_lo
	s_and_b32 s39, s42, exec_lo
	s_or_b32 s39, vcc_lo, s39
.LBB4_969:                              ;   in Loop: Header=BB4_970 Depth=3
	s_or_b32 exec_lo, exec_lo, s40
	s_waitcnt vmcnt(0) lgkmcnt(0)
	v_add_co_u32 v11, vcc_lo, v50, v2
	v_add_co_ci_u32_e32 v12, vcc_lo, 0, v51, vcc_lo
	s_xor_b32 s40, s39, -1
	s_delay_alu instid0(VALU_DEP_1) | instskip(SKIP_1) | instid1(SALU_CYCLE_1)
	v_cmp_ge_u64_e32 vcc_lo, v[11:12], v[8:9]
	s_or_b32 vcc_lo, s40, vcc_lo
	s_and_b32 vcc_lo, exec_lo, vcc_lo
	s_delay_alu instid0(SALU_CYCLE_1) | instskip(NEXT) | instid1(SALU_CYCLE_1)
	s_or_b32 s38, vcc_lo, s38
	s_and_not1_b32 exec_lo, exec_lo, s38
	s_cbranch_execz .LBB4_976
.LBB4_970:                              ;   Parent Loop BB4_51 Depth=1
                                        ;     Parent Loop BB4_961 Depth=2
                                        ; =>    This Inner Loop Header: Depth=3
	s_sleep 1
	flat_load_b64 v[50:51], v[32:33] glc
	v_and_b32_e32 v11, 64, v30
	s_and_not1_b32 s39, s39, exec_lo
	s_mov_b32 s40, exec_lo
	s_delay_alu instid0(VALU_DEP_1)
	v_cmpx_eq_u32_e32 0, v11
	s_cbranch_execz .LBB4_969
; %bb.971:                              ;   in Loop: Header=BB4_970 Depth=3
	v_add_nc_u32_e32 v11, 1, v10
	s_mov_b32 s42, -1
	s_mov_b32 s41, exec_lo
	v_cmpx_lt_i32_e32 0x270e, v10
	s_cbranch_execz .LBB4_968
; %bb.972:                              ;   in Loop: Header=BB4_970 Depth=3
	s_cbranch_execnz .LBB4_2704
; %bb.973:                              ;   in Loop: Header=BB4_970 Depth=3
	ds_load_b64 v[10:11], v0
	s_mov_b32 s43, exec_lo
	s_waitcnt vmcnt(0) lgkmcnt(0)
	s_waitcnt_vscnt null, 0x0
	flat_load_b32 v10, v[10:11] glc
	s_waitcnt vmcnt(0) lgkmcnt(0)
	buffer_gl1_inv
	buffer_gl0_inv
	v_cmpx_ne_u32_e32 0, v10
	s_cbranch_execz .LBB4_967
; %bb.974:                              ;   in Loop: Header=BB4_970 Depth=3
	ds_store_b32 v0, v10
	s_cbranch_execnz .LBB4_2758
; %bb.975:                              ;   in Loop: Header=BB4_970 Depth=3
	v_or_b32_e32 v30, 64, v30
	s_xor_b32 s42, exec_lo, -1
	s_branch .LBB4_967
.LBB4_976:                              ;   in Loop: Header=BB4_961 Depth=2
	s_or_b32 exec_lo, exec_lo, s38
	v_and_b32_e32 v10, 12, v30
.LBB4_977:                              ;   in Loop: Header=BB4_961 Depth=2
	s_or_b32 exec_lo, exec_lo, s37
	s_delay_alu instid0(VALU_DEP_1)
	v_cmp_eq_u32_e32 vcc_lo, 0, v10
	s_mov_b32 s37, s30
	s_mov_b32 s30, s15
	;;#ASMSTART
	s_wakeup
	;;#ASMEND
	s_or_not1_b32 s38, vcc_lo, exec_lo
.LBB4_978:                              ;   in Loop: Header=BB4_961 Depth=2
	s_or_b32 exec_lo, exec_lo, s13
	v_sub_nc_u32_e32 v2, v149, v80
	s_xor_b32 s13, s38, -1
	s_delay_alu instid0(VALU_DEP_1)
	v_min_i32_e32 v70, v70, v2
	s_and_saveexec_b32 s15, s13
	s_cbranch_execz .LBB4_991
; %bb.979:                              ;   in Loop: Header=BB4_961 Depth=2
	v_and_b32_e32 v2, 0x108, v30
	s_delay_alu instid0(VALU_DEP_1) | instskip(SKIP_2) | instid1(SALU_CYCLE_1)
	v_cmp_ne_u32_e32 vcc_lo, 0x108, v2
	v_and_b32_e32 v2, 7, v34
	s_and_saveexec_b32 s13, vcc_lo
	s_xor_b32 s13, exec_lo, s13
	s_delay_alu instid0(SALU_CYCLE_1)
	s_and_not1_saveexec_b32 s13, s13
	s_cbranch_execz .LBB4_981
; %bb.980:                              ;   in Loop: Header=BB4_961 Depth=2
	v_ashrrev_i32_e32 v71, 31, v70
	v_mad_u64_u32 v[8:9], null, v2, 24, v[6:7]
	s_delay_alu instid0(VALU_DEP_2)
	v_lshlrev_b64 v[10:11], 1, v[70:71]
	flat_store_b64 v[8:9], v[10:11] offset:8
.LBB4_981:                              ;   in Loop: Header=BB4_961 Depth=2
	s_or_b32 exec_lo, exec_lo, s13
	v_and_b32_e32 v8, 0x100, v30
	s_mov_b32 s13, -1
	s_delay_alu instid0(VALU_DEP_1)
	v_cmp_ne_u32_e32 vcc_lo, 0, v8
                                        ; implicit-def: $vgpr8_vgpr9
	s_and_saveexec_b32 s38, vcc_lo
	s_cbranch_execnz .LBB4_984
; %bb.982:                              ;   in Loop: Header=BB4_961 Depth=2
	s_or_b32 exec_lo, exec_lo, s38
	s_and_saveexec_b32 vcc_lo, s13
	s_cbranch_execnz .LBB4_987
.LBB4_983:                              ;   in Loop: Header=BB4_961 Depth=2
	s_or_b32 exec_lo, exec_lo, vcc_lo
	s_cbranch_execnz .LBB4_2698
	s_branch .LBB4_988
.LBB4_984:                              ;   in Loop: Header=BB4_961 Depth=2
	v_mad_u64_u32 v[10:11], null, v2, 24, v[6:7]
	s_delay_alu instid0(VALU_DEP_1) | instskip(NEXT) | instid1(VALU_DEP_1)
	v_mov_b32_e32 v8, v11
	v_mad_u64_u32 v[11:12], null, v3, 24, v[8:9]
	flat_load_b32 v8, v[10:11]
	s_waitcnt vmcnt(0) lgkmcnt(0)
	v_cmp_ne_u32_e32 vcc_lo, 1, v8
	v_cmp_eq_u32_e64 s13, 1, v8
                                        ; implicit-def: $vgpr8_vgpr9
	s_delay_alu instid0(VALU_DEP_1)
	s_and_saveexec_b32 s39, s13
	s_cbranch_execz .LBB4_986
; %bb.985:                              ;   in Loop: Header=BB4_961 Depth=2
	flat_load_b32 v8, v[10:11] offset:4 glc
	s_waitcnt vmcnt(0) lgkmcnt(0)
	v_ashrrev_i32_e32 v9, 31, v8
	s_delay_alu instid0(VALU_DEP_1)
	v_lshrrev_b64 v[8:9], 1, v[8:9]
.LBB4_986:                              ;   in Loop: Header=BB4_961 Depth=2
	s_or_b32 exec_lo, exec_lo, s39
	s_delay_alu instid0(SALU_CYCLE_1)
	s_or_not1_b32 s13, vcc_lo, exec_lo
	s_or_b32 exec_lo, exec_lo, s38
	s_and_saveexec_b32 vcc_lo, s13
	s_cbranch_execz .LBB4_983
.LBB4_987:                              ;   in Loop: Header=BB4_961 Depth=2
	v_mul_lo_u32 v10, v3, v101
	v_mul_lo_u32 v11, v2, v102
	v_mad_u64_u32 v[8:9], null, v2, v101, 0
	s_delay_alu instid0(VALU_DEP_1)
	v_add3_u32 v9, v9, v11, v10
	s_or_b32 exec_lo, exec_lo, vcc_lo
	s_cbranch_execnz .LBB4_2698
.LBB4_988:                              ;   in Loop: Header=BB4_961 Depth=2
	s_delay_alu instid0(VALU_DEP_1) | instskip(SKIP_2) | instid1(VALU_DEP_2)
	v_lshlrev_b64 v[8:9], 1, v[8:9]
	v_and_b32_e32 v2, 0x2000, v30
	s_mov_b32 s13, exec_lo
	v_add_co_u32 v8, vcc_lo, v36, v8
	s_delay_alu instid0(VALU_DEP_3)
	v_add_co_ci_u32_e32 v9, vcc_lo, v37, v9, vcc_lo
	ds_store_b64 v0, v[8:9]
	v_cmpx_ne_u32_e32 0, v2
	s_cbranch_execz .LBB4_990
; %bb.989:                              ;   in Loop: Header=BB4_961 Depth=2
	ds_load_b64 v[8:9], v0 offset:584
	s_waitcnt lgkmcnt(0)
	v_add_co_u32 v8, vcc_lo, v8, 1
	v_add_co_ci_u32_e32 v9, vcc_lo, 0, v9, vcc_lo
	ds_store_b64 v0, v[8:9] offset:584
.LBB4_990:                              ;   in Loop: Header=BB4_961 Depth=2
	s_or_b32 exec_lo, exec_lo, s13
	v_add_co_u32 v34, vcc_lo, v34, 2
	v_add_co_ci_u32_e32 v35, vcc_lo, 0, v35, vcc_lo
.LBB4_991:                              ;   in Loop: Header=BB4_961 Depth=2
	v_writelane_b32 v42, s37, 0
	v_writelane_b32 v42, s30, 1
	;; [unrolled: 1-line block ×8, first 2 shown]
	s_or_b32 exec_lo, exec_lo, s15
	s_and_saveexec_b32 s13, s3
	s_cbranch_execz .LBB4_1013
; %bb.992:                              ;   in Loop: Header=BB4_961 Depth=2
	s_and_saveexec_b32 s14, s4
	s_delay_alu instid0(SALU_CYCLE_1)
	s_xor_b32 s14, exec_lo, s14
	s_cbranch_execz .LBB4_1010
; %bb.993:                              ;   in Loop: Header=BB4_961 Depth=2
	s_and_saveexec_b32 s15, s1
	s_cbranch_execz .LBB4_1009
; %bb.994:                              ;   in Loop: Header=BB4_961 Depth=2
	s_mov_b32 s30, exec_lo
	s_mov_b32 s16, exec_lo
	v_mbcnt_lo_u32_b32 v2, s30, 0
	s_waitcnt lgkmcnt(0)
	s_waitcnt_vscnt null, 0x0
	buffer_gl1_inv
	buffer_gl0_inv
	v_cmpx_eq_u32_e32 0, v2
	s_cbranch_execz .LBB4_996
; %bb.995:                              ;   in Loop: Header=BB4_961 Depth=2
	s_bcnt1_i32_b32 vcc_lo, s30
	s_delay_alu instid0(SALU_CYCLE_1)
	v_mov_b32_e32 v2, vcc_lo
	ds_add_u64 v0, v[2:3]
	s_cbranch_execnz .LBB4_2814
.LBB4_996:                              ;   in Loop: Header=BB4_961 Depth=2
	s_or_b32 exec_lo, exec_lo, s16
	s_cbranch_execnz .LBB4_2788
; %bb.997:                              ;   in Loop: Header=BB4_961 Depth=2
	ds_load_b64 v[8:9], v0
	v_add_co_u32 v48, vcc_lo, v48, v113
	v_add_co_ci_u32_e32 v49, vcc_lo, 0, v49, vcc_lo
	s_mov_b32 s16, exec_lo
	s_waitcnt lgkmcnt(0)
	s_delay_alu instid0(VALU_DEP_1)
	v_cmpx_lt_u64_e64 v[8:9], v[48:49]
	s_cbranch_execz .LBB4_1008
; %bb.998:                              ;   in Loop: Header=BB4_961 Depth=2
	s_mov_b32 s30, 0
	s_mov_b32 s35, 0
                                        ; implicit-def: $sgpr31
                                        ; implicit-def: $sgpr34
	s_branch .LBB4_1000
.LBB4_999:                              ;   in Loop: Header=BB4_1000 Depth=3
	s_or_b32 exec_lo, exec_lo, s37
	s_delay_alu instid0(SALU_CYCLE_1) | instskip(NEXT) | instid1(SALU_CYCLE_1)
	s_and_b32 vcc_lo, exec_lo, vcc_lo
	s_or_b32 s30, vcc_lo, s30
	s_and_not1_b32 vcc_lo, s31, exec_lo
	s_and_b32 s31, s34, exec_lo
	s_delay_alu instid0(SALU_CYCLE_1)
	s_or_b32 s31, vcc_lo, s31
	s_and_not1_b32 exec_lo, exec_lo, s30
	s_cbranch_execz .LBB4_1006
.LBB4_1000:                             ;   Parent Loop BB4_51 Depth=1
                                        ;     Parent Loop BB4_961 Depth=2
                                        ; =>    This Inner Loop Header: Depth=3
	s_add_i32 s35, s35, 1
                                        ; implicit-def: $sgpr37
	s_delay_alu instid0(SALU_CYCLE_1) | instskip(SKIP_1) | instid1(SALU_CYCLE_1)
	s_cmpk_lg_i32 s35, 0x2710
	s_cselect_b32 s36, -1, 0
	s_and_b32 vcc_lo, exec_lo, s36
	s_cbranch_vccz .LBB4_1004
.LBB4_1001:                             ;   in Loop: Header=BB4_1000 Depth=3
	s_and_not1_b32 s34, s34, exec_lo
	s_and_b32 s37, s37, exec_lo
	s_mov_b32 vcc_lo, -1
	s_or_b32 s34, s34, s37
	s_and_saveexec_b32 s37, s36
	s_cbranch_execz .LBB4_999
; %bb.1002:                             ;   in Loop: Header=BB4_1000 Depth=3
	s_sleep 1
	s_cbranch_execnz .LBB4_2858
; %bb.1003:                             ;   in Loop: Header=BB4_1000 Depth=3
	ds_load_b64 v[8:9], v0
	s_and_not1_b32 s34, s34, exec_lo
	s_waitcnt lgkmcnt(0)
	v_cmp_ge_u64_e32 vcc_lo, v[8:9], v[48:49]
	s_or_not1_b32 vcc_lo, vcc_lo, exec_lo
	s_branch .LBB4_999
.LBB4_1004:                             ;   in Loop: Header=BB4_1000 Depth=3
	s_cbranch_execnz .LBB4_2870
; %bb.1005:                             ;   in Loop: Header=BB4_1000 Depth=3
	ds_load_b64 v[8:9], v0
	s_and_not1_b32 s36, s36, exec_lo
	s_mov_b32 s35, 0
	s_mov_b32 s37, -1
	s_waitcnt lgkmcnt(0)
	flat_load_b32 v2, v[8:9] glc
	s_waitcnt vmcnt(0) lgkmcnt(0)
	buffer_gl1_inv
	buffer_gl0_inv
	v_cmp_eq_u32_e32 vcc_lo, 0, v2
	s_and_b32 vcc_lo, vcc_lo, exec_lo
	s_delay_alu instid0(SALU_CYCLE_1)
	s_or_b32 s36, s36, vcc_lo
	s_branch .LBB4_1001
.LBB4_1006:                             ;   in Loop: Header=BB4_961 Depth=2
	s_or_b32 exec_lo, exec_lo, s30
	s_and_saveexec_b32 vcc_lo, s31
	s_delay_alu instid0(SALU_CYCLE_1)
	s_xor_b32 vcc_lo, exec_lo, vcc_lo
	s_cbranch_execz .LBB4_1008
; %bb.1007:                             ;   in Loop: Header=BB4_961 Depth=2
	ds_store_b32 v0, v148
	s_cbranch_execnz .LBB4_3068
.LBB4_1008:                             ;   in Loop: Header=BB4_961 Depth=2
	s_or_b32 exec_lo, exec_lo, s16
	;;#ASMSTART
	s_wakeup
	;;#ASMEND
.LBB4_1009:                             ;   in Loop: Header=BB4_961 Depth=2
	s_or_b32 exec_lo, exec_lo, s15
.LBB4_1010:                             ;   in Loop: Header=BB4_961 Depth=2
	s_and_not1_saveexec_b32 s14, s14
	s_cbranch_execz .LBB4_1012
; %bb.1011:                             ;   in Loop: Header=BB4_961 Depth=2
	s_waitcnt lgkmcnt(0)
	s_waitcnt_vscnt null, 0x0
	buffer_gl1_inv
	buffer_gl0_inv
	s_barrier
.LBB4_1012:                             ;   in Loop: Header=BB4_961 Depth=2
	s_or_b32 exec_lo, exec_lo, s14
.LBB4_1013:                             ;   in Loop: Header=BB4_961 Depth=2
	s_delay_alu instid0(SALU_CYCLE_1)
	s_or_b32 exec_lo, exec_lo, s13
	s_cbranch_execnz .LBB4_2684
; %bb.1014:                             ;   in Loop: Header=BB4_961 Depth=2
	ds_load_b32 v8, v0
	v_and_b32_e32 v2, 0x4000, v30
	s_xor_b32 s13, s2, -1
	s_delay_alu instid0(VALU_DEP_1) | instskip(SKIP_1) | instid1(SALU_CYCLE_1)
	v_cmp_ne_u32_e32 vcc_lo, 0, v2
	s_and_b32 s14, s13, vcc_lo
	s_and_saveexec_b32 s13, s14
	s_cbranch_execz .LBB4_1036
; %bb.1015:                             ;   in Loop: Header=BB4_961 Depth=2
	s_and_saveexec_b32 s14, s4
	s_delay_alu instid0(SALU_CYCLE_1)
	s_xor_b32 s14, exec_lo, s14
	s_cbranch_execz .LBB4_1033
; %bb.1016:                             ;   in Loop: Header=BB4_961 Depth=2
	s_and_saveexec_b32 s15, s1
	s_cbranch_execz .LBB4_1032
; %bb.1017:                             ;   in Loop: Header=BB4_961 Depth=2
	s_mov_b32 s30, exec_lo
	s_mov_b32 s16, exec_lo
	v_mbcnt_lo_u32_b32 v2, s30, 0
	s_waitcnt lgkmcnt(0)
	s_waitcnt_vscnt null, 0x0
	buffer_gl1_inv
	buffer_gl0_inv
	v_cmpx_eq_u32_e32 0, v2
	s_cbranch_execz .LBB4_1019
; %bb.1018:                             ;   in Loop: Header=BB4_961 Depth=2
	s_bcnt1_i32_b32 vcc_lo, s30
	s_delay_alu instid0(SALU_CYCLE_1)
	v_mov_b32_e32 v2, vcc_lo
	ds_add_u64 v0, v[2:3]
	s_cbranch_execnz .LBB4_2852
.LBB4_1019:                             ;   in Loop: Header=BB4_961 Depth=2
	s_or_b32 exec_lo, exec_lo, s16
	s_cbranch_execnz .LBB4_2824
; %bb.1020:                             ;   in Loop: Header=BB4_961 Depth=2
	ds_load_b64 v[9:10], v0
	v_add_co_u32 v48, vcc_lo, v48, v113
	v_add_co_ci_u32_e32 v49, vcc_lo, 0, v49, vcc_lo
	s_mov_b32 s16, exec_lo
	s_waitcnt lgkmcnt(0)
	s_delay_alu instid0(VALU_DEP_1)
	v_cmpx_lt_u64_e64 v[9:10], v[48:49]
	s_cbranch_execz .LBB4_1031
; %bb.1021:                             ;   in Loop: Header=BB4_961 Depth=2
	s_mov_b32 s30, 0
	s_mov_b32 s35, 0
                                        ; implicit-def: $sgpr31
                                        ; implicit-def: $sgpr34
	s_branch .LBB4_1023
.LBB4_1022:                             ;   in Loop: Header=BB4_1023 Depth=3
	s_or_b32 exec_lo, exec_lo, s37
	s_delay_alu instid0(SALU_CYCLE_1) | instskip(NEXT) | instid1(SALU_CYCLE_1)
	s_and_b32 vcc_lo, exec_lo, vcc_lo
	s_or_b32 s30, vcc_lo, s30
	s_and_not1_b32 vcc_lo, s31, exec_lo
	s_and_b32 s31, s34, exec_lo
	s_delay_alu instid0(SALU_CYCLE_1)
	s_or_b32 s31, vcc_lo, s31
	s_and_not1_b32 exec_lo, exec_lo, s30
	s_cbranch_execz .LBB4_1029
.LBB4_1023:                             ;   Parent Loop BB4_51 Depth=1
                                        ;     Parent Loop BB4_961 Depth=2
                                        ; =>    This Inner Loop Header: Depth=3
	s_add_i32 s35, s35, 1
                                        ; implicit-def: $sgpr37
	s_delay_alu instid0(SALU_CYCLE_1) | instskip(SKIP_1) | instid1(SALU_CYCLE_1)
	s_cmpk_lg_i32 s35, 0x2710
	s_cselect_b32 s36, -1, 0
	s_and_b32 vcc_lo, exec_lo, s36
	s_cbranch_vccz .LBB4_1027
.LBB4_1024:                             ;   in Loop: Header=BB4_1023 Depth=3
	s_and_not1_b32 s34, s34, exec_lo
	s_and_b32 s37, s37, exec_lo
	s_mov_b32 vcc_lo, -1
	s_or_b32 s34, s34, s37
	s_and_saveexec_b32 s37, s36
	s_cbranch_execz .LBB4_1022
; %bb.1025:                             ;   in Loop: Header=BB4_1023 Depth=3
	s_sleep 1
	s_cbranch_execnz .LBB4_2912
; %bb.1026:                             ;   in Loop: Header=BB4_1023 Depth=3
	ds_load_b64 v[9:10], v0
	s_and_not1_b32 s34, s34, exec_lo
	s_waitcnt lgkmcnt(0)
	v_cmp_ge_u64_e32 vcc_lo, v[9:10], v[48:49]
	s_or_not1_b32 vcc_lo, vcc_lo, exec_lo
	s_branch .LBB4_1022
.LBB4_1027:                             ;   in Loop: Header=BB4_1023 Depth=3
	s_cbranch_execnz .LBB4_2926
; %bb.1028:                             ;   in Loop: Header=BB4_1023 Depth=3
	ds_load_b64 v[9:10], v0
	s_and_not1_b32 s36, s36, exec_lo
	s_mov_b32 s35, 0
	s_mov_b32 s37, -1
	s_waitcnt lgkmcnt(0)
	flat_load_b32 v2, v[9:10] glc
	s_waitcnt vmcnt(0) lgkmcnt(0)
	buffer_gl1_inv
	buffer_gl0_inv
	v_cmp_eq_u32_e32 vcc_lo, 0, v2
	s_and_b32 vcc_lo, vcc_lo, exec_lo
	s_delay_alu instid0(SALU_CYCLE_1)
	s_or_b32 s36, s36, vcc_lo
	s_branch .LBB4_1024
.LBB4_1029:                             ;   in Loop: Header=BB4_961 Depth=2
	s_or_b32 exec_lo, exec_lo, s30
	s_and_saveexec_b32 vcc_lo, s31
	s_delay_alu instid0(SALU_CYCLE_1)
	s_xor_b32 vcc_lo, exec_lo, vcc_lo
	s_cbranch_execz .LBB4_1031
; %bb.1030:                             ;   in Loop: Header=BB4_961 Depth=2
	ds_store_b32 v0, v148
	s_cbranch_execnz .LBB4_3092
.LBB4_1031:                             ;   in Loop: Header=BB4_961 Depth=2
	s_or_b32 exec_lo, exec_lo, s16
	;;#ASMSTART
	s_wakeup
	;;#ASMEND
.LBB4_1032:                             ;   in Loop: Header=BB4_961 Depth=2
	s_or_b32 exec_lo, exec_lo, s15
.LBB4_1033:                             ;   in Loop: Header=BB4_961 Depth=2
	s_and_not1_saveexec_b32 s14, s14
	s_cbranch_execz .LBB4_1035
; %bb.1034:                             ;   in Loop: Header=BB4_961 Depth=2
	s_waitcnt lgkmcnt(0)
	s_waitcnt_vscnt null, 0x0
	buffer_gl1_inv
	buffer_gl0_inv
	s_barrier
.LBB4_1035:                             ;   in Loop: Header=BB4_961 Depth=2
	s_or_b32 exec_lo, exec_lo, s14
.LBB4_1036:                             ;   in Loop: Header=BB4_961 Depth=2
	s_delay_alu instid0(SALU_CYCLE_1)
	s_or_b32 exec_lo, exec_lo, s13
	s_cbranch_execnz .LBB4_2718
; %bb.1037:                             ;   in Loop: Header=BB4_961 Depth=2
	ds_load_b64 v[9:10], v0
	v_mov_b32_e32 v71, 0
	s_waitcnt lgkmcnt(0)
	v_cmp_eq_u64_e32 vcc_lo, 0, v[9:10]
	s_or_b32 s13, vcc_lo, vcc_lo
	s_delay_alu instid0(SALU_CYCLE_1)
	s_and_b32 vcc_lo, exec_lo, s13
	s_cbranch_vccnz .LBB4_1904
; %bb.1038:                             ;   in Loop: Header=BB4_961 Depth=2
	v_cmp_eq_u32_e32 vcc_lo, 0, v8
	s_cbranch_execnz .LBB4_2780
; %bb.1039:                             ;   in Loop: Header=BB4_961 Depth=2
	ds_load_b64 v[8:9], v0
	v_cndmask_b32_e32 v71, 0, v70, vcc_lo
	s_mov_b32 s13, -1
	s_delay_alu instid0(VALU_DEP_1)
	v_lshlrev_b32_e32 v2, 1, v71
	s_waitcnt lgkmcnt(0)
	v_cmp_ne_u64_e32 vcc_lo, 0, v[8:9]
	v_readfirstlane_b32 s30, v8
	s_cbranch_vccz .LBB4_1473
; %bb.1040:                             ;   in Loop: Header=BB4_961 Depth=2
	s_and_saveexec_b32 s14, s12
	s_cbranch_execz .LBB4_1042
; %bb.1041:                             ;   in Loop: Header=BB4_961 Depth=2
	ds_load_b32 v8, v0 offset:720
	s_waitcnt lgkmcnt(0)
	v_and_b32_e32 v8, 15, v8
	s_delay_alu instid0(VALU_DEP_1)
	v_cmp_eq_u32_e32 vcc_lo, 0, v8
	s_or_not1_b32 s13, vcc_lo, exec_lo
.LBB4_1042:                             ;   in Loop: Header=BB4_961 Depth=2
	s_or_b32 exec_lo, exec_lo, s14
	s_and_saveexec_b32 s14, s12
	s_cbranch_execz .LBB4_1044
; %bb.1043:                             ;   in Loop: Header=BB4_961 Depth=2
	ds_load_b32 v8, v0 offset:784
	s_waitcnt lgkmcnt(0)
	v_and_b32_e32 v8, 15, v8
	s_delay_alu instid0(VALU_DEP_1) | instskip(SKIP_3) | instid1(SALU_CYCLE_1)
	v_cmp_eq_u32_e32 vcc_lo, 0, v8
	s_and_b32 s15, s13, vcc_lo
	s_and_not1_b32 s13, s13, exec_lo
	s_and_b32 s15, s15, exec_lo
	s_or_b32 s13, s13, s15
.LBB4_1044:                             ;   in Loop: Header=BB4_961 Depth=2
	s_or_b32 exec_lo, exec_lo, s14
	s_xor_b32 s13, s13, -1
	v_dual_mov_b32 v16, 0 :: v_dual_mov_b32 v17, v2
	v_cndmask_b32_e64 v8, 0, 1, s13
	;;#ASMSTART
	;;#ASMEND
	s_delay_alu instid0(VALU_DEP_1)
	v_cmp_ne_u32_e32 vcc_lo, 0, v8
	v_mov_b32_e32 v18, v0
	v_mov_b32_e32 v8, v103
	s_mov_b32 s13, -1
	s_cbranch_vccnz .LBB4_1350
; %bb.1045:                             ;   in Loop: Header=BB4_961 Depth=2
	v_ashrrev_i32_e32 v8, 31, v2
	s_mov_b32 s16, exec_lo
	s_delay_alu instid0(VALU_DEP_1) | instskip(NEXT) | instid1(VALU_DEP_1)
	v_lshrrev_b32_e32 v8, 22, v8
	v_add_nc_u32_e32 v8, v2, v8
	s_delay_alu instid0(VALU_DEP_1) | instskip(NEXT) | instid1(VALU_DEP_1)
	v_ashrrev_i32_e32 v150, 10, v8
	v_sub_nc_u32_e32 v81, v150, v103
	s_delay_alu instid0(VALU_DEP_1)
	v_cmpx_lt_i32_e32 0, v81
	s_cbranch_execz .LBB4_1242
; %bb.1046:                             ;   in Loop: Header=BB4_961 Depth=2
	s_cbranch_execnz .LBB4_2946
; %bb.1047:                             ;   in Loop: Header=BB4_961 Depth=2
	ds_load_b128 v[8:11], v0
	s_bitcmp1_b32 s30, 0
	s_mov_b32 s31, 0
	s_cselect_b32 s34, -1, 0
	s_waitcnt lgkmcnt(0)
	v_add_co_u32 v84, vcc_lo, v8, v144
	v_add_co_ci_u32_e32 v85, vcc_lo, v9, v145, vcc_lo
	v_add_co_u32 v86, vcc_lo, v10, v144
	v_add_co_ci_u32_e32 v87, vcc_lo, v11, v145, vcc_lo
	s_delay_alu instid0(VALU_DEP_3) | instskip(NEXT) | instid1(VALU_DEP_2)
	v_dual_mov_b32 v97, v85 :: v_dual_mov_b32 v96, v84
	v_dual_mov_b32 v99, v87 :: v_dual_mov_b32 v98, v86
	s_branch .LBB4_1051
.LBB4_1048:                             ;   in Loop: Header=BB4_1051 Depth=3
	s_or_b32 exec_lo, exec_lo, s35
	s_delay_alu instid0(VALU_DEP_1)
	v_mov_b32_e32 v162, v160
.LBB4_1049:                             ;   in Loop: Header=BB4_1051 Depth=3
	s_or_b32 exec_lo, exec_lo, s15
	s_delay_alu instid0(VALU_DEP_1)
	v_mov_b32_e32 v14, v162
.LBB4_1050:                             ;   in Loop: Header=BB4_1051 Depth=3
	v_lshlrev_b32_e32 v11, 16, v16
	v_and_b32_e32 v16, 0xffff, v151
	v_lshlrev_b32_e32 v19, 16, v19
	v_and_b32_e32 v18, 0xffff, v18
	;; [unrolled: 2-line block ×3, first 2 shown]
	v_or_b32_e32 v11, v11, v16
	v_lshlrev_b32_e32 v8, 16, v8
	v_or3_b32 v19, v19, v18, 0
	v_and_b32_e32 v18, 0xffff, v23
	v_lshlrev_b32_e32 v10, 16, v10
	v_and_b32_e32 v13, 0xffff, v13
	v_lshlrev_b32_e32 v20, 16, v20
	v_and_b32_e32 v17, 0xffff, v17
	v_or3_b32 v16, 0, 0, v11
	v_or_b32_e32 v11, v22, v21
	v_lshlrev_b32_e32 v12, 16, v12
	v_and_b32_e32 v9, 0xffff, v9
	v_or_b32_e32 v8, v8, v18
	v_lshlrev_b32_e32 v14, 16, v14
	v_and_b32_e32 v15, 0xffff, v15
	v_or_b32_e32 v10, v10, v13
	v_add_co_u32 v84, vcc_lo, v84, v146
	v_or3_b32 v17, v20, v17, 0
	v_or3_b32 v18, 0, 0, v11
	;; [unrolled: 1-line block ×6, first 2 shown]
	v_add_co_ci_u32_e32 v85, vcc_lo, v85, v147, vcc_lo
	v_add_co_u32 v86, vcc_lo, v86, v146
	v_sub_nc_u32_e32 v81, v81, v113
	v_add_co_ci_u32_e32 v87, vcc_lo, v87, v147, vcc_lo
	s_clause 0x1
	global_store_b128 v[96:97], v[16:19], off glc slc dlc
	global_store_b128 v[96:97], v[8:11], off offset:512 glc slc dlc
	s_clause 0x1
	global_store_b128 v[98:99], v[16:19], off glc slc dlc
	global_store_b128 v[98:99], v[8:11], off offset:512 glc slc dlc
	v_add_co_u32 v96, vcc_lo, v96, v146
	v_add_co_ci_u32_e32 v97, vcc_lo, v97, v147, vcc_lo
	v_cmp_gt_i32_e32 vcc_lo, 1, v81
	v_add_co_u32 v98, s13, v98, v146
	s_delay_alu instid0(VALU_DEP_1) | instskip(SKIP_1) | instid1(SALU_CYCLE_1)
	v_add_co_ci_u32_e64 v99, s13, v99, v147, s13
	s_or_b32 s31, vcc_lo, s31
	s_and_not1_b32 exec_lo, exec_lo, s31
	s_cbranch_execz .LBB4_1241
.LBB4_1051:                             ;   Parent Loop BB4_51 Depth=1
                                        ;     Parent Loop BB4_961 Depth=2
                                        ; =>    This Inner Loop Header: Depth=3
	global_load_b128 v[20:23], v[84:85], off slc dlc
	global_load_b128 v[16:19], v[86:87], off slc dlc
	global_load_b128 v[12:15], v[84:85], off offset:512 slc dlc
	global_load_b128 v[8:11], v[86:87], off offset:512 slc dlc
	s_mov_b32 s15, -1
	s_and_b32 vcc_lo, exec_lo, s34
	s_waitcnt vmcnt(3)
	v_and_b32_e32 v151, 0x7fff, v20
	s_waitcnt vmcnt(2)
	v_and_b32_e32 v160, 0x7fff, v16
	v_perm_b32 v161, v16, v20, 0x5040100
	s_delay_alu instid0(VALU_DEP_3) | instskip(NEXT) | instid1(VALU_DEP_3)
	v_cmp_lt_u16_e64 s13, 0x7c00, v151
	v_cmp_gt_u16_e64 s14, 0x7c01, v160
                                        ; implicit-def: $vgpr151
	s_delay_alu instid0(VALU_DEP_1) | instskip(NEXT) | instid1(SALU_CYCLE_1)
	s_and_b32 s35, s13, s14
	s_xor_b32 s35, s35, -1
	s_cbranch_vccz .LBB4_1057
; %bb.1052:                             ;   in Loop: Header=BB4_1051 Depth=3
	v_mov_b32_e32 v151, v16
	s_and_saveexec_b32 s36, s35
	s_cbranch_execz .LBB4_1056
; %bb.1053:                             ;   in Loop: Header=BB4_1051 Depth=3
	v_mov_b32_e32 v151, v20
	s_or_b32 s15, s13, s14
	s_delay_alu instid0(SALU_CYCLE_1)
	s_and_saveexec_b32 s37, s15
; %bb.1054:                             ;   in Loop: Header=BB4_1051 Depth=3
	v_lshrrev_b32_e32 v151, 16, v161
	v_cmp_lt_u16_e64 vcc_lo, 0x7c00, v160
	s_delay_alu instid0(VALU_DEP_2) | instskip(NEXT) | instid1(VALU_DEP_1)
	v_cmp_gt_f16_e64 s15, v161, v151
	v_cndmask_b32_e64 v151, v151, v161, s15
	s_delay_alu instid0(VALU_DEP_3)
	s_and_b32 s15, s13, vcc_lo
	s_delay_alu instid0(VALU_DEP_1) | instid1(SALU_CYCLE_1)
	v_cndmask_b32_e64 v151, v151, 0x7fff, s15
; %bb.1055:                             ;   in Loop: Header=BB4_1051 Depth=3
	s_or_b32 exec_lo, exec_lo, s37
.LBB4_1056:                             ;   in Loop: Header=BB4_1051 Depth=3
	s_delay_alu instid0(SALU_CYCLE_1)
	s_or_b32 exec_lo, exec_lo, s36
	s_mov_b32 s15, 0
.LBB4_1057:                             ;   in Loop: Header=BB4_1051 Depth=3
	s_delay_alu instid0(SALU_CYCLE_1)
	s_and_not1_b32 vcc_lo, exec_lo, s15
	s_cbranch_vccnz .LBB4_1063
; %bb.1058:                             ;   in Loop: Header=BB4_1051 Depth=3
	v_mov_b32_e32 v151, v16
	s_and_saveexec_b32 s15, s35
	s_cbranch_execz .LBB4_1062
; %bb.1059:                             ;   in Loop: Header=BB4_1051 Depth=3
	v_mov_b32_e32 v151, v20
	s_or_b32 s14, s13, s14
	s_delay_alu instid0(SALU_CYCLE_1)
	s_and_saveexec_b32 s35, s14
; %bb.1060:                             ;   in Loop: Header=BB4_1051 Depth=3
	v_lshrrev_b32_e32 v151, 16, v161
	v_cmp_lt_u16_e64 vcc_lo, 0x7c00, v160
	s_delay_alu instid0(VALU_DEP_2) | instskip(NEXT) | instid1(VALU_DEP_2)
	v_cmp_gt_f16_e64 s14, v161, v151
	s_and_b32 s13, s13, vcc_lo
	s_delay_alu instid0(VALU_DEP_1) | instskip(NEXT) | instid1(VALU_DEP_1)
	v_cndmask_b32_e64 v151, v161, v151, s14
	v_cndmask_b32_e64 v151, v151, 0x7fff, s13
; %bb.1061:                             ;   in Loop: Header=BB4_1051 Depth=3
	s_or_b32 exec_lo, exec_lo, s35
.LBB4_1062:                             ;   in Loop: Header=BB4_1051 Depth=3
	s_delay_alu instid0(SALU_CYCLE_1)
	s_or_b32 exec_lo, exec_lo, s15
.LBB4_1063:                             ;   in Loop: Header=BB4_1051 Depth=3
	v_mov_b32_e32 v163, v20
	v_mov_b32_e32 v164, v16
	;; [unrolled: 1-line block ×4, first 2 shown]
	s_mov_b32 s15, -1
	v_lshrrev_b32_e32 v160, 16, v163
	v_lshrrev_b32_e32 v162, 16, v164
	s_and_b32 vcc_lo, exec_lo, s34
	s_delay_alu instid0(VALU_DEP_2) | instskip(NEXT) | instid1(VALU_DEP_2)
	v_and_b32_e32 v16, 0x7fff, v160
	v_and_b32_e32 v161, 0x7fff, v162
	v_perm_b32 v17, v164, v163, 0x7060302
	s_delay_alu instid0(VALU_DEP_3) | instskip(NEXT) | instid1(VALU_DEP_3)
	v_cmp_lt_u16_e64 s13, 0x7c00, v16
	v_cmp_gt_u16_e64 s14, 0x7c01, v161
                                        ; implicit-def: $vgpr16
	s_delay_alu instid0(VALU_DEP_1) | instskip(NEXT) | instid1(SALU_CYCLE_1)
	s_and_b32 s35, s13, s14
	s_xor_b32 s35, s35, -1
	s_cbranch_vccz .LBB4_1069
; %bb.1064:                             ;   in Loop: Header=BB4_1051 Depth=3
	v_mov_b32_e32 v16, v162
	s_and_saveexec_b32 s36, s35
	s_cbranch_execz .LBB4_1068
; %bb.1065:                             ;   in Loop: Header=BB4_1051 Depth=3
	v_mov_b32_e32 v16, v160
	s_or_b32 s15, s13, s14
	s_delay_alu instid0(SALU_CYCLE_1)
	s_and_saveexec_b32 s37, s15
; %bb.1066:                             ;   in Loop: Header=BB4_1051 Depth=3
	v_lshrrev_b32_e32 v16, 16, v17
	v_cmp_lt_u16_e64 vcc_lo, 0x7c00, v161
	s_delay_alu instid0(VALU_DEP_2) | instskip(NEXT) | instid1(VALU_DEP_1)
	v_cmp_gt_f16_e64 s15, v17, v16
	v_cndmask_b32_e64 v16, v16, v17, s15
	s_delay_alu instid0(VALU_DEP_3)
	s_and_b32 s15, s13, vcc_lo
	s_delay_alu instid0(VALU_DEP_1) | instid1(SALU_CYCLE_1)
	v_cndmask_b32_e64 v16, v16, 0x7fff, s15
; %bb.1067:                             ;   in Loop: Header=BB4_1051 Depth=3
	s_or_b32 exec_lo, exec_lo, s37
.LBB4_1068:                             ;   in Loop: Header=BB4_1051 Depth=3
	s_delay_alu instid0(SALU_CYCLE_1)
	s_or_b32 exec_lo, exec_lo, s36
	s_mov_b32 s15, 0
.LBB4_1069:                             ;   in Loop: Header=BB4_1051 Depth=3
	s_delay_alu instid0(SALU_CYCLE_1)
	s_and_not1_b32 vcc_lo, exec_lo, s15
	s_cbranch_vccnz .LBB4_1075
; %bb.1070:                             ;   in Loop: Header=BB4_1051 Depth=3
	s_and_saveexec_b32 s15, s35
	s_cbranch_execz .LBB4_1074
; %bb.1071:                             ;   in Loop: Header=BB4_1051 Depth=3
	s_or_b32 s14, s13, s14
	s_delay_alu instid0(SALU_CYCLE_1)
	s_and_saveexec_b32 s35, s14
; %bb.1072:                             ;   in Loop: Header=BB4_1051 Depth=3
	v_lshrrev_b32_e32 v16, 16, v17
	v_cmp_lt_u16_e64 vcc_lo, 0x7c00, v161
	s_delay_alu instid0(VALU_DEP_2) | instskip(NEXT) | instid1(VALU_DEP_2)
	v_cmp_gt_f16_e64 s14, v17, v16
	s_and_b32 s13, s13, vcc_lo
	s_delay_alu instid0(VALU_DEP_1) | instskip(NEXT) | instid1(VALU_DEP_1)
	v_cndmask_b32_e64 v16, v17, v16, s14
	v_cndmask_b32_e64 v160, v16, 0x7fff, s13
; %bb.1073:                             ;   in Loop: Header=BB4_1051 Depth=3
	s_or_b32 exec_lo, exec_lo, s35
	s_delay_alu instid0(VALU_DEP_1)
	v_mov_b32_e32 v162, v160
.LBB4_1074:                             ;   in Loop: Header=BB4_1051 Depth=3
	s_or_b32 exec_lo, exec_lo, s15
	s_delay_alu instid0(VALU_DEP_1)
	v_mov_b32_e32 v16, v162
.LBB4_1075:                             ;   in Loop: Header=BB4_1051 Depth=3
	v_and_b32_e32 v17, 0x7fff, v20
	v_and_b32_e32 v160, 0x7fff, v21
	v_perm_b32 v161, v21, v20, 0x5040100
	s_mov_b32 s15, -1
	s_and_b32 vcc_lo, exec_lo, s34
	v_cmp_lt_u16_e64 s13, 0x7c00, v17
	v_cmp_gt_u16_e64 s14, 0x7c01, v160
                                        ; implicit-def: $vgpr17
	s_delay_alu instid0(VALU_DEP_1) | instskip(NEXT) | instid1(SALU_CYCLE_1)
	s_and_b32 s35, s13, s14
	s_xor_b32 s35, s35, -1
	s_cbranch_vccz .LBB4_1081
; %bb.1076:                             ;   in Loop: Header=BB4_1051 Depth=3
	v_mov_b32_e32 v17, v21
	s_and_saveexec_b32 s36, s35
	s_cbranch_execz .LBB4_1080
; %bb.1077:                             ;   in Loop: Header=BB4_1051 Depth=3
	v_mov_b32_e32 v17, v20
	s_or_b32 s15, s13, s14
	s_delay_alu instid0(SALU_CYCLE_1)
	s_and_saveexec_b32 s37, s15
; %bb.1078:                             ;   in Loop: Header=BB4_1051 Depth=3
	v_lshrrev_b32_e32 v17, 16, v161
	v_cmp_lt_u16_e64 vcc_lo, 0x7c00, v160
	s_delay_alu instid0(VALU_DEP_2) | instskip(NEXT) | instid1(VALU_DEP_1)
	v_cmp_gt_f16_e64 s15, v161, v17
	v_cndmask_b32_e64 v17, v17, v161, s15
	s_delay_alu instid0(VALU_DEP_3)
	s_and_b32 s15, s13, vcc_lo
	s_delay_alu instid0(VALU_DEP_1) | instid1(SALU_CYCLE_1)
	v_cndmask_b32_e64 v17, v17, 0x7fff, s15
; %bb.1079:                             ;   in Loop: Header=BB4_1051 Depth=3
	s_or_b32 exec_lo, exec_lo, s37
.LBB4_1080:                             ;   in Loop: Header=BB4_1051 Depth=3
	s_delay_alu instid0(SALU_CYCLE_1)
	s_or_b32 exec_lo, exec_lo, s36
	s_mov_b32 s15, 0
.LBB4_1081:                             ;   in Loop: Header=BB4_1051 Depth=3
	s_delay_alu instid0(SALU_CYCLE_1)
	s_and_not1_b32 vcc_lo, exec_lo, s15
	s_cbranch_vccnz .LBB4_1087
; %bb.1082:                             ;   in Loop: Header=BB4_1051 Depth=3
	v_mov_b32_e32 v17, v21
	s_and_saveexec_b32 s15, s35
	s_cbranch_execz .LBB4_1086
; %bb.1083:                             ;   in Loop: Header=BB4_1051 Depth=3
	v_mov_b32_e32 v17, v20
	s_or_b32 s14, s13, s14
	s_delay_alu instid0(SALU_CYCLE_1)
	s_and_saveexec_b32 s35, s14
; %bb.1084:                             ;   in Loop: Header=BB4_1051 Depth=3
	v_lshrrev_b32_e32 v17, 16, v161
	v_cmp_lt_u16_e64 vcc_lo, 0x7c00, v160
	s_delay_alu instid0(VALU_DEP_2) | instskip(NEXT) | instid1(VALU_DEP_2)
	v_cmp_gt_f16_e64 s14, v161, v17
	s_and_b32 s13, s13, vcc_lo
	s_delay_alu instid0(VALU_DEP_1) | instskip(NEXT) | instid1(VALU_DEP_1)
	v_cndmask_b32_e64 v17, v161, v17, s14
	v_cndmask_b32_e64 v17, v17, 0x7fff, s13
; %bb.1085:                             ;   in Loop: Header=BB4_1051 Depth=3
	s_or_b32 exec_lo, exec_lo, s35
.LBB4_1086:                             ;   in Loop: Header=BB4_1051 Depth=3
	s_delay_alu instid0(SALU_CYCLE_1)
	s_or_b32 exec_lo, exec_lo, s15
.LBB4_1087:                             ;   in Loop: Header=BB4_1051 Depth=3
	v_lshrrev_b32_e32 v160, 16, v20
	v_lshrrev_b32_e32 v162, 16, v21
	v_perm_b32 v21, v21, v20, 0x7060302
	s_mov_b32 s15, -1
	s_and_b32 vcc_lo, exec_lo, s34
	v_and_b32_e32 v163, 0x7fff, v160
	v_and_b32_e32 v161, 0x7fff, v162
                                        ; implicit-def: $vgpr20
	s_delay_alu instid0(VALU_DEP_2) | instskip(NEXT) | instid1(VALU_DEP_2)
	v_cmp_lt_u16_e64 s13, 0x7c00, v163
	v_cmp_gt_u16_e64 s14, 0x7c01, v161
	s_delay_alu instid0(VALU_DEP_1) | instskip(NEXT) | instid1(SALU_CYCLE_1)
	s_and_b32 s35, s13, s14
	s_xor_b32 s35, s35, -1
	s_cbranch_vccz .LBB4_1093
; %bb.1088:                             ;   in Loop: Header=BB4_1051 Depth=3
	v_mov_b32_e32 v20, v162
	s_and_saveexec_b32 s36, s35
	s_cbranch_execz .LBB4_1092
; %bb.1089:                             ;   in Loop: Header=BB4_1051 Depth=3
	v_mov_b32_e32 v20, v160
	s_or_b32 s15, s13, s14
	s_delay_alu instid0(SALU_CYCLE_1)
	s_and_saveexec_b32 s37, s15
; %bb.1090:                             ;   in Loop: Header=BB4_1051 Depth=3
	v_lshrrev_b32_e32 v20, 16, v21
	v_cmp_lt_u16_e64 vcc_lo, 0x7c00, v161
	s_delay_alu instid0(VALU_DEP_2) | instskip(NEXT) | instid1(VALU_DEP_1)
	v_cmp_gt_f16_e64 s15, v21, v20
	v_cndmask_b32_e64 v20, v20, v21, s15
	s_delay_alu instid0(VALU_DEP_3)
	s_and_b32 s15, s13, vcc_lo
	s_delay_alu instid0(VALU_DEP_1) | instid1(SALU_CYCLE_1)
	v_cndmask_b32_e64 v20, v20, 0x7fff, s15
; %bb.1091:                             ;   in Loop: Header=BB4_1051 Depth=3
	s_or_b32 exec_lo, exec_lo, s37
.LBB4_1092:                             ;   in Loop: Header=BB4_1051 Depth=3
	s_delay_alu instid0(SALU_CYCLE_1)
	s_or_b32 exec_lo, exec_lo, s36
	s_mov_b32 s15, 0
.LBB4_1093:                             ;   in Loop: Header=BB4_1051 Depth=3
	s_delay_alu instid0(SALU_CYCLE_1)
	s_and_not1_b32 vcc_lo, exec_lo, s15
	s_cbranch_vccnz .LBB4_1099
; %bb.1094:                             ;   in Loop: Header=BB4_1051 Depth=3
	s_and_saveexec_b32 s15, s35
	s_cbranch_execz .LBB4_1098
; %bb.1095:                             ;   in Loop: Header=BB4_1051 Depth=3
	s_or_b32 s14, s13, s14
	s_delay_alu instid0(SALU_CYCLE_1)
	s_and_saveexec_b32 s35, s14
; %bb.1096:                             ;   in Loop: Header=BB4_1051 Depth=3
	v_lshrrev_b32_e32 v20, 16, v21
	v_cmp_lt_u16_e64 vcc_lo, 0x7c00, v161
	s_delay_alu instid0(VALU_DEP_2) | instskip(NEXT) | instid1(VALU_DEP_2)
	v_cmp_gt_f16_e64 s14, v21, v20
	s_and_b32 s13, s13, vcc_lo
	s_delay_alu instid0(VALU_DEP_1) | instskip(NEXT) | instid1(VALU_DEP_1)
	v_cndmask_b32_e64 v20, v21, v20, s14
	v_cndmask_b32_e64 v160, v20, 0x7fff, s13
; %bb.1097:                             ;   in Loop: Header=BB4_1051 Depth=3
	s_or_b32 exec_lo, exec_lo, s35
	s_delay_alu instid0(VALU_DEP_1)
	v_mov_b32_e32 v162, v160
.LBB4_1098:                             ;   in Loop: Header=BB4_1051 Depth=3
	s_or_b32 exec_lo, exec_lo, s15
	s_delay_alu instid0(VALU_DEP_1)
	v_mov_b32_e32 v20, v162
.LBB4_1099:                             ;   in Loop: Header=BB4_1051 Depth=3
	v_and_b32_e32 v21, 0x7fff, v22
	v_and_b32_e32 v160, 0x7fff, v18
	v_perm_b32 v161, v18, v22, 0x5040100
	s_mov_b32 s15, -1
	s_and_b32 vcc_lo, exec_lo, s34
	v_cmp_lt_u16_e64 s13, 0x7c00, v21
	v_cmp_gt_u16_e64 s14, 0x7c01, v160
                                        ; implicit-def: $vgpr21
	s_delay_alu instid0(VALU_DEP_1) | instskip(NEXT) | instid1(SALU_CYCLE_1)
	s_and_b32 s35, s13, s14
	s_xor_b32 s35, s35, -1
	s_cbranch_vccz .LBB4_1105
; %bb.1100:                             ;   in Loop: Header=BB4_1051 Depth=3
	v_mov_b32_e32 v21, v18
	s_and_saveexec_b32 s36, s35
	s_cbranch_execz .LBB4_1104
; %bb.1101:                             ;   in Loop: Header=BB4_1051 Depth=3
	v_mov_b32_e32 v21, v22
	s_or_b32 s15, s13, s14
	s_delay_alu instid0(SALU_CYCLE_1)
	s_and_saveexec_b32 s37, s15
; %bb.1102:                             ;   in Loop: Header=BB4_1051 Depth=3
	v_lshrrev_b32_e32 v21, 16, v161
	v_cmp_lt_u16_e64 vcc_lo, 0x7c00, v160
	s_delay_alu instid0(VALU_DEP_2) | instskip(NEXT) | instid1(VALU_DEP_1)
	v_cmp_gt_f16_e64 s15, v161, v21
	v_cndmask_b32_e64 v21, v21, v161, s15
	s_delay_alu instid0(VALU_DEP_3)
	s_and_b32 s15, s13, vcc_lo
	s_delay_alu instid0(VALU_DEP_1) | instid1(SALU_CYCLE_1)
	v_cndmask_b32_e64 v21, v21, 0x7fff, s15
; %bb.1103:                             ;   in Loop: Header=BB4_1051 Depth=3
	s_or_b32 exec_lo, exec_lo, s37
.LBB4_1104:                             ;   in Loop: Header=BB4_1051 Depth=3
	s_delay_alu instid0(SALU_CYCLE_1)
	s_or_b32 exec_lo, exec_lo, s36
	s_mov_b32 s15, 0
.LBB4_1105:                             ;   in Loop: Header=BB4_1051 Depth=3
	s_delay_alu instid0(SALU_CYCLE_1)
	s_and_not1_b32 vcc_lo, exec_lo, s15
	s_cbranch_vccnz .LBB4_1111
; %bb.1106:                             ;   in Loop: Header=BB4_1051 Depth=3
	v_mov_b32_e32 v21, v18
	s_and_saveexec_b32 s15, s35
	s_cbranch_execz .LBB4_1110
; %bb.1107:                             ;   in Loop: Header=BB4_1051 Depth=3
	v_mov_b32_e32 v21, v22
	s_or_b32 s14, s13, s14
	s_delay_alu instid0(SALU_CYCLE_1)
	s_and_saveexec_b32 s35, s14
; %bb.1108:                             ;   in Loop: Header=BB4_1051 Depth=3
	v_lshrrev_b32_e32 v21, 16, v161
	v_cmp_lt_u16_e64 vcc_lo, 0x7c00, v160
	s_delay_alu instid0(VALU_DEP_2) | instskip(NEXT) | instid1(VALU_DEP_2)
	v_cmp_gt_f16_e64 s14, v161, v21
	s_and_b32 s13, s13, vcc_lo
	s_delay_alu instid0(VALU_DEP_1) | instskip(NEXT) | instid1(VALU_DEP_1)
	v_cndmask_b32_e64 v21, v161, v21, s14
	v_cndmask_b32_e64 v21, v21, 0x7fff, s13
; %bb.1109:                             ;   in Loop: Header=BB4_1051 Depth=3
	s_or_b32 exec_lo, exec_lo, s35
.LBB4_1110:                             ;   in Loop: Header=BB4_1051 Depth=3
	s_delay_alu instid0(SALU_CYCLE_1)
	s_or_b32 exec_lo, exec_lo, s15
.LBB4_1111:                             ;   in Loop: Header=BB4_1051 Depth=3
	v_mov_b32_e32 v163, v22
	v_lshrrev_b32_e32 v162, 16, v18
	s_mov_b32 s15, -1
	s_and_b32 vcc_lo, exec_lo, s34
	s_delay_alu instid0(VALU_DEP_2) | instskip(NEXT) | instid1(VALU_DEP_2)
	v_lshrrev_b32_e32 v160, 16, v163
	v_and_b32_e32 v161, 0x7fff, v162
	s_delay_alu instid0(VALU_DEP_2) | instskip(NEXT) | instid1(VALU_DEP_2)
	v_and_b32_e32 v22, 0x7fff, v160
	v_cmp_gt_u16_e64 s14, 0x7c01, v161
	v_perm_b32 v18, v18, v163, 0x7060302
	s_delay_alu instid0(VALU_DEP_3) | instskip(NEXT) | instid1(VALU_DEP_1)
	v_cmp_lt_u16_e64 s13, 0x7c00, v22
                                        ; implicit-def: $vgpr22
	s_and_b32 s35, s13, s14
	s_delay_alu instid0(SALU_CYCLE_1)
	s_xor_b32 s35, s35, -1
	s_cbranch_vccz .LBB4_1117
; %bb.1112:                             ;   in Loop: Header=BB4_1051 Depth=3
	v_mov_b32_e32 v22, v162
	s_and_saveexec_b32 s36, s35
	s_cbranch_execz .LBB4_1116
; %bb.1113:                             ;   in Loop: Header=BB4_1051 Depth=3
	v_mov_b32_e32 v22, v160
	s_or_b32 s15, s13, s14
	s_delay_alu instid0(SALU_CYCLE_1)
	s_and_saveexec_b32 s37, s15
; %bb.1114:                             ;   in Loop: Header=BB4_1051 Depth=3
	v_lshrrev_b32_e32 v22, 16, v18
	v_cmp_lt_u16_e64 vcc_lo, 0x7c00, v161
	s_delay_alu instid0(VALU_DEP_2) | instskip(NEXT) | instid1(VALU_DEP_1)
	v_cmp_gt_f16_e64 s15, v18, v22
	v_cndmask_b32_e64 v22, v22, v18, s15
	s_delay_alu instid0(VALU_DEP_3)
	s_and_b32 s15, s13, vcc_lo
	s_delay_alu instid0(VALU_DEP_1) | instid1(SALU_CYCLE_1)
	v_cndmask_b32_e64 v22, v22, 0x7fff, s15
; %bb.1115:                             ;   in Loop: Header=BB4_1051 Depth=3
	s_or_b32 exec_lo, exec_lo, s37
.LBB4_1116:                             ;   in Loop: Header=BB4_1051 Depth=3
	s_delay_alu instid0(SALU_CYCLE_1)
	s_or_b32 exec_lo, exec_lo, s36
	s_mov_b32 s15, 0
.LBB4_1117:                             ;   in Loop: Header=BB4_1051 Depth=3
	s_delay_alu instid0(SALU_CYCLE_1)
	s_and_not1_b32 vcc_lo, exec_lo, s15
	s_cbranch_vccnz .LBB4_1123
; %bb.1118:                             ;   in Loop: Header=BB4_1051 Depth=3
	s_and_saveexec_b32 s15, s35
	s_cbranch_execz .LBB4_1122
; %bb.1119:                             ;   in Loop: Header=BB4_1051 Depth=3
	s_or_b32 s14, s13, s14
	s_delay_alu instid0(SALU_CYCLE_1)
	s_and_saveexec_b32 s35, s14
; %bb.1120:                             ;   in Loop: Header=BB4_1051 Depth=3
	v_lshrrev_b32_e32 v22, 16, v18
	v_cmp_lt_u16_e64 vcc_lo, 0x7c00, v161
	s_delay_alu instid0(VALU_DEP_2) | instskip(NEXT) | instid1(VALU_DEP_2)
	v_cmp_gt_f16_e64 s14, v18, v22
	s_and_b32 s13, s13, vcc_lo
	s_delay_alu instid0(VALU_DEP_1) | instskip(NEXT) | instid1(VALU_DEP_1)
	v_cndmask_b32_e64 v18, v18, v22, s14
	v_cndmask_b32_e64 v160, v18, 0x7fff, s13
; %bb.1121:                             ;   in Loop: Header=BB4_1051 Depth=3
	s_or_b32 exec_lo, exec_lo, s35
	s_delay_alu instid0(VALU_DEP_1)
	v_mov_b32_e32 v162, v160
.LBB4_1122:                             ;   in Loop: Header=BB4_1051 Depth=3
	s_or_b32 exec_lo, exec_lo, s15
	s_delay_alu instid0(VALU_DEP_1)
	v_mov_b32_e32 v22, v162
.LBB4_1123:                             ;   in Loop: Header=BB4_1051 Depth=3
	v_and_b32_e32 v18, 0x7fff, v23
	v_and_b32_e32 v160, 0x7fff, v19
	v_perm_b32 v161, v19, v23, 0x5040100
	s_mov_b32 s15, -1
	s_and_b32 vcc_lo, exec_lo, s34
	v_cmp_lt_u16_e64 s13, 0x7c00, v18
	v_cmp_gt_u16_e64 s14, 0x7c01, v160
                                        ; implicit-def: $vgpr18
	s_delay_alu instid0(VALU_DEP_1) | instskip(NEXT) | instid1(SALU_CYCLE_1)
	s_and_b32 s35, s13, s14
	s_xor_b32 s35, s35, -1
	s_cbranch_vccz .LBB4_1129
; %bb.1124:                             ;   in Loop: Header=BB4_1051 Depth=3
	v_mov_b32_e32 v18, v19
	s_and_saveexec_b32 s36, s35
	s_cbranch_execz .LBB4_1128
; %bb.1125:                             ;   in Loop: Header=BB4_1051 Depth=3
	v_mov_b32_e32 v18, v23
	s_or_b32 s15, s13, s14
	s_delay_alu instid0(SALU_CYCLE_1)
	s_and_saveexec_b32 s37, s15
; %bb.1126:                             ;   in Loop: Header=BB4_1051 Depth=3
	v_lshrrev_b32_e32 v18, 16, v161
	v_cmp_lt_u16_e64 vcc_lo, 0x7c00, v160
	s_delay_alu instid0(VALU_DEP_2) | instskip(NEXT) | instid1(VALU_DEP_1)
	v_cmp_gt_f16_e64 s15, v161, v18
	v_cndmask_b32_e64 v18, v18, v161, s15
	s_delay_alu instid0(VALU_DEP_3)
	s_and_b32 s15, s13, vcc_lo
	s_delay_alu instid0(VALU_DEP_1) | instid1(SALU_CYCLE_1)
	v_cndmask_b32_e64 v18, v18, 0x7fff, s15
; %bb.1127:                             ;   in Loop: Header=BB4_1051 Depth=3
	s_or_b32 exec_lo, exec_lo, s37
.LBB4_1128:                             ;   in Loop: Header=BB4_1051 Depth=3
	s_delay_alu instid0(SALU_CYCLE_1)
	s_or_b32 exec_lo, exec_lo, s36
	s_mov_b32 s15, 0
.LBB4_1129:                             ;   in Loop: Header=BB4_1051 Depth=3
	s_delay_alu instid0(SALU_CYCLE_1)
	s_and_not1_b32 vcc_lo, exec_lo, s15
	s_cbranch_vccnz .LBB4_1135
; %bb.1130:                             ;   in Loop: Header=BB4_1051 Depth=3
	v_mov_b32_e32 v18, v19
	s_and_saveexec_b32 s15, s35
	s_cbranch_execz .LBB4_1134
; %bb.1131:                             ;   in Loop: Header=BB4_1051 Depth=3
	v_mov_b32_e32 v18, v23
	s_or_b32 s14, s13, s14
	s_delay_alu instid0(SALU_CYCLE_1)
	s_and_saveexec_b32 s35, s14
; %bb.1132:                             ;   in Loop: Header=BB4_1051 Depth=3
	v_lshrrev_b32_e32 v18, 16, v161
	v_cmp_lt_u16_e64 vcc_lo, 0x7c00, v160
	s_delay_alu instid0(VALU_DEP_2) | instskip(NEXT) | instid1(VALU_DEP_2)
	v_cmp_gt_f16_e64 s14, v161, v18
	s_and_b32 s13, s13, vcc_lo
	s_delay_alu instid0(VALU_DEP_1) | instskip(NEXT) | instid1(VALU_DEP_1)
	v_cndmask_b32_e64 v18, v161, v18, s14
	v_cndmask_b32_e64 v18, v18, 0x7fff, s13
; %bb.1133:                             ;   in Loop: Header=BB4_1051 Depth=3
	s_or_b32 exec_lo, exec_lo, s35
.LBB4_1134:                             ;   in Loop: Header=BB4_1051 Depth=3
	s_delay_alu instid0(SALU_CYCLE_1)
	s_or_b32 exec_lo, exec_lo, s15
.LBB4_1135:                             ;   in Loop: Header=BB4_1051 Depth=3
	v_lshrrev_b32_e32 v160, 16, v23
	v_lshrrev_b32_e32 v162, 16, v19
	v_perm_b32 v23, v19, v23, 0x7060302
	s_mov_b32 s15, -1
	s_and_b32 vcc_lo, exec_lo, s34
	v_and_b32_e32 v163, 0x7fff, v160
	v_and_b32_e32 v161, 0x7fff, v162
                                        ; implicit-def: $vgpr19
	s_delay_alu instid0(VALU_DEP_2) | instskip(NEXT) | instid1(VALU_DEP_2)
	v_cmp_lt_u16_e64 s13, 0x7c00, v163
	v_cmp_gt_u16_e64 s14, 0x7c01, v161
	s_delay_alu instid0(VALU_DEP_1) | instskip(NEXT) | instid1(SALU_CYCLE_1)
	s_and_b32 s35, s13, s14
	s_xor_b32 s35, s35, -1
	s_cbranch_vccz .LBB4_1141
; %bb.1136:                             ;   in Loop: Header=BB4_1051 Depth=3
	v_mov_b32_e32 v19, v162
	s_and_saveexec_b32 s36, s35
	s_cbranch_execz .LBB4_1140
; %bb.1137:                             ;   in Loop: Header=BB4_1051 Depth=3
	v_mov_b32_e32 v19, v160
	s_or_b32 s15, s13, s14
	s_delay_alu instid0(SALU_CYCLE_1)
	s_and_saveexec_b32 s37, s15
; %bb.1138:                             ;   in Loop: Header=BB4_1051 Depth=3
	v_lshrrev_b32_e32 v19, 16, v23
	v_cmp_lt_u16_e64 vcc_lo, 0x7c00, v161
	s_delay_alu instid0(VALU_DEP_2) | instskip(NEXT) | instid1(VALU_DEP_1)
	v_cmp_gt_f16_e64 s15, v23, v19
	v_cndmask_b32_e64 v19, v19, v23, s15
	s_delay_alu instid0(VALU_DEP_3)
	s_and_b32 s15, s13, vcc_lo
	s_delay_alu instid0(VALU_DEP_1) | instid1(SALU_CYCLE_1)
	v_cndmask_b32_e64 v19, v19, 0x7fff, s15
; %bb.1139:                             ;   in Loop: Header=BB4_1051 Depth=3
	s_or_b32 exec_lo, exec_lo, s37
.LBB4_1140:                             ;   in Loop: Header=BB4_1051 Depth=3
	s_delay_alu instid0(SALU_CYCLE_1)
	s_or_b32 exec_lo, exec_lo, s36
	s_mov_b32 s15, 0
.LBB4_1141:                             ;   in Loop: Header=BB4_1051 Depth=3
	s_delay_alu instid0(SALU_CYCLE_1)
	s_and_not1_b32 vcc_lo, exec_lo, s15
	s_cbranch_vccnz .LBB4_1147
; %bb.1142:                             ;   in Loop: Header=BB4_1051 Depth=3
	s_and_saveexec_b32 s15, s35
	s_cbranch_execz .LBB4_1146
; %bb.1143:                             ;   in Loop: Header=BB4_1051 Depth=3
	s_or_b32 s14, s13, s14
	s_delay_alu instid0(SALU_CYCLE_1)
	s_and_saveexec_b32 s35, s14
; %bb.1144:                             ;   in Loop: Header=BB4_1051 Depth=3
	v_lshrrev_b32_e32 v19, 16, v23
	v_cmp_lt_u16_e64 vcc_lo, 0x7c00, v161
	s_delay_alu instid0(VALU_DEP_2) | instskip(NEXT) | instid1(VALU_DEP_2)
	v_cmp_gt_f16_e64 s14, v23, v19
	s_and_b32 s13, s13, vcc_lo
	s_delay_alu instid0(VALU_DEP_1) | instskip(NEXT) | instid1(VALU_DEP_1)
	v_cndmask_b32_e64 v19, v23, v19, s14
	v_cndmask_b32_e64 v160, v19, 0x7fff, s13
; %bb.1145:                             ;   in Loop: Header=BB4_1051 Depth=3
	s_or_b32 exec_lo, exec_lo, s35
	s_delay_alu instid0(VALU_DEP_1)
	v_mov_b32_e32 v162, v160
.LBB4_1146:                             ;   in Loop: Header=BB4_1051 Depth=3
	s_or_b32 exec_lo, exec_lo, s15
	s_delay_alu instid0(VALU_DEP_1)
	v_mov_b32_e32 v19, v162
.LBB4_1147:                             ;   in Loop: Header=BB4_1051 Depth=3
	s_waitcnt vmcnt(1)
	v_and_b32_e32 v23, 0x7fff, v12
	s_waitcnt vmcnt(0)
	v_and_b32_e32 v160, 0x7fff, v8
	v_perm_b32 v161, v8, v12, 0x5040100
	s_mov_b32 s15, -1
	s_and_not1_b32 vcc_lo, exec_lo, s34
	v_cmp_lt_u16_e64 s13, 0x7c00, v23
	v_cmp_gt_u16_e64 s14, 0x7c01, v160
                                        ; implicit-def: $vgpr23
	s_delay_alu instid0(VALU_DEP_1) | instskip(NEXT) | instid1(SALU_CYCLE_1)
	s_and_b32 s35, s13, s14
	s_xor_b32 s35, s35, -1
	s_cbranch_vccnz .LBB4_1153
; %bb.1148:                             ;   in Loop: Header=BB4_1051 Depth=3
	v_mov_b32_e32 v23, v8
	s_and_saveexec_b32 s36, s35
	s_cbranch_execz .LBB4_1152
; %bb.1149:                             ;   in Loop: Header=BB4_1051 Depth=3
	v_mov_b32_e32 v23, v12
	s_or_b32 s15, s13, s14
	s_delay_alu instid0(SALU_CYCLE_1)
	s_and_saveexec_b32 s37, s15
; %bb.1150:                             ;   in Loop: Header=BB4_1051 Depth=3
	v_lshrrev_b32_e32 v23, 16, v161
	v_cmp_lt_u16_e64 vcc_lo, 0x7c00, v160
	s_delay_alu instid0(VALU_DEP_2) | instskip(NEXT) | instid1(VALU_DEP_1)
	v_cmp_gt_f16_e64 s15, v161, v23
	v_cndmask_b32_e64 v23, v23, v161, s15
	s_delay_alu instid0(VALU_DEP_3)
	s_and_b32 s15, s13, vcc_lo
	s_delay_alu instid0(VALU_DEP_1) | instid1(SALU_CYCLE_1)
	v_cndmask_b32_e64 v23, v23, 0x7fff, s15
; %bb.1151:                             ;   in Loop: Header=BB4_1051 Depth=3
	s_or_b32 exec_lo, exec_lo, s37
.LBB4_1152:                             ;   in Loop: Header=BB4_1051 Depth=3
	s_delay_alu instid0(SALU_CYCLE_1)
	s_or_b32 exec_lo, exec_lo, s36
	s_mov_b32 s15, 0
.LBB4_1153:                             ;   in Loop: Header=BB4_1051 Depth=3
	s_delay_alu instid0(SALU_CYCLE_1)
	s_and_not1_b32 vcc_lo, exec_lo, s15
	s_cbranch_vccnz .LBB4_1159
; %bb.1154:                             ;   in Loop: Header=BB4_1051 Depth=3
	v_mov_b32_e32 v23, v8
	s_and_saveexec_b32 s15, s35
	s_cbranch_execz .LBB4_1158
; %bb.1155:                             ;   in Loop: Header=BB4_1051 Depth=3
	v_mov_b32_e32 v23, v12
	s_or_b32 s14, s13, s14
	s_delay_alu instid0(SALU_CYCLE_1)
	s_and_saveexec_b32 s35, s14
; %bb.1156:                             ;   in Loop: Header=BB4_1051 Depth=3
	v_lshrrev_b32_e32 v23, 16, v161
	v_cmp_lt_u16_e64 vcc_lo, 0x7c00, v160
	s_delay_alu instid0(VALU_DEP_2) | instskip(NEXT) | instid1(VALU_DEP_2)
	v_cmp_gt_f16_e64 s14, v161, v23
	s_and_b32 s13, s13, vcc_lo
	s_delay_alu instid0(VALU_DEP_1) | instskip(NEXT) | instid1(VALU_DEP_1)
	v_cndmask_b32_e64 v23, v161, v23, s14
	v_cndmask_b32_e64 v23, v23, 0x7fff, s13
; %bb.1157:                             ;   in Loop: Header=BB4_1051 Depth=3
	s_or_b32 exec_lo, exec_lo, s35
.LBB4_1158:                             ;   in Loop: Header=BB4_1051 Depth=3
	s_delay_alu instid0(SALU_CYCLE_1)
	s_or_b32 exec_lo, exec_lo, s15
.LBB4_1159:                             ;   in Loop: Header=BB4_1051 Depth=3
	v_mov_b32_e32 v163, v12
	v_lshrrev_b32_e32 v162, 16, v8
	s_mov_b32 s15, -1
	s_and_not1_b32 vcc_lo, exec_lo, s34
	s_delay_alu instid0(VALU_DEP_2) | instskip(NEXT) | instid1(VALU_DEP_2)
	v_lshrrev_b32_e32 v160, 16, v163
	v_and_b32_e32 v161, 0x7fff, v162
	s_delay_alu instid0(VALU_DEP_2) | instskip(NEXT) | instid1(VALU_DEP_1)
	v_and_b32_e32 v12, 0x7fff, v160
	v_cmp_lt_u16_e64 s13, 0x7c00, v12
	v_mov_b32_e32 v12, v13
	s_delay_alu instid0(VALU_DEP_4) | instskip(SKIP_2) | instid1(VALU_DEP_3)
	v_cmp_gt_u16_e64 s14, 0x7c01, v161
	v_mov_b32_e32 v13, v9
	v_perm_b32 v9, v8, v163, 0x7060302
                                        ; implicit-def: $vgpr8
	s_and_b32 s35, s13, s14
	s_delay_alu instid0(SALU_CYCLE_1)
	s_xor_b32 s35, s35, -1
	s_cbranch_vccnz .LBB4_1165
; %bb.1160:                             ;   in Loop: Header=BB4_1051 Depth=3
	v_mov_b32_e32 v8, v162
	s_and_saveexec_b32 s36, s35
	s_cbranch_execz .LBB4_1164
; %bb.1161:                             ;   in Loop: Header=BB4_1051 Depth=3
	v_mov_b32_e32 v8, v160
	s_or_b32 s15, s13, s14
	s_delay_alu instid0(SALU_CYCLE_1)
	s_and_saveexec_b32 s37, s15
; %bb.1162:                             ;   in Loop: Header=BB4_1051 Depth=3
	v_lshrrev_b32_e32 v8, 16, v9
	v_cmp_lt_u16_e64 vcc_lo, 0x7c00, v161
	s_delay_alu instid0(VALU_DEP_2) | instskip(NEXT) | instid1(VALU_DEP_1)
	v_cmp_gt_f16_e64 s15, v9, v8
	v_cndmask_b32_e64 v8, v8, v9, s15
	s_delay_alu instid0(VALU_DEP_3)
	s_and_b32 s15, s13, vcc_lo
	s_delay_alu instid0(VALU_DEP_1) | instid1(SALU_CYCLE_1)
	v_cndmask_b32_e64 v8, v8, 0x7fff, s15
; %bb.1163:                             ;   in Loop: Header=BB4_1051 Depth=3
	s_or_b32 exec_lo, exec_lo, s37
.LBB4_1164:                             ;   in Loop: Header=BB4_1051 Depth=3
	s_delay_alu instid0(SALU_CYCLE_1)
	s_or_b32 exec_lo, exec_lo, s36
	s_mov_b32 s15, 0
.LBB4_1165:                             ;   in Loop: Header=BB4_1051 Depth=3
	s_delay_alu instid0(SALU_CYCLE_1)
	s_and_not1_b32 vcc_lo, exec_lo, s15
	s_cbranch_vccnz .LBB4_1171
; %bb.1166:                             ;   in Loop: Header=BB4_1051 Depth=3
	s_and_saveexec_b32 s15, s35
	s_cbranch_execz .LBB4_1170
; %bb.1167:                             ;   in Loop: Header=BB4_1051 Depth=3
	s_or_b32 s14, s13, s14
	s_delay_alu instid0(SALU_CYCLE_1)
	s_and_saveexec_b32 s35, s14
; %bb.1168:                             ;   in Loop: Header=BB4_1051 Depth=3
	v_lshrrev_b32_e32 v8, 16, v9
	v_cmp_lt_u16_e64 vcc_lo, 0x7c00, v161
	s_delay_alu instid0(VALU_DEP_2) | instskip(NEXT) | instid1(VALU_DEP_2)
	v_cmp_gt_f16_e64 s14, v9, v8
	s_and_b32 s13, s13, vcc_lo
	s_delay_alu instid0(VALU_DEP_1) | instskip(NEXT) | instid1(VALU_DEP_1)
	v_cndmask_b32_e64 v8, v9, v8, s14
	v_cndmask_b32_e64 v160, v8, 0x7fff, s13
; %bb.1169:                             ;   in Loop: Header=BB4_1051 Depth=3
	s_or_b32 exec_lo, exec_lo, s35
	s_delay_alu instid0(VALU_DEP_1)
	v_mov_b32_e32 v162, v160
.LBB4_1170:                             ;   in Loop: Header=BB4_1051 Depth=3
	s_or_b32 exec_lo, exec_lo, s15
	s_delay_alu instid0(VALU_DEP_1)
	v_mov_b32_e32 v8, v162
.LBB4_1171:                             ;   in Loop: Header=BB4_1051 Depth=3
	v_and_b32_e32 v9, 0x7fff, v12
	v_and_b32_e32 v160, 0x7fff, v13
	v_perm_b32 v161, v13, v12, 0x5040100
	s_mov_b32 s15, -1
	s_and_not1_b32 vcc_lo, exec_lo, s34
	v_cmp_lt_u16_e64 s13, 0x7c00, v9
	v_cmp_gt_u16_e64 s14, 0x7c01, v160
                                        ; implicit-def: $vgpr9
	s_delay_alu instid0(VALU_DEP_1) | instskip(NEXT) | instid1(SALU_CYCLE_1)
	s_and_b32 s35, s13, s14
	s_xor_b32 s35, s35, -1
	s_cbranch_vccnz .LBB4_1177
; %bb.1172:                             ;   in Loop: Header=BB4_1051 Depth=3
	v_mov_b32_e32 v9, v13
	s_and_saveexec_b32 s36, s35
	s_cbranch_execz .LBB4_1176
; %bb.1173:                             ;   in Loop: Header=BB4_1051 Depth=3
	v_mov_b32_e32 v9, v12
	s_or_b32 s15, s13, s14
	s_delay_alu instid0(SALU_CYCLE_1)
	s_and_saveexec_b32 s37, s15
; %bb.1174:                             ;   in Loop: Header=BB4_1051 Depth=3
	v_lshrrev_b32_e32 v9, 16, v161
	v_cmp_lt_u16_e64 vcc_lo, 0x7c00, v160
	s_delay_alu instid0(VALU_DEP_2) | instskip(NEXT) | instid1(VALU_DEP_1)
	v_cmp_gt_f16_e64 s15, v161, v9
	v_cndmask_b32_e64 v9, v9, v161, s15
	s_delay_alu instid0(VALU_DEP_3)
	s_and_b32 s15, s13, vcc_lo
	s_delay_alu instid0(VALU_DEP_1) | instid1(SALU_CYCLE_1)
	v_cndmask_b32_e64 v9, v9, 0x7fff, s15
; %bb.1175:                             ;   in Loop: Header=BB4_1051 Depth=3
	s_or_b32 exec_lo, exec_lo, s37
.LBB4_1176:                             ;   in Loop: Header=BB4_1051 Depth=3
	s_delay_alu instid0(SALU_CYCLE_1)
	s_or_b32 exec_lo, exec_lo, s36
	s_mov_b32 s15, 0
.LBB4_1177:                             ;   in Loop: Header=BB4_1051 Depth=3
	s_delay_alu instid0(SALU_CYCLE_1)
	s_and_not1_b32 vcc_lo, exec_lo, s15
	s_cbranch_vccnz .LBB4_1183
; %bb.1178:                             ;   in Loop: Header=BB4_1051 Depth=3
	v_mov_b32_e32 v9, v13
	s_and_saveexec_b32 s15, s35
	s_cbranch_execz .LBB4_1182
; %bb.1179:                             ;   in Loop: Header=BB4_1051 Depth=3
	v_mov_b32_e32 v9, v12
	s_or_b32 s14, s13, s14
	s_delay_alu instid0(SALU_CYCLE_1)
	s_and_saveexec_b32 s35, s14
; %bb.1180:                             ;   in Loop: Header=BB4_1051 Depth=3
	v_lshrrev_b32_e32 v9, 16, v161
	v_cmp_lt_u16_e64 vcc_lo, 0x7c00, v160
	s_delay_alu instid0(VALU_DEP_2) | instskip(NEXT) | instid1(VALU_DEP_2)
	v_cmp_gt_f16_e64 s14, v161, v9
	s_and_b32 s13, s13, vcc_lo
	s_delay_alu instid0(VALU_DEP_1) | instskip(NEXT) | instid1(VALU_DEP_1)
	v_cndmask_b32_e64 v9, v161, v9, s14
	v_cndmask_b32_e64 v9, v9, 0x7fff, s13
; %bb.1181:                             ;   in Loop: Header=BB4_1051 Depth=3
	s_or_b32 exec_lo, exec_lo, s35
.LBB4_1182:                             ;   in Loop: Header=BB4_1051 Depth=3
	s_delay_alu instid0(SALU_CYCLE_1)
	s_or_b32 exec_lo, exec_lo, s15
.LBB4_1183:                             ;   in Loop: Header=BB4_1051 Depth=3
	v_lshrrev_b32_e32 v160, 16, v12
	v_lshrrev_b32_e32 v162, 16, v13
	v_perm_b32 v13, v13, v12, 0x7060302
	s_mov_b32 s15, -1
	s_and_not1_b32 vcc_lo, exec_lo, s34
	v_and_b32_e32 v163, 0x7fff, v160
	v_and_b32_e32 v161, 0x7fff, v162
                                        ; implicit-def: $vgpr12
	s_delay_alu instid0(VALU_DEP_2) | instskip(NEXT) | instid1(VALU_DEP_2)
	v_cmp_lt_u16_e64 s13, 0x7c00, v163
	v_cmp_gt_u16_e64 s14, 0x7c01, v161
	s_delay_alu instid0(VALU_DEP_1) | instskip(NEXT) | instid1(SALU_CYCLE_1)
	s_and_b32 s35, s13, s14
	s_xor_b32 s35, s35, -1
	s_cbranch_vccnz .LBB4_1189
; %bb.1184:                             ;   in Loop: Header=BB4_1051 Depth=3
	v_mov_b32_e32 v12, v162
	s_and_saveexec_b32 s36, s35
	s_cbranch_execz .LBB4_1188
; %bb.1185:                             ;   in Loop: Header=BB4_1051 Depth=3
	v_mov_b32_e32 v12, v160
	s_or_b32 s15, s13, s14
	s_delay_alu instid0(SALU_CYCLE_1)
	s_and_saveexec_b32 s37, s15
; %bb.1186:                             ;   in Loop: Header=BB4_1051 Depth=3
	v_lshrrev_b32_e32 v12, 16, v13
	v_cmp_lt_u16_e64 vcc_lo, 0x7c00, v161
	s_delay_alu instid0(VALU_DEP_2) | instskip(NEXT) | instid1(VALU_DEP_1)
	v_cmp_gt_f16_e64 s15, v13, v12
	v_cndmask_b32_e64 v12, v12, v13, s15
	s_delay_alu instid0(VALU_DEP_3)
	s_and_b32 s15, s13, vcc_lo
	s_delay_alu instid0(VALU_DEP_1) | instid1(SALU_CYCLE_1)
	v_cndmask_b32_e64 v12, v12, 0x7fff, s15
; %bb.1187:                             ;   in Loop: Header=BB4_1051 Depth=3
	s_or_b32 exec_lo, exec_lo, s37
.LBB4_1188:                             ;   in Loop: Header=BB4_1051 Depth=3
	s_delay_alu instid0(SALU_CYCLE_1)
	s_or_b32 exec_lo, exec_lo, s36
	s_mov_b32 s15, 0
.LBB4_1189:                             ;   in Loop: Header=BB4_1051 Depth=3
	s_delay_alu instid0(SALU_CYCLE_1)
	s_and_not1_b32 vcc_lo, exec_lo, s15
	s_cbranch_vccnz .LBB4_1195
; %bb.1190:                             ;   in Loop: Header=BB4_1051 Depth=3
	s_and_saveexec_b32 s15, s35
	s_cbranch_execz .LBB4_1194
; %bb.1191:                             ;   in Loop: Header=BB4_1051 Depth=3
	s_or_b32 s14, s13, s14
	s_delay_alu instid0(SALU_CYCLE_1)
	s_and_saveexec_b32 s35, s14
; %bb.1192:                             ;   in Loop: Header=BB4_1051 Depth=3
	v_lshrrev_b32_e32 v12, 16, v13
	v_cmp_lt_u16_e64 vcc_lo, 0x7c00, v161
	s_delay_alu instid0(VALU_DEP_2) | instskip(NEXT) | instid1(VALU_DEP_2)
	v_cmp_gt_f16_e64 s14, v13, v12
	s_and_b32 s13, s13, vcc_lo
	s_delay_alu instid0(VALU_DEP_1) | instskip(NEXT) | instid1(VALU_DEP_1)
	v_cndmask_b32_e64 v12, v13, v12, s14
	v_cndmask_b32_e64 v160, v12, 0x7fff, s13
; %bb.1193:                             ;   in Loop: Header=BB4_1051 Depth=3
	s_or_b32 exec_lo, exec_lo, s35
	s_delay_alu instid0(VALU_DEP_1)
	v_mov_b32_e32 v162, v160
.LBB4_1194:                             ;   in Loop: Header=BB4_1051 Depth=3
	s_or_b32 exec_lo, exec_lo, s15
	s_delay_alu instid0(VALU_DEP_1)
	v_mov_b32_e32 v12, v162
.LBB4_1195:                             ;   in Loop: Header=BB4_1051 Depth=3
	v_and_b32_e32 v13, 0x7fff, v14
	v_and_b32_e32 v160, 0x7fff, v10
	v_perm_b32 v161, v10, v14, 0x5040100
	s_mov_b32 s15, -1
	s_and_not1_b32 vcc_lo, exec_lo, s34
	v_cmp_lt_u16_e64 s13, 0x7c00, v13
	v_cmp_gt_u16_e64 s14, 0x7c01, v160
                                        ; implicit-def: $vgpr13
	s_delay_alu instid0(VALU_DEP_1) | instskip(NEXT) | instid1(SALU_CYCLE_1)
	s_and_b32 s35, s13, s14
	s_xor_b32 s35, s35, -1
	s_cbranch_vccnz .LBB4_1201
; %bb.1196:                             ;   in Loop: Header=BB4_1051 Depth=3
	v_mov_b32_e32 v13, v10
	s_and_saveexec_b32 s36, s35
	s_cbranch_execz .LBB4_1200
; %bb.1197:                             ;   in Loop: Header=BB4_1051 Depth=3
	v_mov_b32_e32 v13, v14
	s_or_b32 s15, s13, s14
	s_delay_alu instid0(SALU_CYCLE_1)
	s_and_saveexec_b32 s37, s15
; %bb.1198:                             ;   in Loop: Header=BB4_1051 Depth=3
	v_lshrrev_b32_e32 v13, 16, v161
	v_cmp_lt_u16_e64 vcc_lo, 0x7c00, v160
	s_delay_alu instid0(VALU_DEP_2) | instskip(NEXT) | instid1(VALU_DEP_1)
	v_cmp_gt_f16_e64 s15, v161, v13
	v_cndmask_b32_e64 v13, v13, v161, s15
	s_delay_alu instid0(VALU_DEP_3)
	s_and_b32 s15, s13, vcc_lo
	s_delay_alu instid0(VALU_DEP_1) | instid1(SALU_CYCLE_1)
	v_cndmask_b32_e64 v13, v13, 0x7fff, s15
; %bb.1199:                             ;   in Loop: Header=BB4_1051 Depth=3
	s_or_b32 exec_lo, exec_lo, s37
.LBB4_1200:                             ;   in Loop: Header=BB4_1051 Depth=3
	s_delay_alu instid0(SALU_CYCLE_1)
	s_or_b32 exec_lo, exec_lo, s36
	s_mov_b32 s15, 0
.LBB4_1201:                             ;   in Loop: Header=BB4_1051 Depth=3
	s_delay_alu instid0(SALU_CYCLE_1)
	s_and_not1_b32 vcc_lo, exec_lo, s15
	s_cbranch_vccnz .LBB4_1207
; %bb.1202:                             ;   in Loop: Header=BB4_1051 Depth=3
	v_mov_b32_e32 v13, v10
	s_and_saveexec_b32 s15, s35
	s_cbranch_execz .LBB4_1206
; %bb.1203:                             ;   in Loop: Header=BB4_1051 Depth=3
	v_mov_b32_e32 v13, v14
	s_or_b32 s14, s13, s14
	s_delay_alu instid0(SALU_CYCLE_1)
	s_and_saveexec_b32 s35, s14
; %bb.1204:                             ;   in Loop: Header=BB4_1051 Depth=3
	v_lshrrev_b32_e32 v13, 16, v161
	v_cmp_lt_u16_e64 vcc_lo, 0x7c00, v160
	s_delay_alu instid0(VALU_DEP_2) | instskip(NEXT) | instid1(VALU_DEP_2)
	v_cmp_gt_f16_e64 s14, v161, v13
	s_and_b32 s13, s13, vcc_lo
	s_delay_alu instid0(VALU_DEP_1) | instskip(NEXT) | instid1(VALU_DEP_1)
	v_cndmask_b32_e64 v13, v161, v13, s14
	v_cndmask_b32_e64 v13, v13, 0x7fff, s13
; %bb.1205:                             ;   in Loop: Header=BB4_1051 Depth=3
	s_or_b32 exec_lo, exec_lo, s35
.LBB4_1206:                             ;   in Loop: Header=BB4_1051 Depth=3
	s_delay_alu instid0(SALU_CYCLE_1)
	s_or_b32 exec_lo, exec_lo, s15
.LBB4_1207:                             ;   in Loop: Header=BB4_1051 Depth=3
	v_mov_b32_e32 v163, v14
	v_lshrrev_b32_e32 v162, 16, v10
	s_mov_b32 s15, -1
	s_and_not1_b32 vcc_lo, exec_lo, s34
	s_delay_alu instid0(VALU_DEP_2) | instskip(NEXT) | instid1(VALU_DEP_2)
	v_lshrrev_b32_e32 v160, 16, v163
	v_and_b32_e32 v161, 0x7fff, v162
	s_delay_alu instid0(VALU_DEP_2) | instskip(NEXT) | instid1(VALU_DEP_1)
	v_and_b32_e32 v14, 0x7fff, v160
	v_cmp_lt_u16_e64 s13, 0x7c00, v14
	v_mov_b32_e32 v14, v15
	s_delay_alu instid0(VALU_DEP_4) | instskip(SKIP_1) | instid1(VALU_DEP_2)
	v_cmp_gt_u16_e64 s14, 0x7c01, v161
	v_perm_b32 v15, v10, v163, 0x7060302
                                        ; implicit-def: $vgpr10
	s_and_b32 s35, s13, s14
	s_delay_alu instid0(SALU_CYCLE_1)
	s_xor_b32 s35, s35, -1
	s_cbranch_vccnz .LBB4_1213
; %bb.1208:                             ;   in Loop: Header=BB4_1051 Depth=3
	v_mov_b32_e32 v10, v162
	s_and_saveexec_b32 s36, s35
	s_cbranch_execz .LBB4_1212
; %bb.1209:                             ;   in Loop: Header=BB4_1051 Depth=3
	v_mov_b32_e32 v10, v160
	s_or_b32 s15, s13, s14
	s_delay_alu instid0(SALU_CYCLE_1)
	s_and_saveexec_b32 s37, s15
; %bb.1210:                             ;   in Loop: Header=BB4_1051 Depth=3
	v_lshrrev_b32_e32 v10, 16, v15
	v_cmp_lt_u16_e64 vcc_lo, 0x7c00, v161
	s_delay_alu instid0(VALU_DEP_2) | instskip(NEXT) | instid1(VALU_DEP_1)
	v_cmp_gt_f16_e64 s15, v15, v10
	v_cndmask_b32_e64 v10, v10, v15, s15
	s_delay_alu instid0(VALU_DEP_3)
	s_and_b32 s15, s13, vcc_lo
	s_delay_alu instid0(VALU_DEP_1) | instid1(SALU_CYCLE_1)
	v_cndmask_b32_e64 v10, v10, 0x7fff, s15
; %bb.1211:                             ;   in Loop: Header=BB4_1051 Depth=3
	s_or_b32 exec_lo, exec_lo, s37
.LBB4_1212:                             ;   in Loop: Header=BB4_1051 Depth=3
	s_delay_alu instid0(SALU_CYCLE_1)
	s_or_b32 exec_lo, exec_lo, s36
	s_mov_b32 s15, 0
.LBB4_1213:                             ;   in Loop: Header=BB4_1051 Depth=3
	s_delay_alu instid0(SALU_CYCLE_1)
	s_and_not1_b32 vcc_lo, exec_lo, s15
	s_cbranch_vccnz .LBB4_1219
; %bb.1214:                             ;   in Loop: Header=BB4_1051 Depth=3
	s_and_saveexec_b32 s15, s35
	s_cbranch_execz .LBB4_1218
; %bb.1215:                             ;   in Loop: Header=BB4_1051 Depth=3
	s_or_b32 s14, s13, s14
	s_delay_alu instid0(SALU_CYCLE_1)
	s_and_saveexec_b32 s35, s14
; %bb.1216:                             ;   in Loop: Header=BB4_1051 Depth=3
	v_lshrrev_b32_e32 v10, 16, v15
	v_cmp_lt_u16_e64 vcc_lo, 0x7c00, v161
	s_delay_alu instid0(VALU_DEP_2) | instskip(NEXT) | instid1(VALU_DEP_2)
	v_cmp_gt_f16_e64 s14, v15, v10
	s_and_b32 s13, s13, vcc_lo
	s_delay_alu instid0(VALU_DEP_1) | instskip(NEXT) | instid1(VALU_DEP_1)
	v_cndmask_b32_e64 v10, v15, v10, s14
	v_cndmask_b32_e64 v160, v10, 0x7fff, s13
; %bb.1217:                             ;   in Loop: Header=BB4_1051 Depth=3
	s_or_b32 exec_lo, exec_lo, s35
	s_delay_alu instid0(VALU_DEP_1)
	v_mov_b32_e32 v162, v160
.LBB4_1218:                             ;   in Loop: Header=BB4_1051 Depth=3
	s_or_b32 exec_lo, exec_lo, s15
	s_delay_alu instid0(VALU_DEP_1)
	v_mov_b32_e32 v10, v162
.LBB4_1219:                             ;   in Loop: Header=BB4_1051 Depth=3
	v_and_b32_e32 v15, 0x7fff, v14
	v_and_b32_e32 v160, 0x7fff, v11
	v_perm_b32 v161, v11, v14, 0x5040100
	s_mov_b32 s15, -1
	s_and_not1_b32 vcc_lo, exec_lo, s34
	v_cmp_lt_u16_e64 s13, 0x7c00, v15
	v_cmp_gt_u16_e64 s14, 0x7c01, v160
                                        ; implicit-def: $vgpr15
	s_delay_alu instid0(VALU_DEP_1) | instskip(NEXT) | instid1(SALU_CYCLE_1)
	s_and_b32 s35, s13, s14
	s_xor_b32 s35, s35, -1
	s_cbranch_vccnz .LBB4_1225
; %bb.1220:                             ;   in Loop: Header=BB4_1051 Depth=3
	v_mov_b32_e32 v15, v11
	s_and_saveexec_b32 s36, s35
	s_cbranch_execz .LBB4_1224
; %bb.1221:                             ;   in Loop: Header=BB4_1051 Depth=3
	v_mov_b32_e32 v15, v14
	s_or_b32 s15, s13, s14
	s_delay_alu instid0(SALU_CYCLE_1)
	s_and_saveexec_b32 s37, s15
; %bb.1222:                             ;   in Loop: Header=BB4_1051 Depth=3
	v_lshrrev_b32_e32 v15, 16, v161
	v_cmp_lt_u16_e64 vcc_lo, 0x7c00, v160
	s_delay_alu instid0(VALU_DEP_2) | instskip(NEXT) | instid1(VALU_DEP_1)
	v_cmp_gt_f16_e64 s15, v161, v15
	v_cndmask_b32_e64 v15, v15, v161, s15
	s_delay_alu instid0(VALU_DEP_3)
	s_and_b32 s15, s13, vcc_lo
	s_delay_alu instid0(VALU_DEP_1) | instid1(SALU_CYCLE_1)
	v_cndmask_b32_e64 v15, v15, 0x7fff, s15
; %bb.1223:                             ;   in Loop: Header=BB4_1051 Depth=3
	s_or_b32 exec_lo, exec_lo, s37
.LBB4_1224:                             ;   in Loop: Header=BB4_1051 Depth=3
	s_delay_alu instid0(SALU_CYCLE_1)
	s_or_b32 exec_lo, exec_lo, s36
	s_mov_b32 s15, 0
.LBB4_1225:                             ;   in Loop: Header=BB4_1051 Depth=3
	s_delay_alu instid0(SALU_CYCLE_1)
	s_and_not1_b32 vcc_lo, exec_lo, s15
	s_cbranch_vccnz .LBB4_1231
; %bb.1226:                             ;   in Loop: Header=BB4_1051 Depth=3
	v_mov_b32_e32 v15, v11
	s_and_saveexec_b32 s15, s35
	s_cbranch_execz .LBB4_1230
; %bb.1227:                             ;   in Loop: Header=BB4_1051 Depth=3
	v_mov_b32_e32 v15, v14
	s_or_b32 s14, s13, s14
	s_delay_alu instid0(SALU_CYCLE_1)
	s_and_saveexec_b32 s35, s14
; %bb.1228:                             ;   in Loop: Header=BB4_1051 Depth=3
	v_lshrrev_b32_e32 v15, 16, v161
	v_cmp_lt_u16_e64 vcc_lo, 0x7c00, v160
	s_delay_alu instid0(VALU_DEP_2) | instskip(NEXT) | instid1(VALU_DEP_2)
	v_cmp_gt_f16_e64 s14, v161, v15
	s_and_b32 s13, s13, vcc_lo
	s_delay_alu instid0(VALU_DEP_1) | instskip(NEXT) | instid1(VALU_DEP_1)
	v_cndmask_b32_e64 v15, v161, v15, s14
	v_cndmask_b32_e64 v15, v15, 0x7fff, s13
; %bb.1229:                             ;   in Loop: Header=BB4_1051 Depth=3
	s_or_b32 exec_lo, exec_lo, s35
.LBB4_1230:                             ;   in Loop: Header=BB4_1051 Depth=3
	s_delay_alu instid0(SALU_CYCLE_1)
	s_or_b32 exec_lo, exec_lo, s15
.LBB4_1231:                             ;   in Loop: Header=BB4_1051 Depth=3
	v_lshrrev_b32_e32 v160, 16, v14
	v_lshrrev_b32_e32 v162, 16, v11
	v_perm_b32 v11, v11, v14, 0x7060302
	s_mov_b32 s15, -1
	s_and_not1_b32 vcc_lo, exec_lo, s34
	v_and_b32_e32 v163, 0x7fff, v160
	v_and_b32_e32 v161, 0x7fff, v162
                                        ; implicit-def: $vgpr14
	s_delay_alu instid0(VALU_DEP_2) | instskip(NEXT) | instid1(VALU_DEP_2)
	v_cmp_lt_u16_e64 s13, 0x7c00, v163
	v_cmp_gt_u16_e64 s14, 0x7c01, v161
	s_delay_alu instid0(VALU_DEP_1) | instskip(NEXT) | instid1(SALU_CYCLE_1)
	s_and_b32 s35, s13, s14
	s_xor_b32 s35, s35, -1
	s_cbranch_vccnz .LBB4_1237
; %bb.1232:                             ;   in Loop: Header=BB4_1051 Depth=3
	v_mov_b32_e32 v14, v162
	s_and_saveexec_b32 s36, s35
	s_cbranch_execz .LBB4_1236
; %bb.1233:                             ;   in Loop: Header=BB4_1051 Depth=3
	v_mov_b32_e32 v14, v160
	s_or_b32 s15, s13, s14
	s_delay_alu instid0(SALU_CYCLE_1)
	s_and_saveexec_b32 s37, s15
; %bb.1234:                             ;   in Loop: Header=BB4_1051 Depth=3
	v_lshrrev_b32_e32 v14, 16, v11
	v_cmp_lt_u16_e64 vcc_lo, 0x7c00, v161
	s_delay_alu instid0(VALU_DEP_2) | instskip(NEXT) | instid1(VALU_DEP_1)
	v_cmp_gt_f16_e64 s15, v11, v14
	v_cndmask_b32_e64 v14, v14, v11, s15
	s_delay_alu instid0(VALU_DEP_3)
	s_and_b32 s15, s13, vcc_lo
	s_delay_alu instid0(VALU_DEP_1) | instid1(SALU_CYCLE_1)
	v_cndmask_b32_e64 v14, v14, 0x7fff, s15
; %bb.1235:                             ;   in Loop: Header=BB4_1051 Depth=3
	s_or_b32 exec_lo, exec_lo, s37
.LBB4_1236:                             ;   in Loop: Header=BB4_1051 Depth=3
	s_delay_alu instid0(SALU_CYCLE_1)
	s_or_b32 exec_lo, exec_lo, s36
	s_mov_b32 s15, 0
.LBB4_1237:                             ;   in Loop: Header=BB4_1051 Depth=3
	s_delay_alu instid0(SALU_CYCLE_1)
	s_and_not1_b32 vcc_lo, exec_lo, s15
	s_cbranch_vccnz .LBB4_1050
; %bb.1238:                             ;   in Loop: Header=BB4_1051 Depth=3
	s_and_saveexec_b32 s15, s35
	s_cbranch_execz .LBB4_1049
; %bb.1239:                             ;   in Loop: Header=BB4_1051 Depth=3
	s_or_b32 s14, s13, s14
	s_delay_alu instid0(SALU_CYCLE_1)
	s_and_saveexec_b32 s35, s14
	s_cbranch_execz .LBB4_1048
; %bb.1240:                             ;   in Loop: Header=BB4_1051 Depth=3
	v_lshrrev_b32_e32 v14, 16, v11
	v_cmp_lt_u16_e64 vcc_lo, 0x7c00, v161
	s_delay_alu instid0(VALU_DEP_2) | instskip(NEXT) | instid1(VALU_DEP_2)
	v_cmp_gt_f16_e64 s14, v11, v14
	s_and_b32 s13, s13, vcc_lo
	s_delay_alu instid0(VALU_DEP_1) | instskip(NEXT) | instid1(VALU_DEP_1)
	v_cndmask_b32_e64 v11, v11, v14, s14
	v_cndmask_b32_e64 v160, v11, 0x7fff, s13
	s_branch .LBB4_1048
.LBB4_1241:                             ;   in Loop: Header=BB4_961 Depth=2
	s_or_b32 exec_lo, exec_lo, s31
.LBB4_1242:                             ;   in Loop: Header=BB4_961 Depth=2
	s_delay_alu instid0(SALU_CYCLE_1) | instskip(SKIP_4) | instid1(VALU_DEP_2)
	s_or_b32 exec_lo, exec_lo, s16
	v_lshlrev_b32_e32 v84, 10, v150
	v_mov_b32_e32 v16, 0
	s_mov_b32 s13, 0
	s_mov_b32 s31, exec_lo
                                        ; implicit-def: $vgpr17
                                        ; implicit-def: $vgpr18
                                        ; implicit-def: $vgpr8
	v_cmpx_ne_u32_e64 v2, v84
	s_cbranch_execz .LBB4_1349
; %bb.1243:                             ;   in Loop: Header=BB4_961 Depth=2
	v_lshlrev_b32_e32 v8, 5, v81
	v_sub_nc_u32_e32 v10, v2, v84
	s_mov_b32 s34, exec_lo
	s_delay_alu instid0(VALU_DEP_2) | instskip(NEXT) | instid1(VALU_DEP_2)
	v_sub_nc_u32_e32 v8, v112, v8
	v_ashrrev_i32_e32 v11, 31, v10
	s_delay_alu instid0(VALU_DEP_2) | instskip(NEXT) | instid1(VALU_DEP_2)
	v_ashrrev_i32_e32 v9, 31, v8
	v_lshrrev_b32_e32 v11, 23, v11
	s_delay_alu instid0(VALU_DEP_2) | instskip(NEXT) | instid1(VALU_DEP_2)
	v_lshrrev_b32_e32 v9, 27, v9
	v_add_nc_u32_e32 v11, v10, v11
	s_delay_alu instid0(VALU_DEP_2) | instskip(NEXT) | instid1(VALU_DEP_2)
	v_add_nc_u32_e32 v9, v8, v9
	v_and_b32_e32 v81, 0xfffffe00, v11
	v_ashrrev_i32_e32 v11, 9, v11
	s_delay_alu instid0(VALU_DEP_3) | instskip(NEXT) | instid1(VALU_DEP_3)
	v_and_b32_e32 v12, 0xffffffe0, v9
	v_sub_nc_u32_e32 v86, v10, v81
	v_ashrrev_i32_e32 v9, 5, v9
	s_delay_alu instid0(VALU_DEP_3) | instskip(NEXT) | instid1(VALU_DEP_3)
	v_sub_nc_u32_e32 v85, v8, v12
	v_cmp_lt_i32_e64 s13, 15, v86
	s_delay_alu instid0(VALU_DEP_2) | instskip(NEXT) | instid1(VALU_DEP_2)
	v_lshlrev_b32_e32 v8, 4, v85
	v_add_co_ci_u32_e64 v11, vcc_lo, 0, v11, s13
	s_delay_alu instid0(VALU_DEP_2) | instskip(NEXT) | instid1(VALU_DEP_2)
	v_lshl_add_u32 v8, v9, 9, v8
	v_sub_nc_u32_e32 v87, v11, v9
	s_delay_alu instid0(VALU_DEP_2) | instskip(NEXT) | instid1(VALU_DEP_1)
	v_sub_nc_u32_e32 v96, v10, v8
	v_cmpx_lt_i32_e32 15, v96
	s_cbranch_execz .LBB4_1346
; %bb.1244:                             ;   in Loop: Header=BB4_961 Depth=2
	s_cbranch_execnz .LBB4_3012
; %bb.1245:                             ;   in Loop: Header=BB4_961 Depth=2
	ds_load_b128 v[9:12], v0
	v_add_nc_u32_e32 v8, v8, v84
	s_bitcmp1_b32 s30, 0
	s_mov_b32 s35, 0
	s_cselect_b32 s36, -1, 0
	s_delay_alu instid0(VALU_DEP_1) | instskip(SKIP_2) | instid1(VALU_DEP_2)
	v_ashrrev_i32_e32 v13, 31, v8
	s_waitcnt lgkmcnt(0)
	v_add_co_u32 v16, vcc_lo, v9, v8
	v_add_co_ci_u32_e32 v17, vcc_lo, v10, v13, vcc_lo
	s_delay_alu instid0(VALU_DEP_1) | instskip(SKIP_2) | instid1(VALU_DEP_1)
	v_mov_b32_e32 v21, v17
	v_add_co_u32 v18, vcc_lo, v11, v8
	v_add_co_ci_u32_e32 v19, vcc_lo, v12, v13, vcc_lo
	v_dual_mov_b32 v20, v16 :: v_dual_mov_b32 v23, v19
	s_delay_alu instid0(VALU_DEP_3)
	v_mov_b32_e32 v22, v18
.LBB4_1246:                             ;   Parent Loop BB4_51 Depth=1
                                        ;     Parent Loop BB4_961 Depth=2
                                        ; =>    This Loop Header: Depth=3
                                        ;         Child Loop BB4_1343 Depth 4
	global_load_b128 v[12:15], v[20:21], off slc dlc
	global_load_b128 v[8:11], v[22:23], off slc dlc
	s_mov_b32 s16, -1
	s_and_b32 vcc_lo, exec_lo, s36
	s_waitcnt vmcnt(1)
	v_and_b32_e32 v97, 0x7fff, v12
	s_waitcnt vmcnt(0)
	v_and_b32_e32 v98, 0x7fff, v8
	v_perm_b32 v99, v8, v12, 0x5040100
	s_delay_alu instid0(VALU_DEP_3) | instskip(NEXT) | instid1(VALU_DEP_3)
	v_cmp_lt_u16_e64 s14, 0x7c00, v97
	v_cmp_gt_u16_e64 s15, 0x7c01, v98
                                        ; implicit-def: $vgpr97
	s_delay_alu instid0(VALU_DEP_1) | instskip(NEXT) | instid1(SALU_CYCLE_1)
	s_and_b32 s37, s14, s15
	s_xor_b32 s37, s37, -1
	s_cbranch_vccz .LBB4_1252
; %bb.1247:                             ;   in Loop: Header=BB4_1246 Depth=3
	v_mov_b32_e32 v97, v8
	s_and_saveexec_b32 s38, s37
	s_cbranch_execz .LBB4_1251
; %bb.1248:                             ;   in Loop: Header=BB4_1246 Depth=3
	v_mov_b32_e32 v97, v12
	s_or_b32 s16, s14, s15
	s_delay_alu instid0(SALU_CYCLE_1)
	s_and_saveexec_b32 s39, s16
; %bb.1249:                             ;   in Loop: Header=BB4_1246 Depth=3
	v_lshrrev_b32_e32 v97, 16, v99
	v_cmp_lt_u16_e32 vcc_lo, 0x7c00, v98
	s_delay_alu instid0(VALU_DEP_2) | instskip(NEXT) | instid1(VALU_DEP_1)
	v_cmp_gt_f16_e64 s16, v99, v97
	v_cndmask_b32_e64 v97, v97, v99, s16
	s_and_b32 s16, s14, vcc_lo
	s_delay_alu instid0(VALU_DEP_1) | instid1(SALU_CYCLE_1)
	v_cndmask_b32_e64 v97, v97, 0x7fff, s16
; %bb.1250:                             ;   in Loop: Header=BB4_1246 Depth=3
	s_or_b32 exec_lo, exec_lo, s39
.LBB4_1251:                             ;   in Loop: Header=BB4_1246 Depth=3
	s_delay_alu instid0(SALU_CYCLE_1)
	s_or_b32 exec_lo, exec_lo, s38
	s_mov_b32 s16, 0
.LBB4_1252:                             ;   in Loop: Header=BB4_1246 Depth=3
	s_delay_alu instid0(SALU_CYCLE_1)
	s_and_not1_b32 vcc_lo, exec_lo, s16
	s_cbranch_vccnz .LBB4_1258
; %bb.1253:                             ;   in Loop: Header=BB4_1246 Depth=3
	v_mov_b32_e32 v97, v8
	s_and_saveexec_b32 s16, s37
	s_cbranch_execz .LBB4_1257
; %bb.1254:                             ;   in Loop: Header=BB4_1246 Depth=3
	v_mov_b32_e32 v97, v12
	s_or_b32 s15, s14, s15
	s_delay_alu instid0(SALU_CYCLE_1)
	s_and_saveexec_b32 s37, s15
; %bb.1255:                             ;   in Loop: Header=BB4_1246 Depth=3
	v_lshrrev_b32_e32 v97, 16, v99
	v_cmp_lt_u16_e32 vcc_lo, 0x7c00, v98
	s_delay_alu instid0(VALU_DEP_2) | instskip(SKIP_1) | instid1(VALU_DEP_1)
	v_cmp_gt_f16_e64 s15, v99, v97
	s_and_b32 s14, s14, vcc_lo
	v_cndmask_b32_e64 v97, v99, v97, s15
	s_delay_alu instid0(VALU_DEP_1)
	v_cndmask_b32_e64 v97, v97, 0x7fff, s14
; %bb.1256:                             ;   in Loop: Header=BB4_1246 Depth=3
	s_or_b32 exec_lo, exec_lo, s37
.LBB4_1257:                             ;   in Loop: Header=BB4_1246 Depth=3
	s_delay_alu instid0(SALU_CYCLE_1)
	s_or_b32 exec_lo, exec_lo, s16
.LBB4_1258:                             ;   in Loop: Header=BB4_1246 Depth=3
	v_mov_b32_e32 v151, v12
	v_mov_b32_e32 v160, v8
	;; [unrolled: 1-line block ×4, first 2 shown]
	s_mov_b32 s16, -1
	v_lshrrev_b32_e32 v98, 16, v151
	v_lshrrev_b32_e32 v150, 16, v160
	s_and_b32 vcc_lo, exec_lo, s36
	s_delay_alu instid0(VALU_DEP_2) | instskip(NEXT) | instid1(VALU_DEP_2)
	v_and_b32_e32 v8, 0x7fff, v98
	v_and_b32_e32 v99, 0x7fff, v150
	v_perm_b32 v9, v160, v151, 0x7060302
	s_delay_alu instid0(VALU_DEP_3) | instskip(NEXT) | instid1(VALU_DEP_3)
	v_cmp_lt_u16_e64 s14, 0x7c00, v8
	v_cmp_gt_u16_e64 s15, 0x7c01, v99
                                        ; implicit-def: $vgpr8
	s_delay_alu instid0(VALU_DEP_1) | instskip(NEXT) | instid1(SALU_CYCLE_1)
	s_and_b32 s37, s14, s15
	s_xor_b32 s37, s37, -1
	s_cbranch_vccz .LBB4_1264
; %bb.1259:                             ;   in Loop: Header=BB4_1246 Depth=3
	v_mov_b32_e32 v8, v150
	s_and_saveexec_b32 s38, s37
	s_cbranch_execz .LBB4_1263
; %bb.1260:                             ;   in Loop: Header=BB4_1246 Depth=3
	v_mov_b32_e32 v8, v98
	s_or_b32 s16, s14, s15
	s_delay_alu instid0(SALU_CYCLE_1)
	s_and_saveexec_b32 s39, s16
; %bb.1261:                             ;   in Loop: Header=BB4_1246 Depth=3
	v_lshrrev_b32_e32 v8, 16, v9
	v_cmp_lt_u16_e32 vcc_lo, 0x7c00, v99
	s_delay_alu instid0(VALU_DEP_2) | instskip(NEXT) | instid1(VALU_DEP_1)
	v_cmp_gt_f16_e64 s16, v9, v8
	v_cndmask_b32_e64 v8, v8, v9, s16
	s_and_b32 s16, s14, vcc_lo
	s_delay_alu instid0(VALU_DEP_1) | instid1(SALU_CYCLE_1)
	v_cndmask_b32_e64 v8, v8, 0x7fff, s16
; %bb.1262:                             ;   in Loop: Header=BB4_1246 Depth=3
	s_or_b32 exec_lo, exec_lo, s39
.LBB4_1263:                             ;   in Loop: Header=BB4_1246 Depth=3
	s_delay_alu instid0(SALU_CYCLE_1)
	s_or_b32 exec_lo, exec_lo, s38
	s_mov_b32 s16, 0
.LBB4_1264:                             ;   in Loop: Header=BB4_1246 Depth=3
	s_delay_alu instid0(SALU_CYCLE_1)
	s_and_not1_b32 vcc_lo, exec_lo, s16
	s_cbranch_vccnz .LBB4_1270
; %bb.1265:                             ;   in Loop: Header=BB4_1246 Depth=3
	s_and_saveexec_b32 s16, s37
	s_cbranch_execz .LBB4_1269
; %bb.1266:                             ;   in Loop: Header=BB4_1246 Depth=3
	s_or_b32 s15, s14, s15
	s_delay_alu instid0(SALU_CYCLE_1)
	s_and_saveexec_b32 s37, s15
; %bb.1267:                             ;   in Loop: Header=BB4_1246 Depth=3
	v_lshrrev_b32_e32 v8, 16, v9
	v_cmp_lt_u16_e32 vcc_lo, 0x7c00, v99
	s_delay_alu instid0(VALU_DEP_2) | instskip(SKIP_1) | instid1(VALU_DEP_1)
	v_cmp_gt_f16_e64 s15, v9, v8
	s_and_b32 s14, s14, vcc_lo
	v_cndmask_b32_e64 v8, v9, v8, s15
	s_delay_alu instid0(VALU_DEP_1)
	v_cndmask_b32_e64 v98, v8, 0x7fff, s14
; %bb.1268:                             ;   in Loop: Header=BB4_1246 Depth=3
	s_or_b32 exec_lo, exec_lo, s37
	s_delay_alu instid0(VALU_DEP_1)
	v_mov_b32_e32 v150, v98
.LBB4_1269:                             ;   in Loop: Header=BB4_1246 Depth=3
	s_or_b32 exec_lo, exec_lo, s16
	s_delay_alu instid0(VALU_DEP_1)
	v_mov_b32_e32 v8, v150
.LBB4_1270:                             ;   in Loop: Header=BB4_1246 Depth=3
	v_and_b32_e32 v9, 0x7fff, v12
	v_and_b32_e32 v98, 0x7fff, v13
	v_perm_b32 v99, v13, v12, 0x5040100
	s_mov_b32 s16, -1
	s_and_b32 vcc_lo, exec_lo, s36
	v_cmp_lt_u16_e64 s14, 0x7c00, v9
	v_cmp_gt_u16_e64 s15, 0x7c01, v98
                                        ; implicit-def: $vgpr9
	s_delay_alu instid0(VALU_DEP_1) | instskip(NEXT) | instid1(SALU_CYCLE_1)
	s_and_b32 s37, s14, s15
	s_xor_b32 s37, s37, -1
	s_cbranch_vccz .LBB4_1276
; %bb.1271:                             ;   in Loop: Header=BB4_1246 Depth=3
	v_mov_b32_e32 v9, v13
	s_and_saveexec_b32 s38, s37
	s_cbranch_execz .LBB4_1275
; %bb.1272:                             ;   in Loop: Header=BB4_1246 Depth=3
	v_mov_b32_e32 v9, v12
	s_or_b32 s16, s14, s15
	s_delay_alu instid0(SALU_CYCLE_1)
	s_and_saveexec_b32 s39, s16
; %bb.1273:                             ;   in Loop: Header=BB4_1246 Depth=3
	v_lshrrev_b32_e32 v9, 16, v99
	v_cmp_lt_u16_e32 vcc_lo, 0x7c00, v98
	s_delay_alu instid0(VALU_DEP_2) | instskip(NEXT) | instid1(VALU_DEP_1)
	v_cmp_gt_f16_e64 s16, v99, v9
	v_cndmask_b32_e64 v9, v9, v99, s16
	s_and_b32 s16, s14, vcc_lo
	s_delay_alu instid0(VALU_DEP_1) | instid1(SALU_CYCLE_1)
	v_cndmask_b32_e64 v9, v9, 0x7fff, s16
; %bb.1274:                             ;   in Loop: Header=BB4_1246 Depth=3
	s_or_b32 exec_lo, exec_lo, s39
.LBB4_1275:                             ;   in Loop: Header=BB4_1246 Depth=3
	s_delay_alu instid0(SALU_CYCLE_1)
	s_or_b32 exec_lo, exec_lo, s38
	s_mov_b32 s16, 0
.LBB4_1276:                             ;   in Loop: Header=BB4_1246 Depth=3
	s_delay_alu instid0(SALU_CYCLE_1)
	s_and_not1_b32 vcc_lo, exec_lo, s16
	s_cbranch_vccnz .LBB4_1282
; %bb.1277:                             ;   in Loop: Header=BB4_1246 Depth=3
	v_mov_b32_e32 v9, v13
	s_and_saveexec_b32 s16, s37
	s_cbranch_execz .LBB4_1281
; %bb.1278:                             ;   in Loop: Header=BB4_1246 Depth=3
	v_mov_b32_e32 v9, v12
	s_or_b32 s15, s14, s15
	s_delay_alu instid0(SALU_CYCLE_1)
	s_and_saveexec_b32 s37, s15
; %bb.1279:                             ;   in Loop: Header=BB4_1246 Depth=3
	v_lshrrev_b32_e32 v9, 16, v99
	v_cmp_lt_u16_e32 vcc_lo, 0x7c00, v98
	s_delay_alu instid0(VALU_DEP_2) | instskip(SKIP_1) | instid1(VALU_DEP_1)
	v_cmp_gt_f16_e64 s15, v99, v9
	s_and_b32 s14, s14, vcc_lo
	v_cndmask_b32_e64 v9, v99, v9, s15
	s_delay_alu instid0(VALU_DEP_1)
	v_cndmask_b32_e64 v9, v9, 0x7fff, s14
; %bb.1280:                             ;   in Loop: Header=BB4_1246 Depth=3
	s_or_b32 exec_lo, exec_lo, s37
.LBB4_1281:                             ;   in Loop: Header=BB4_1246 Depth=3
	s_delay_alu instid0(SALU_CYCLE_1)
	s_or_b32 exec_lo, exec_lo, s16
.LBB4_1282:                             ;   in Loop: Header=BB4_1246 Depth=3
	v_lshrrev_b32_e32 v98, 16, v12
	v_lshrrev_b32_e32 v150, 16, v13
	v_perm_b32 v13, v13, v12, 0x7060302
	s_mov_b32 s16, -1
	s_and_b32 vcc_lo, exec_lo, s36
	v_and_b32_e32 v151, 0x7fff, v98
	v_and_b32_e32 v99, 0x7fff, v150
                                        ; implicit-def: $vgpr12
	s_delay_alu instid0(VALU_DEP_2) | instskip(NEXT) | instid1(VALU_DEP_2)
	v_cmp_lt_u16_e64 s14, 0x7c00, v151
	v_cmp_gt_u16_e64 s15, 0x7c01, v99
	s_delay_alu instid0(VALU_DEP_1) | instskip(NEXT) | instid1(SALU_CYCLE_1)
	s_and_b32 s37, s14, s15
	s_xor_b32 s37, s37, -1
	s_cbranch_vccz .LBB4_1288
; %bb.1283:                             ;   in Loop: Header=BB4_1246 Depth=3
	v_mov_b32_e32 v12, v150
	s_and_saveexec_b32 s38, s37
	s_cbranch_execz .LBB4_1287
; %bb.1284:                             ;   in Loop: Header=BB4_1246 Depth=3
	v_mov_b32_e32 v12, v98
	s_or_b32 s16, s14, s15
	s_delay_alu instid0(SALU_CYCLE_1)
	s_and_saveexec_b32 s39, s16
; %bb.1285:                             ;   in Loop: Header=BB4_1246 Depth=3
	v_lshrrev_b32_e32 v12, 16, v13
	v_cmp_lt_u16_e32 vcc_lo, 0x7c00, v99
	s_delay_alu instid0(VALU_DEP_2) | instskip(NEXT) | instid1(VALU_DEP_1)
	v_cmp_gt_f16_e64 s16, v13, v12
	v_cndmask_b32_e64 v12, v12, v13, s16
	s_and_b32 s16, s14, vcc_lo
	s_delay_alu instid0(VALU_DEP_1) | instid1(SALU_CYCLE_1)
	v_cndmask_b32_e64 v12, v12, 0x7fff, s16
; %bb.1286:                             ;   in Loop: Header=BB4_1246 Depth=3
	s_or_b32 exec_lo, exec_lo, s39
.LBB4_1287:                             ;   in Loop: Header=BB4_1246 Depth=3
	s_delay_alu instid0(SALU_CYCLE_1)
	s_or_b32 exec_lo, exec_lo, s38
	s_mov_b32 s16, 0
.LBB4_1288:                             ;   in Loop: Header=BB4_1246 Depth=3
	s_delay_alu instid0(SALU_CYCLE_1)
	s_and_not1_b32 vcc_lo, exec_lo, s16
	s_cbranch_vccnz .LBB4_1294
; %bb.1289:                             ;   in Loop: Header=BB4_1246 Depth=3
	s_and_saveexec_b32 s16, s37
	s_cbranch_execz .LBB4_1293
; %bb.1290:                             ;   in Loop: Header=BB4_1246 Depth=3
	s_or_b32 s15, s14, s15
	s_delay_alu instid0(SALU_CYCLE_1)
	s_and_saveexec_b32 s37, s15
; %bb.1291:                             ;   in Loop: Header=BB4_1246 Depth=3
	v_lshrrev_b32_e32 v12, 16, v13
	v_cmp_lt_u16_e32 vcc_lo, 0x7c00, v99
	s_delay_alu instid0(VALU_DEP_2) | instskip(SKIP_1) | instid1(VALU_DEP_1)
	v_cmp_gt_f16_e64 s15, v13, v12
	s_and_b32 s14, s14, vcc_lo
	v_cndmask_b32_e64 v12, v13, v12, s15
	s_delay_alu instid0(VALU_DEP_1)
	v_cndmask_b32_e64 v98, v12, 0x7fff, s14
; %bb.1292:                             ;   in Loop: Header=BB4_1246 Depth=3
	s_or_b32 exec_lo, exec_lo, s37
	s_delay_alu instid0(VALU_DEP_1)
	v_mov_b32_e32 v150, v98
.LBB4_1293:                             ;   in Loop: Header=BB4_1246 Depth=3
	s_or_b32 exec_lo, exec_lo, s16
	s_delay_alu instid0(VALU_DEP_1)
	v_mov_b32_e32 v12, v150
.LBB4_1294:                             ;   in Loop: Header=BB4_1246 Depth=3
	v_and_b32_e32 v13, 0x7fff, v14
	v_and_b32_e32 v98, 0x7fff, v10
	v_perm_b32 v99, v10, v14, 0x5040100
	s_mov_b32 s16, -1
	s_and_b32 vcc_lo, exec_lo, s36
	v_cmp_lt_u16_e64 s14, 0x7c00, v13
	v_cmp_gt_u16_e64 s15, 0x7c01, v98
                                        ; implicit-def: $vgpr13
	s_delay_alu instid0(VALU_DEP_1) | instskip(NEXT) | instid1(SALU_CYCLE_1)
	s_and_b32 s37, s14, s15
	s_xor_b32 s37, s37, -1
	s_cbranch_vccz .LBB4_1300
; %bb.1295:                             ;   in Loop: Header=BB4_1246 Depth=3
	v_mov_b32_e32 v13, v10
	s_and_saveexec_b32 s38, s37
	s_cbranch_execz .LBB4_1299
; %bb.1296:                             ;   in Loop: Header=BB4_1246 Depth=3
	v_mov_b32_e32 v13, v14
	s_or_b32 s16, s14, s15
	s_delay_alu instid0(SALU_CYCLE_1)
	s_and_saveexec_b32 s39, s16
; %bb.1297:                             ;   in Loop: Header=BB4_1246 Depth=3
	v_lshrrev_b32_e32 v13, 16, v99
	v_cmp_lt_u16_e32 vcc_lo, 0x7c00, v98
	s_delay_alu instid0(VALU_DEP_2) | instskip(NEXT) | instid1(VALU_DEP_1)
	v_cmp_gt_f16_e64 s16, v99, v13
	v_cndmask_b32_e64 v13, v13, v99, s16
	s_and_b32 s16, s14, vcc_lo
	s_delay_alu instid0(VALU_DEP_1) | instid1(SALU_CYCLE_1)
	v_cndmask_b32_e64 v13, v13, 0x7fff, s16
; %bb.1298:                             ;   in Loop: Header=BB4_1246 Depth=3
	s_or_b32 exec_lo, exec_lo, s39
.LBB4_1299:                             ;   in Loop: Header=BB4_1246 Depth=3
	s_delay_alu instid0(SALU_CYCLE_1)
	s_or_b32 exec_lo, exec_lo, s38
	s_mov_b32 s16, 0
.LBB4_1300:                             ;   in Loop: Header=BB4_1246 Depth=3
	s_delay_alu instid0(SALU_CYCLE_1)
	s_and_not1_b32 vcc_lo, exec_lo, s16
	s_cbranch_vccnz .LBB4_1306
; %bb.1301:                             ;   in Loop: Header=BB4_1246 Depth=3
	v_mov_b32_e32 v13, v10
	s_and_saveexec_b32 s16, s37
	s_cbranch_execz .LBB4_1305
; %bb.1302:                             ;   in Loop: Header=BB4_1246 Depth=3
	v_mov_b32_e32 v13, v14
	s_or_b32 s15, s14, s15
	s_delay_alu instid0(SALU_CYCLE_1)
	s_and_saveexec_b32 s37, s15
; %bb.1303:                             ;   in Loop: Header=BB4_1246 Depth=3
	v_lshrrev_b32_e32 v13, 16, v99
	v_cmp_lt_u16_e32 vcc_lo, 0x7c00, v98
	s_delay_alu instid0(VALU_DEP_2) | instskip(SKIP_1) | instid1(VALU_DEP_1)
	v_cmp_gt_f16_e64 s15, v99, v13
	s_and_b32 s14, s14, vcc_lo
	v_cndmask_b32_e64 v13, v99, v13, s15
	s_delay_alu instid0(VALU_DEP_1)
	v_cndmask_b32_e64 v13, v13, 0x7fff, s14
; %bb.1304:                             ;   in Loop: Header=BB4_1246 Depth=3
	s_or_b32 exec_lo, exec_lo, s37
.LBB4_1305:                             ;   in Loop: Header=BB4_1246 Depth=3
	s_delay_alu instid0(SALU_CYCLE_1)
	s_or_b32 exec_lo, exec_lo, s16
.LBB4_1306:                             ;   in Loop: Header=BB4_1246 Depth=3
	v_mov_b32_e32 v151, v14
	v_lshrrev_b32_e32 v150, 16, v10
	s_mov_b32 s16, -1
	s_and_b32 vcc_lo, exec_lo, s36
	s_delay_alu instid0(VALU_DEP_2) | instskip(NEXT) | instid1(VALU_DEP_2)
	v_lshrrev_b32_e32 v98, 16, v151
	v_and_b32_e32 v99, 0x7fff, v150
	s_delay_alu instid0(VALU_DEP_2) | instskip(NEXT) | instid1(VALU_DEP_2)
	v_and_b32_e32 v14, 0x7fff, v98
	v_cmp_gt_u16_e64 s15, 0x7c01, v99
	v_perm_b32 v10, v10, v151, 0x7060302
	s_delay_alu instid0(VALU_DEP_3) | instskip(NEXT) | instid1(VALU_DEP_1)
	v_cmp_lt_u16_e64 s14, 0x7c00, v14
                                        ; implicit-def: $vgpr14
	s_and_b32 s37, s14, s15
	s_delay_alu instid0(SALU_CYCLE_1)
	s_xor_b32 s37, s37, -1
	s_cbranch_vccz .LBB4_1312
; %bb.1307:                             ;   in Loop: Header=BB4_1246 Depth=3
	v_mov_b32_e32 v14, v150
	s_and_saveexec_b32 s38, s37
	s_cbranch_execz .LBB4_1311
; %bb.1308:                             ;   in Loop: Header=BB4_1246 Depth=3
	v_mov_b32_e32 v14, v98
	s_or_b32 s16, s14, s15
	s_delay_alu instid0(SALU_CYCLE_1)
	s_and_saveexec_b32 s39, s16
; %bb.1309:                             ;   in Loop: Header=BB4_1246 Depth=3
	v_lshrrev_b32_e32 v14, 16, v10
	v_cmp_lt_u16_e32 vcc_lo, 0x7c00, v99
	s_delay_alu instid0(VALU_DEP_2) | instskip(NEXT) | instid1(VALU_DEP_1)
	v_cmp_gt_f16_e64 s16, v10, v14
	v_cndmask_b32_e64 v14, v14, v10, s16
	s_and_b32 s16, s14, vcc_lo
	s_delay_alu instid0(VALU_DEP_1) | instid1(SALU_CYCLE_1)
	v_cndmask_b32_e64 v14, v14, 0x7fff, s16
; %bb.1310:                             ;   in Loop: Header=BB4_1246 Depth=3
	s_or_b32 exec_lo, exec_lo, s39
.LBB4_1311:                             ;   in Loop: Header=BB4_1246 Depth=3
	s_delay_alu instid0(SALU_CYCLE_1)
	s_or_b32 exec_lo, exec_lo, s38
	s_mov_b32 s16, 0
.LBB4_1312:                             ;   in Loop: Header=BB4_1246 Depth=3
	s_delay_alu instid0(SALU_CYCLE_1)
	s_and_not1_b32 vcc_lo, exec_lo, s16
	s_cbranch_vccnz .LBB4_1318
; %bb.1313:                             ;   in Loop: Header=BB4_1246 Depth=3
	s_and_saveexec_b32 s16, s37
	s_cbranch_execz .LBB4_1317
; %bb.1314:                             ;   in Loop: Header=BB4_1246 Depth=3
	s_or_b32 s15, s14, s15
	s_delay_alu instid0(SALU_CYCLE_1)
	s_and_saveexec_b32 s37, s15
; %bb.1315:                             ;   in Loop: Header=BB4_1246 Depth=3
	v_lshrrev_b32_e32 v14, 16, v10
	v_cmp_lt_u16_e32 vcc_lo, 0x7c00, v99
	s_delay_alu instid0(VALU_DEP_2) | instskip(SKIP_1) | instid1(VALU_DEP_1)
	v_cmp_gt_f16_e64 s15, v10, v14
	s_and_b32 s14, s14, vcc_lo
	v_cndmask_b32_e64 v10, v10, v14, s15
	s_delay_alu instid0(VALU_DEP_1)
	v_cndmask_b32_e64 v98, v10, 0x7fff, s14
; %bb.1316:                             ;   in Loop: Header=BB4_1246 Depth=3
	s_or_b32 exec_lo, exec_lo, s37
	s_delay_alu instid0(VALU_DEP_1)
	v_mov_b32_e32 v150, v98
.LBB4_1317:                             ;   in Loop: Header=BB4_1246 Depth=3
	s_or_b32 exec_lo, exec_lo, s16
	s_delay_alu instid0(VALU_DEP_1)
	v_mov_b32_e32 v14, v150
.LBB4_1318:                             ;   in Loop: Header=BB4_1246 Depth=3
	v_and_b32_e32 v10, 0x7fff, v15
	v_and_b32_e32 v98, 0x7fff, v11
	v_perm_b32 v99, v11, v15, 0x5040100
	s_mov_b32 s16, -1
	s_and_b32 vcc_lo, exec_lo, s36
	v_cmp_lt_u16_e64 s14, 0x7c00, v10
	v_cmp_gt_u16_e64 s15, 0x7c01, v98
                                        ; implicit-def: $vgpr10
	s_delay_alu instid0(VALU_DEP_1) | instskip(NEXT) | instid1(SALU_CYCLE_1)
	s_and_b32 s37, s14, s15
	s_xor_b32 s37, s37, -1
	s_cbranch_vccz .LBB4_1324
; %bb.1319:                             ;   in Loop: Header=BB4_1246 Depth=3
	v_mov_b32_e32 v10, v11
	s_and_saveexec_b32 s38, s37
	s_cbranch_execz .LBB4_1323
; %bb.1320:                             ;   in Loop: Header=BB4_1246 Depth=3
	v_mov_b32_e32 v10, v15
	s_or_b32 s16, s14, s15
	s_delay_alu instid0(SALU_CYCLE_1)
	s_and_saveexec_b32 s39, s16
; %bb.1321:                             ;   in Loop: Header=BB4_1246 Depth=3
	v_lshrrev_b32_e32 v10, 16, v99
	v_cmp_lt_u16_e32 vcc_lo, 0x7c00, v98
	s_delay_alu instid0(VALU_DEP_2) | instskip(NEXT) | instid1(VALU_DEP_1)
	v_cmp_gt_f16_e64 s16, v99, v10
	v_cndmask_b32_e64 v10, v10, v99, s16
	s_and_b32 s16, s14, vcc_lo
	s_delay_alu instid0(VALU_DEP_1) | instid1(SALU_CYCLE_1)
	v_cndmask_b32_e64 v10, v10, 0x7fff, s16
; %bb.1322:                             ;   in Loop: Header=BB4_1246 Depth=3
	s_or_b32 exec_lo, exec_lo, s39
.LBB4_1323:                             ;   in Loop: Header=BB4_1246 Depth=3
	s_delay_alu instid0(SALU_CYCLE_1)
	s_or_b32 exec_lo, exec_lo, s38
	s_mov_b32 s16, 0
.LBB4_1324:                             ;   in Loop: Header=BB4_1246 Depth=3
	s_delay_alu instid0(SALU_CYCLE_1)
	s_and_not1_b32 vcc_lo, exec_lo, s16
	s_cbranch_vccnz .LBB4_1330
; %bb.1325:                             ;   in Loop: Header=BB4_1246 Depth=3
	v_mov_b32_e32 v10, v11
	s_and_saveexec_b32 s16, s37
	s_cbranch_execz .LBB4_1329
; %bb.1326:                             ;   in Loop: Header=BB4_1246 Depth=3
	v_mov_b32_e32 v10, v15
	s_or_b32 s15, s14, s15
	s_delay_alu instid0(SALU_CYCLE_1)
	s_and_saveexec_b32 s37, s15
; %bb.1327:                             ;   in Loop: Header=BB4_1246 Depth=3
	v_lshrrev_b32_e32 v10, 16, v99
	v_cmp_lt_u16_e32 vcc_lo, 0x7c00, v98
	s_delay_alu instid0(VALU_DEP_2) | instskip(SKIP_1) | instid1(VALU_DEP_1)
	v_cmp_gt_f16_e64 s15, v99, v10
	s_and_b32 s14, s14, vcc_lo
	v_cndmask_b32_e64 v10, v99, v10, s15
	s_delay_alu instid0(VALU_DEP_1)
	v_cndmask_b32_e64 v10, v10, 0x7fff, s14
; %bb.1328:                             ;   in Loop: Header=BB4_1246 Depth=3
	s_or_b32 exec_lo, exec_lo, s37
.LBB4_1329:                             ;   in Loop: Header=BB4_1246 Depth=3
	s_delay_alu instid0(SALU_CYCLE_1)
	s_or_b32 exec_lo, exec_lo, s16
.LBB4_1330:                             ;   in Loop: Header=BB4_1246 Depth=3
	v_lshrrev_b32_e32 v98, 16, v15
	v_lshrrev_b32_e32 v150, 16, v11
	v_perm_b32 v11, v11, v15, 0x7060302
	s_mov_b32 s16, -1
	s_and_b32 vcc_lo, exec_lo, s36
	v_and_b32_e32 v151, 0x7fff, v98
	v_and_b32_e32 v99, 0x7fff, v150
                                        ; implicit-def: $vgpr15
	s_delay_alu instid0(VALU_DEP_2) | instskip(NEXT) | instid1(VALU_DEP_2)
	v_cmp_lt_u16_e64 s14, 0x7c00, v151
	v_cmp_gt_u16_e64 s15, 0x7c01, v99
	s_delay_alu instid0(VALU_DEP_1) | instskip(NEXT) | instid1(SALU_CYCLE_1)
	s_and_b32 s37, s14, s15
	s_xor_b32 s37, s37, -1
	s_cbranch_vccz .LBB4_1336
; %bb.1331:                             ;   in Loop: Header=BB4_1246 Depth=3
	v_mov_b32_e32 v15, v150
	s_and_saveexec_b32 s38, s37
	s_cbranch_execz .LBB4_1335
; %bb.1332:                             ;   in Loop: Header=BB4_1246 Depth=3
	v_mov_b32_e32 v15, v98
	s_or_b32 s16, s14, s15
	s_delay_alu instid0(SALU_CYCLE_1)
	s_and_saveexec_b32 s39, s16
; %bb.1333:                             ;   in Loop: Header=BB4_1246 Depth=3
	v_lshrrev_b32_e32 v15, 16, v11
	v_cmp_lt_u16_e32 vcc_lo, 0x7c00, v99
	s_delay_alu instid0(VALU_DEP_2) | instskip(NEXT) | instid1(VALU_DEP_1)
	v_cmp_gt_f16_e64 s16, v11, v15
	v_cndmask_b32_e64 v15, v15, v11, s16
	s_and_b32 s16, s14, vcc_lo
	s_delay_alu instid0(VALU_DEP_1) | instid1(SALU_CYCLE_1)
	v_cndmask_b32_e64 v15, v15, 0x7fff, s16
; %bb.1334:                             ;   in Loop: Header=BB4_1246 Depth=3
	s_or_b32 exec_lo, exec_lo, s39
.LBB4_1335:                             ;   in Loop: Header=BB4_1246 Depth=3
	s_delay_alu instid0(SALU_CYCLE_1)
	s_or_b32 exec_lo, exec_lo, s38
	s_mov_b32 s16, 0
.LBB4_1336:                             ;   in Loop: Header=BB4_1246 Depth=3
	s_delay_alu instid0(SALU_CYCLE_1)
	s_and_not1_b32 vcc_lo, exec_lo, s16
	s_cbranch_vccnz .LBB4_1342
; %bb.1337:                             ;   in Loop: Header=BB4_1246 Depth=3
	s_and_saveexec_b32 s16, s37
	s_cbranch_execz .LBB4_1341
; %bb.1338:                             ;   in Loop: Header=BB4_1246 Depth=3
	s_or_b32 s15, s14, s15
	s_delay_alu instid0(SALU_CYCLE_1)
	s_and_saveexec_b32 s37, s15
; %bb.1339:                             ;   in Loop: Header=BB4_1246 Depth=3
	v_lshrrev_b32_e32 v15, 16, v11
	v_cmp_lt_u16_e32 vcc_lo, 0x7c00, v99
	s_delay_alu instid0(VALU_DEP_2) | instskip(SKIP_1) | instid1(VALU_DEP_1)
	v_cmp_gt_f16_e64 s15, v11, v15
	s_and_b32 s14, s14, vcc_lo
	v_cndmask_b32_e64 v11, v11, v15, s15
	s_delay_alu instid0(VALU_DEP_1)
	v_cndmask_b32_e64 v98, v11, 0x7fff, s14
; %bb.1340:                             ;   in Loop: Header=BB4_1246 Depth=3
	s_or_b32 exec_lo, exec_lo, s37
	s_delay_alu instid0(VALU_DEP_1)
	v_mov_b32_e32 v150, v98
.LBB4_1341:                             ;   in Loop: Header=BB4_1246 Depth=3
	s_or_b32 exec_lo, exec_lo, s16
	s_delay_alu instid0(VALU_DEP_1)
	v_mov_b32_e32 v15, v150
.LBB4_1342:                             ;   in Loop: Header=BB4_1246 Depth=3
	v_lshlrev_b32_e32 v8, 16, v8
	v_and_b32_e32 v11, 0xffff, v97
	v_lshlrev_b32_e32 v14, 16, v14
	v_and_b32_e32 v13, 0xffff, v13
	v_lshlrev_b32_e32 v12, 16, v12
	v_and_b32_e32 v9, 0xffff, v9
	v_or_b32_e32 v8, v8, v11
	v_lshlrev_b32_e32 v11, 16, v15
	v_and_b32_e32 v10, 0xffff, v10
	v_or_b32_e32 v13, v14, v13
	v_or3_b32 v9, v12, v9, 0
	v_or3_b32 v8, 0, 0, v8
	s_mov_b64 s[14:15], 0
	v_or3_b32 v11, v11, v10, 0
	v_or3_b32 v10, 0, 0, v13
	s_mov_b32 s16, -1
.LBB4_1343:                             ;   Parent Loop BB4_51 Depth=1
                                        ;     Parent Loop BB4_961 Depth=2
                                        ;       Parent Loop BB4_1246 Depth=3
                                        ; =>      This Inner Loop Header: Depth=4
	s_cmp_eq_u32 s14, 0
	v_cndmask_b32_e64 v14, 0, 1, s16
	s_cselect_b32 vcc_lo, -1, 0
	s_cmp_eq_u32 s14, 1
	s_mov_b32 s16, 0
	s_cselect_b32 s14, -1, 0
	s_delay_alu instid0(SALU_CYCLE_1) | instskip(SKIP_1) | instid1(VALU_DEP_2)
	v_cndmask_b32_e64 v12, v16, v18, s14
	v_cndmask_b32_e64 v13, v17, v19, s14
	v_add_co_u32 v15, s15, 0x200, v12
	s_delay_alu instid0(VALU_DEP_1) | instskip(SKIP_1) | instid1(VALU_DEP_3)
	v_add_co_ci_u32_e64 v97, s15, 0, v13, s15
	v_cmp_ne_u32_e64 s15, 1, v14
	v_cndmask_b32_e64 v18, v18, v15, s14
	v_cndmask_b32_e32 v16, v16, v15, vcc_lo
	s_delay_alu instid0(VALU_DEP_4)
	v_cndmask_b32_e64 v19, v19, v97, s14
	v_cndmask_b32_e32 v17, v17, v97, vcc_lo
	s_and_b32 vcc_lo, exec_lo, s15
	s_mov_b64 s[14:15], 1
	global_store_b128 v[12:13], v[8:11], off glc slc dlc
	s_cbranch_vccz .LBB4_1343
; %bb.1344:                             ;   in Loop: Header=BB4_1246 Depth=3
	v_add_co_u32 v20, vcc_lo, v20, v131
	v_add_co_ci_u32_e32 v21, vcc_lo, v21, v132, vcc_lo
	v_add_co_u32 v22, vcc_lo, v22, v131
	v_sub_nc_u32_e32 v96, v96, v115
	v_add_co_ci_u32_e32 v23, vcc_lo, v23, v132, vcc_lo
	v_add_co_u32 v16, vcc_lo, v16, v117
	v_add_co_ci_u32_e32 v17, vcc_lo, v17, v129, vcc_lo
	s_delay_alu instid0(VALU_DEP_4) | instskip(SKIP_1) | instid1(VALU_DEP_1)
	v_cmp_gt_i32_e32 vcc_lo, 16, v96
	v_add_co_u32 v18, s14, v18, v117
	v_add_co_ci_u32_e64 v19, s14, v19, v129, s14
	v_sub_nc_u32_e32 v87, v87, v113
	s_or_b32 s35, vcc_lo, s35
	s_delay_alu instid0(SALU_CYCLE_1)
	s_and_not1_b32 exec_lo, exec_lo, s35
	s_cbranch_execnz .LBB4_1246
; %bb.1345:                             ;   in Loop: Header=BB4_961 Depth=2
	s_or_b32 exec_lo, exec_lo, s35
.LBB4_1346:                             ;   in Loop: Header=BB4_961 Depth=2
	s_delay_alu instid0(SALU_CYCLE_1) | instskip(SKIP_3) | instid1(VALU_DEP_1)
	s_or_b32 exec_lo, exec_lo, s34
	v_dual_mov_b32 v16, 0 :: v_dual_and_b32 v9, 14, v2
	s_mov_b32 s14, 0
	s_mov_b32 s15, exec_lo
                                        ; implicit-def: $vgpr18
                                        ; implicit-def: $vgpr8
	v_cndmask_b32_e64 v17, v86, v9, s13
	s_delay_alu instid0(VALU_DEP_1)
	v_cmpx_ne_u32_e32 0, v17
	s_cbranch_execz .LBB4_1348
; %bb.1347:                             ;   in Loop: Header=BB4_961 Depth=2
	v_cmp_lt_i32_e32 vcc_lo, 0, v87
	v_sub_nc_u32_e32 v9, v86, v9
	s_mov_b32 s14, exec_lo
	v_cndmask_b32_e32 v8, 0, v113, vcc_lo
	s_delay_alu instid0(VALU_DEP_2) | instskip(NEXT) | instid1(VALU_DEP_2)
	v_cndmask_b32_e64 v9, 0, v9, s13
	v_sub_nc_u32_e32 v8, v8, v87
	s_delay_alu instid0(VALU_DEP_2) | instskip(NEXT) | instid1(VALU_DEP_2)
	v_add3_u32 v16, v81, v84, v9
	v_lshl_add_u32 v18, v8, 5, v85
	s_delay_alu instid0(VALU_DEP_1) | instskip(NEXT) | instid1(VALU_DEP_1)
	v_ashrrev_i32_e32 v8, 31, v18
	v_lshrrev_b32_e32 v8, 27, v8
	s_delay_alu instid0(VALU_DEP_1) | instskip(NEXT) | instid1(VALU_DEP_1)
	v_add_nc_u32_e32 v8, v18, v8
	v_ashrrev_i32_e32 v8, 5, v8
.LBB4_1348:                             ;   in Loop: Header=BB4_961 Depth=2
	s_or_b32 exec_lo, exec_lo, s15
	s_delay_alu instid0(SALU_CYCLE_1)
	s_and_b32 s13, s14, exec_lo
.LBB4_1349:                             ;   in Loop: Header=BB4_961 Depth=2
	s_or_b32 exec_lo, exec_lo, s31
.LBB4_1350:                             ;   in Loop: Header=BB4_961 Depth=2
	s_and_saveexec_b32 s16, s13
	s_cbranch_execz .LBB4_1472
; %bb.1351:                             ;   in Loop: Header=BB4_961 Depth=2
	v_ashrrev_i32_e32 v9, 31, v17
	s_mov_b32 s31, exec_lo
	s_delay_alu instid0(VALU_DEP_1) | instskip(NEXT) | instid1(VALU_DEP_1)
	v_lshrrev_b32_e32 v9, 23, v9
	v_add_nc_u32_e32 v9, v17, v9
	s_delay_alu instid0(VALU_DEP_1) | instskip(NEXT) | instid1(VALU_DEP_1)
	v_ashrrev_i32_e32 v20, 9, v9
	v_sub_nc_u32_e32 v19, v20, v8
	s_delay_alu instid0(VALU_DEP_1)
	v_cmpx_lt_i32_e32 0, v19
	s_cbranch_execz .LBB4_1452
; %bb.1352:                             ;   in Loop: Header=BB4_961 Depth=2
	s_cbranch_execnz .LBB4_2942
; %bb.1353:                             ;   in Loop: Header=BB4_961 Depth=2
	v_ashrrev_i32_e32 v9, 31, v18
	v_lshlrev_b32_e32 v8, 9, v8
	s_bitcmp1_b32 s30, 0
	s_mov_b32 s34, 0
	s_cselect_b32 s35, -1, 0
	v_lshrrev_b32_e32 v9, 27, v9
	s_delay_alu instid0(VALU_DEP_1) | instskip(NEXT) | instid1(VALU_DEP_1)
	v_add_nc_u32_e32 v9, v18, v9
	v_and_b32_e32 v13, 0x7fffffe0, v9
	ds_load_b128 v[9:12], v0
	v_sub_nc_u32_e32 v13, v18, v13
	s_delay_alu instid0(VALU_DEP_1) | instskip(NEXT) | instid1(VALU_DEP_1)
	v_lshlrev_b32_e32 v13, 1, v13
	v_add3_u32 v13, v13, v16, v8
	s_delay_alu instid0(VALU_DEP_1) | instskip(SKIP_2) | instid1(VALU_DEP_2)
	v_ashrrev_i32_e32 v14, 31, v13
	s_waitcnt lgkmcnt(0)
	v_add_co_u32 v8, vcc_lo, v9, v13
	v_add_co_ci_u32_e32 v9, vcc_lo, v10, v14, vcc_lo
	v_add_co_u32 v10, vcc_lo, v11, v13
	v_add_co_ci_u32_e32 v11, vcc_lo, v12, v14, vcc_lo
	s_delay_alu instid0(VALU_DEP_3) | instskip(NEXT) | instid1(VALU_DEP_2)
	v_dual_mov_b32 v13, v9 :: v_dual_mov_b32 v12, v8
	v_dual_mov_b32 v15, v11 :: v_dual_mov_b32 v14, v10
	s_branch .LBB4_1357
.LBB4_1354:                             ;   in Loop: Header=BB4_1357 Depth=3
	s_or_b32 exec_lo, exec_lo, s36
	s_delay_alu instid0(VALU_DEP_1)
	v_mov_b32_e32 v22, v21
.LBB4_1355:                             ;   in Loop: Header=BB4_1357 Depth=3
	s_or_b32 exec_lo, exec_lo, s15
	s_delay_alu instid0(VALU_DEP_1)
	v_mov_b32_e32 v84, v22
.LBB4_1356:                             ;   in Loop: Header=BB4_1357 Depth=3
	v_add_co_u32 v8, vcc_lo, v8, v131
	v_add_co_ci_u32_e32 v9, vcc_lo, v9, v132, vcc_lo
	v_add_co_u32 v10, vcc_lo, v10, v131
	v_sub_nc_u32_e32 v19, v19, v113
	v_add_co_ci_u32_e32 v11, vcc_lo, v11, v132, vcc_lo
	s_clause 0x7
	flat_store_b16 v[12:13], v23 glc slc dlc
	flat_store_b16 v[12:13], v85 offset:64 glc slc dlc
	flat_store_b16 v[12:13], v96 offset:128 glc slc dlc
	;; [unrolled: 1-line block ×7, first 2 shown]
	s_clause 0x7
	flat_store_b16 v[14:15], v23 glc slc dlc
	flat_store_b16 v[14:15], v85 offset:64 glc slc dlc
	flat_store_b16 v[14:15], v96 offset:128 glc slc dlc
	;; [unrolled: 1-line block ×7, first 2 shown]
	v_add_co_u32 v12, vcc_lo, v12, v131
	v_add_co_ci_u32_e32 v13, vcc_lo, v13, v132, vcc_lo
	v_cmp_gt_i32_e32 vcc_lo, 1, v19
	v_add_co_u32 v14, s13, v14, v131
	s_delay_alu instid0(VALU_DEP_1) | instskip(SKIP_1) | instid1(SALU_CYCLE_1)
	v_add_co_ci_u32_e64 v15, s13, v15, v132, s13
	s_or_b32 s34, vcc_lo, s34
	s_and_not1_b32 exec_lo, exec_lo, s34
	s_cbranch_execz .LBB4_1451
.LBB4_1357:                             ;   Parent Loop BB4_51 Depth=1
                                        ;     Parent Loop BB4_961 Depth=2
                                        ; =>    This Inner Loop Header: Depth=3
	flat_load_u16 v85, v[8:9] slc dlc
	flat_load_u16 v162, v[10:11] slc dlc
	s_clause 0x6
	flat_load_u16 v96, v[8:9] offset:64 slc dlc
	flat_load_u16 v99, v[8:9] offset:128 slc dlc
	;; [unrolled: 1-line block ×7, first 2 shown]
	s_clause 0x6
	flat_load_u16 v161, v[10:11] offset:64 slc dlc
	flat_load_u16 v160, v[10:11] offset:128 slc dlc
	;; [unrolled: 1-line block ×7, first 2 shown]
	s_mov_b32 s15, -1
	s_and_b32 vcc_lo, exec_lo, s35
	s_waitcnt vmcnt(15) lgkmcnt(15)
	v_and_b32_e32 v23, 0x7fff, v85
	s_waitcnt vmcnt(14) lgkmcnt(14)
	v_and_b32_e32 v163, 0x7fff, v162
	s_delay_alu instid0(VALU_DEP_2) | instskip(NEXT) | instid1(VALU_DEP_2)
	v_cmp_lt_u16_e64 s13, 0x7c00, v23
	v_cmp_gt_u16_e64 s14, 0x7c01, v163
                                        ; implicit-def: $vgpr23
	s_delay_alu instid0(VALU_DEP_1) | instskip(NEXT) | instid1(SALU_CYCLE_1)
	s_and_b32 s36, s13, s14
	s_xor_b32 s36, s36, -1
	s_cbranch_vccz .LBB4_1363
; %bb.1358:                             ;   in Loop: Header=BB4_1357 Depth=3
	v_mov_b32_e32 v23, v162
	s_and_saveexec_b32 s37, s36
	s_cbranch_execz .LBB4_1362
; %bb.1359:                             ;   in Loop: Header=BB4_1357 Depth=3
	v_mov_b32_e32 v23, v85
	s_or_b32 s15, s13, s14
	s_delay_alu instid0(SALU_CYCLE_1)
	s_and_saveexec_b32 s38, s15
; %bb.1360:                             ;   in Loop: Header=BB4_1357 Depth=3
	v_cmp_gt_f16_e64 s15, v85, v162
	v_cmp_lt_u16_e64 vcc_lo, 0x7c00, v163
	s_delay_alu instid0(VALU_DEP_2) | instskip(NEXT) | instid1(VALU_DEP_2)
	v_cndmask_b32_e64 v23, v162, v85, s15
	s_and_b32 s15, s13, vcc_lo
	s_delay_alu instid0(VALU_DEP_1) | instid1(SALU_CYCLE_1)
	v_cndmask_b32_e64 v23, v23, 0x7fff, s15
; %bb.1361:                             ;   in Loop: Header=BB4_1357 Depth=3
	s_or_b32 exec_lo, exec_lo, s38
.LBB4_1362:                             ;   in Loop: Header=BB4_1357 Depth=3
	s_delay_alu instid0(SALU_CYCLE_1)
	s_or_b32 exec_lo, exec_lo, s37
	s_mov_b32 s15, 0
.LBB4_1363:                             ;   in Loop: Header=BB4_1357 Depth=3
	s_delay_alu instid0(SALU_CYCLE_1)
	s_and_not1_b32 vcc_lo, exec_lo, s15
	s_cbranch_vccnz .LBB4_1369
; %bb.1364:                             ;   in Loop: Header=BB4_1357 Depth=3
	s_and_saveexec_b32 s15, s36
	s_cbranch_execz .LBB4_1368
; %bb.1365:                             ;   in Loop: Header=BB4_1357 Depth=3
	s_or_b32 s14, s13, s14
	s_delay_alu instid0(SALU_CYCLE_1)
	s_and_saveexec_b32 s36, s14
; %bb.1366:                             ;   in Loop: Header=BB4_1357 Depth=3
	v_cmp_gt_f16_e64 s14, v85, v162
	v_cmp_lt_u16_e64 vcc_lo, 0x7c00, v163
	s_delay_alu instid0(VALU_DEP_2) | instskip(NEXT) | instid1(VALU_DEP_2)
	v_cndmask_b32_e64 v23, v85, v162, s14
	s_and_b32 s13, s13, vcc_lo
	s_delay_alu instid0(VALU_DEP_1) | instid1(SALU_CYCLE_1)
	v_cndmask_b32_e64 v85, v23, 0x7fff, s13
; %bb.1367:                             ;   in Loop: Header=BB4_1357 Depth=3
	s_or_b32 exec_lo, exec_lo, s36
	s_delay_alu instid0(VALU_DEP_1)
	v_mov_b32_e32 v162, v85
.LBB4_1368:                             ;   in Loop: Header=BB4_1357 Depth=3
	s_or_b32 exec_lo, exec_lo, s15
	s_delay_alu instid0(VALU_DEP_1)
	v_mov_b32_e32 v23, v162
.LBB4_1369:                             ;   in Loop: Header=BB4_1357 Depth=3
	s_waitcnt vmcnt(13) lgkmcnt(13)
	v_and_b32_e32 v85, 0x7fff, v96
	s_waitcnt vmcnt(6) lgkmcnt(6)
	v_and_b32_e32 v162, 0x7fff, v161
	s_mov_b32 s15, -1
	s_and_not1_b32 vcc_lo, exec_lo, s35
	v_cmp_lt_u16_e64 s13, 0x7c00, v85
	s_delay_alu instid0(VALU_DEP_2) | instskip(NEXT) | instid1(VALU_DEP_1)
	v_cmp_gt_u16_e64 s14, 0x7c01, v162
                                        ; implicit-def: $vgpr85
	s_and_b32 s36, s13, s14
	s_delay_alu instid0(SALU_CYCLE_1)
	s_xor_b32 s36, s36, -1
	s_cbranch_vccnz .LBB4_1375
; %bb.1370:                             ;   in Loop: Header=BB4_1357 Depth=3
	v_mov_b32_e32 v85, v161
	s_and_saveexec_b32 s37, s36
	s_cbranch_execz .LBB4_1374
; %bb.1371:                             ;   in Loop: Header=BB4_1357 Depth=3
	v_mov_b32_e32 v85, v96
	s_or_b32 s15, s13, s14
	s_delay_alu instid0(SALU_CYCLE_1)
	s_and_saveexec_b32 s38, s15
; %bb.1372:                             ;   in Loop: Header=BB4_1357 Depth=3
	v_cmp_gt_f16_e64 s15, v96, v161
	v_cmp_lt_u16_e64 vcc_lo, 0x7c00, v162
	s_delay_alu instid0(VALU_DEP_2) | instskip(NEXT) | instid1(VALU_DEP_2)
	v_cndmask_b32_e64 v85, v161, v96, s15
	s_and_b32 s15, s13, vcc_lo
	s_delay_alu instid0(VALU_DEP_1) | instid1(SALU_CYCLE_1)
	v_cndmask_b32_e64 v85, v85, 0x7fff, s15
; %bb.1373:                             ;   in Loop: Header=BB4_1357 Depth=3
	s_or_b32 exec_lo, exec_lo, s38
.LBB4_1374:                             ;   in Loop: Header=BB4_1357 Depth=3
	s_delay_alu instid0(SALU_CYCLE_1)
	s_or_b32 exec_lo, exec_lo, s37
	s_mov_b32 s15, 0
.LBB4_1375:                             ;   in Loop: Header=BB4_1357 Depth=3
	s_delay_alu instid0(SALU_CYCLE_1)
	s_and_not1_b32 vcc_lo, exec_lo, s15
	s_cbranch_vccnz .LBB4_1381
; %bb.1376:                             ;   in Loop: Header=BB4_1357 Depth=3
	s_and_saveexec_b32 s15, s36
	s_cbranch_execz .LBB4_1380
; %bb.1377:                             ;   in Loop: Header=BB4_1357 Depth=3
	s_or_b32 s14, s13, s14
	s_delay_alu instid0(SALU_CYCLE_1)
	s_and_saveexec_b32 s36, s14
; %bb.1378:                             ;   in Loop: Header=BB4_1357 Depth=3
	v_cmp_gt_f16_e64 s14, v96, v161
	v_cmp_lt_u16_e64 vcc_lo, 0x7c00, v162
	s_delay_alu instid0(VALU_DEP_2) | instskip(NEXT) | instid1(VALU_DEP_2)
	v_cndmask_b32_e64 v85, v96, v161, s14
	s_and_b32 s13, s13, vcc_lo
	s_delay_alu instid0(VALU_DEP_1) | instid1(SALU_CYCLE_1)
	v_cndmask_b32_e64 v96, v85, 0x7fff, s13
; %bb.1379:                             ;   in Loop: Header=BB4_1357 Depth=3
	s_or_b32 exec_lo, exec_lo, s36
	s_delay_alu instid0(VALU_DEP_1)
	v_mov_b32_e32 v161, v96
.LBB4_1380:                             ;   in Loop: Header=BB4_1357 Depth=3
	s_or_b32 exec_lo, exec_lo, s15
	s_delay_alu instid0(VALU_DEP_1)
	v_mov_b32_e32 v85, v161
.LBB4_1381:                             ;   in Loop: Header=BB4_1357 Depth=3
	v_and_b32_e32 v96, 0x7fff, v99
	s_waitcnt vmcnt(5) lgkmcnt(5)
	v_and_b32_e32 v161, 0x7fff, v160
	s_mov_b32 s15, -1
	s_and_not1_b32 vcc_lo, exec_lo, s35
	v_cmp_lt_u16_e64 s13, 0x7c00, v96
	s_delay_alu instid0(VALU_DEP_2) | instskip(NEXT) | instid1(VALU_DEP_1)
	v_cmp_gt_u16_e64 s14, 0x7c01, v161
                                        ; implicit-def: $vgpr96
	s_and_b32 s36, s13, s14
	s_delay_alu instid0(SALU_CYCLE_1)
	s_xor_b32 s36, s36, -1
	s_cbranch_vccnz .LBB4_1387
; %bb.1382:                             ;   in Loop: Header=BB4_1357 Depth=3
	v_mov_b32_e32 v96, v160
	s_and_saveexec_b32 s37, s36
	s_cbranch_execz .LBB4_1386
; %bb.1383:                             ;   in Loop: Header=BB4_1357 Depth=3
	v_mov_b32_e32 v96, v99
	s_or_b32 s15, s13, s14
	s_delay_alu instid0(SALU_CYCLE_1)
	s_and_saveexec_b32 s38, s15
; %bb.1384:                             ;   in Loop: Header=BB4_1357 Depth=3
	v_cmp_gt_f16_e64 s15, v99, v160
	v_cmp_lt_u16_e64 vcc_lo, 0x7c00, v161
	s_delay_alu instid0(VALU_DEP_2) | instskip(NEXT) | instid1(VALU_DEP_2)
	v_cndmask_b32_e64 v96, v160, v99, s15
	s_and_b32 s15, s13, vcc_lo
	s_delay_alu instid0(VALU_DEP_1) | instid1(SALU_CYCLE_1)
	v_cndmask_b32_e64 v96, v96, 0x7fff, s15
; %bb.1385:                             ;   in Loop: Header=BB4_1357 Depth=3
	s_or_b32 exec_lo, exec_lo, s38
.LBB4_1386:                             ;   in Loop: Header=BB4_1357 Depth=3
	s_delay_alu instid0(SALU_CYCLE_1)
	s_or_b32 exec_lo, exec_lo, s37
	s_mov_b32 s15, 0
.LBB4_1387:                             ;   in Loop: Header=BB4_1357 Depth=3
	s_delay_alu instid0(SALU_CYCLE_1)
	s_and_not1_b32 vcc_lo, exec_lo, s15
	s_cbranch_vccnz .LBB4_1393
; %bb.1388:                             ;   in Loop: Header=BB4_1357 Depth=3
	s_and_saveexec_b32 s15, s36
	s_cbranch_execz .LBB4_1392
; %bb.1389:                             ;   in Loop: Header=BB4_1357 Depth=3
	s_or_b32 s14, s13, s14
	s_delay_alu instid0(SALU_CYCLE_1)
	s_and_saveexec_b32 s36, s14
; %bb.1390:                             ;   in Loop: Header=BB4_1357 Depth=3
	v_cmp_gt_f16_e64 s14, v99, v160
	v_cmp_lt_u16_e64 vcc_lo, 0x7c00, v161
	s_delay_alu instid0(VALU_DEP_2) | instskip(NEXT) | instid1(VALU_DEP_2)
	v_cndmask_b32_e64 v96, v99, v160, s14
	s_and_b32 s13, s13, vcc_lo
	s_delay_alu instid0(VALU_DEP_1) | instid1(SALU_CYCLE_1)
	v_cndmask_b32_e64 v99, v96, 0x7fff, s13
; %bb.1391:                             ;   in Loop: Header=BB4_1357 Depth=3
	s_or_b32 exec_lo, exec_lo, s36
	s_delay_alu instid0(VALU_DEP_1)
	v_mov_b32_e32 v160, v99
.LBB4_1392:                             ;   in Loop: Header=BB4_1357 Depth=3
	s_or_b32 exec_lo, exec_lo, s15
	s_delay_alu instid0(VALU_DEP_1)
	v_mov_b32_e32 v96, v160
.LBB4_1393:                             ;   in Loop: Header=BB4_1357 Depth=3
	v_and_b32_e32 v99, 0x7fff, v150
	s_waitcnt vmcnt(4) lgkmcnt(4)
	v_and_b32_e32 v160, 0x7fff, v151
	s_mov_b32 s15, -1
	s_and_not1_b32 vcc_lo, exec_lo, s35
	v_cmp_lt_u16_e64 s13, 0x7c00, v99
	s_delay_alu instid0(VALU_DEP_2) | instskip(NEXT) | instid1(VALU_DEP_1)
	v_cmp_gt_u16_e64 s14, 0x7c01, v160
                                        ; implicit-def: $vgpr99
	s_and_b32 s36, s13, s14
	s_delay_alu instid0(SALU_CYCLE_1)
	s_xor_b32 s36, s36, -1
	s_cbranch_vccnz .LBB4_1399
; %bb.1394:                             ;   in Loop: Header=BB4_1357 Depth=3
	v_mov_b32_e32 v99, v151
	s_and_saveexec_b32 s37, s36
	s_cbranch_execz .LBB4_1398
; %bb.1395:                             ;   in Loop: Header=BB4_1357 Depth=3
	v_mov_b32_e32 v99, v150
	s_or_b32 s15, s13, s14
	s_delay_alu instid0(SALU_CYCLE_1)
	s_and_saveexec_b32 s38, s15
; %bb.1396:                             ;   in Loop: Header=BB4_1357 Depth=3
	v_cmp_gt_f16_e64 s15, v150, v151
	v_cmp_lt_u16_e64 vcc_lo, 0x7c00, v160
	s_delay_alu instid0(VALU_DEP_2) | instskip(NEXT) | instid1(VALU_DEP_2)
	v_cndmask_b32_e64 v99, v151, v150, s15
	s_and_b32 s15, s13, vcc_lo
	s_delay_alu instid0(VALU_DEP_1) | instid1(SALU_CYCLE_1)
	v_cndmask_b32_e64 v99, v99, 0x7fff, s15
; %bb.1397:                             ;   in Loop: Header=BB4_1357 Depth=3
	s_or_b32 exec_lo, exec_lo, s38
.LBB4_1398:                             ;   in Loop: Header=BB4_1357 Depth=3
	s_delay_alu instid0(SALU_CYCLE_1)
	s_or_b32 exec_lo, exec_lo, s37
	s_mov_b32 s15, 0
.LBB4_1399:                             ;   in Loop: Header=BB4_1357 Depth=3
	s_delay_alu instid0(SALU_CYCLE_1)
	s_and_not1_b32 vcc_lo, exec_lo, s15
	s_cbranch_vccnz .LBB4_1405
; %bb.1400:                             ;   in Loop: Header=BB4_1357 Depth=3
	s_and_saveexec_b32 s15, s36
	s_cbranch_execz .LBB4_1404
; %bb.1401:                             ;   in Loop: Header=BB4_1357 Depth=3
	s_or_b32 s14, s13, s14
	s_delay_alu instid0(SALU_CYCLE_1)
	s_and_saveexec_b32 s36, s14
; %bb.1402:                             ;   in Loop: Header=BB4_1357 Depth=3
	v_cmp_gt_f16_e64 s14, v150, v151
	v_cmp_lt_u16_e64 vcc_lo, 0x7c00, v160
	s_delay_alu instid0(VALU_DEP_2) | instskip(NEXT) | instid1(VALU_DEP_2)
	v_cndmask_b32_e64 v99, v150, v151, s14
	s_and_b32 s13, s13, vcc_lo
	s_delay_alu instid0(VALU_DEP_1) | instid1(SALU_CYCLE_1)
	v_cndmask_b32_e64 v150, v99, 0x7fff, s13
; %bb.1403:                             ;   in Loop: Header=BB4_1357 Depth=3
	s_or_b32 exec_lo, exec_lo, s36
	s_delay_alu instid0(VALU_DEP_1)
	v_mov_b32_e32 v151, v150
.LBB4_1404:                             ;   in Loop: Header=BB4_1357 Depth=3
	s_or_b32 exec_lo, exec_lo, s15
	s_delay_alu instid0(VALU_DEP_1)
	v_mov_b32_e32 v99, v151
.LBB4_1405:                             ;   in Loop: Header=BB4_1357 Depth=3
	v_and_b32_e32 v150, 0x7fff, v97
	s_waitcnt vmcnt(3) lgkmcnt(3)
	v_and_b32_e32 v151, 0x7fff, v98
	s_mov_b32 s15, -1
	s_and_not1_b32 vcc_lo, exec_lo, s35
	v_cmp_lt_u16_e64 s13, 0x7c00, v150
	s_delay_alu instid0(VALU_DEP_2) | instskip(NEXT) | instid1(VALU_DEP_1)
	v_cmp_gt_u16_e64 s14, 0x7c01, v151
                                        ; implicit-def: $vgpr150
	s_and_b32 s36, s13, s14
	s_delay_alu instid0(SALU_CYCLE_1)
	s_xor_b32 s36, s36, -1
	s_cbranch_vccnz .LBB4_1411
; %bb.1406:                             ;   in Loop: Header=BB4_1357 Depth=3
	v_mov_b32_e32 v150, v98
	s_and_saveexec_b32 s37, s36
	s_cbranch_execz .LBB4_1410
; %bb.1407:                             ;   in Loop: Header=BB4_1357 Depth=3
	v_mov_b32_e32 v150, v97
	s_or_b32 s15, s13, s14
	s_delay_alu instid0(SALU_CYCLE_1)
	s_and_saveexec_b32 s38, s15
; %bb.1408:                             ;   in Loop: Header=BB4_1357 Depth=3
	v_cmp_gt_f16_e64 s15, v97, v98
	v_cmp_lt_u16_e64 vcc_lo, 0x7c00, v151
	s_delay_alu instid0(VALU_DEP_2) | instskip(NEXT) | instid1(VALU_DEP_2)
	v_cndmask_b32_e64 v150, v98, v97, s15
	s_and_b32 s15, s13, vcc_lo
	s_delay_alu instid0(VALU_DEP_1) | instid1(SALU_CYCLE_1)
	v_cndmask_b32_e64 v150, v150, 0x7fff, s15
; %bb.1409:                             ;   in Loop: Header=BB4_1357 Depth=3
	s_or_b32 exec_lo, exec_lo, s38
.LBB4_1410:                             ;   in Loop: Header=BB4_1357 Depth=3
	s_delay_alu instid0(SALU_CYCLE_1)
	s_or_b32 exec_lo, exec_lo, s37
	s_mov_b32 s15, 0
.LBB4_1411:                             ;   in Loop: Header=BB4_1357 Depth=3
	s_delay_alu instid0(SALU_CYCLE_1)
	s_and_not1_b32 vcc_lo, exec_lo, s15
	s_cbranch_vccnz .LBB4_1417
; %bb.1412:                             ;   in Loop: Header=BB4_1357 Depth=3
	s_and_saveexec_b32 s15, s36
	s_cbranch_execz .LBB4_1416
; %bb.1413:                             ;   in Loop: Header=BB4_1357 Depth=3
	s_or_b32 s14, s13, s14
	s_delay_alu instid0(SALU_CYCLE_1)
	s_and_saveexec_b32 s36, s14
; %bb.1414:                             ;   in Loop: Header=BB4_1357 Depth=3
	v_cmp_gt_f16_e64 s14, v97, v98
	v_cmp_lt_u16_e64 vcc_lo, 0x7c00, v151
	s_delay_alu instid0(VALU_DEP_2) | instskip(NEXT) | instid1(VALU_DEP_2)
	v_cndmask_b32_e64 v97, v97, v98, s14
	s_and_b32 s13, s13, vcc_lo
	s_delay_alu instid0(VALU_DEP_1) | instid1(SALU_CYCLE_1)
	v_cndmask_b32_e64 v97, v97, 0x7fff, s13
; %bb.1415:                             ;   in Loop: Header=BB4_1357 Depth=3
	s_or_b32 exec_lo, exec_lo, s36
	s_delay_alu instid0(VALU_DEP_1)
	v_mov_b32_e32 v98, v97
.LBB4_1416:                             ;   in Loop: Header=BB4_1357 Depth=3
	s_or_b32 exec_lo, exec_lo, s15
	s_delay_alu instid0(VALU_DEP_1)
	v_mov_b32_e32 v150, v98
.LBB4_1417:                             ;   in Loop: Header=BB4_1357 Depth=3
	v_and_b32_e32 v97, 0x7fff, v86
	s_waitcnt vmcnt(2) lgkmcnt(2)
	v_and_b32_e32 v98, 0x7fff, v87
	s_mov_b32 s15, -1
	s_and_not1_b32 vcc_lo, exec_lo, s35
	v_cmp_lt_u16_e64 s13, 0x7c00, v97
	s_delay_alu instid0(VALU_DEP_2) | instskip(NEXT) | instid1(VALU_DEP_1)
	v_cmp_gt_u16_e64 s14, 0x7c01, v98
                                        ; implicit-def: $vgpr97
	s_and_b32 s36, s13, s14
	s_delay_alu instid0(SALU_CYCLE_1)
	s_xor_b32 s36, s36, -1
	s_cbranch_vccnz .LBB4_1423
; %bb.1418:                             ;   in Loop: Header=BB4_1357 Depth=3
	v_mov_b32_e32 v97, v87
	s_and_saveexec_b32 s37, s36
	s_cbranch_execz .LBB4_1422
; %bb.1419:                             ;   in Loop: Header=BB4_1357 Depth=3
	v_mov_b32_e32 v97, v86
	s_or_b32 s15, s13, s14
	s_delay_alu instid0(SALU_CYCLE_1)
	s_and_saveexec_b32 s38, s15
; %bb.1420:                             ;   in Loop: Header=BB4_1357 Depth=3
	v_cmp_gt_f16_e64 s15, v86, v87
	v_cmp_lt_u16_e32 vcc_lo, 0x7c00, v98
	s_delay_alu instid0(VALU_DEP_2)
	v_cndmask_b32_e64 v97, v87, v86, s15
	s_and_b32 s15, s13, vcc_lo
	s_delay_alu instid0(VALU_DEP_1) | instid1(SALU_CYCLE_1)
	v_cndmask_b32_e64 v97, v97, 0x7fff, s15
; %bb.1421:                             ;   in Loop: Header=BB4_1357 Depth=3
	s_or_b32 exec_lo, exec_lo, s38
.LBB4_1422:                             ;   in Loop: Header=BB4_1357 Depth=3
	s_delay_alu instid0(SALU_CYCLE_1)
	s_or_b32 exec_lo, exec_lo, s37
	s_mov_b32 s15, 0
.LBB4_1423:                             ;   in Loop: Header=BB4_1357 Depth=3
	s_delay_alu instid0(SALU_CYCLE_1)
	s_and_not1_b32 vcc_lo, exec_lo, s15
	s_cbranch_vccnz .LBB4_1429
; %bb.1424:                             ;   in Loop: Header=BB4_1357 Depth=3
	s_and_saveexec_b32 s15, s36
	s_cbranch_execz .LBB4_1428
; %bb.1425:                             ;   in Loop: Header=BB4_1357 Depth=3
	s_or_b32 s14, s13, s14
	s_delay_alu instid0(SALU_CYCLE_1)
	s_and_saveexec_b32 s36, s14
; %bb.1426:                             ;   in Loop: Header=BB4_1357 Depth=3
	v_cmp_gt_f16_e64 s14, v86, v87
	v_cmp_lt_u16_e32 vcc_lo, 0x7c00, v98
	s_delay_alu instid0(VALU_DEP_2)
	v_cndmask_b32_e64 v86, v86, v87, s14
	s_and_b32 s13, s13, vcc_lo
	s_delay_alu instid0(VALU_DEP_1) | instid1(SALU_CYCLE_1)
	v_cndmask_b32_e64 v86, v86, 0x7fff, s13
; %bb.1427:                             ;   in Loop: Header=BB4_1357 Depth=3
	s_or_b32 exec_lo, exec_lo, s36
	s_delay_alu instid0(VALU_DEP_1)
	v_mov_b32_e32 v87, v86
.LBB4_1428:                             ;   in Loop: Header=BB4_1357 Depth=3
	s_or_b32 exec_lo, exec_lo, s15
	s_delay_alu instid0(VALU_DEP_1)
	v_mov_b32_e32 v97, v87
.LBB4_1429:                             ;   in Loop: Header=BB4_1357 Depth=3
	v_and_b32_e32 v86, 0x7fff, v81
	s_waitcnt vmcnt(1) lgkmcnt(1)
	v_and_b32_e32 v87, 0x7fff, v84
	s_mov_b32 s15, -1
	s_and_not1_b32 vcc_lo, exec_lo, s35
	v_cmp_lt_u16_e64 s13, 0x7c00, v86
	s_delay_alu instid0(VALU_DEP_2) | instskip(NEXT) | instid1(VALU_DEP_1)
	v_cmp_gt_u16_e64 s14, 0x7c01, v87
                                        ; implicit-def: $vgpr86
	s_and_b32 s36, s13, s14
	s_delay_alu instid0(SALU_CYCLE_1)
	s_xor_b32 s36, s36, -1
	s_cbranch_vccnz .LBB4_1435
; %bb.1430:                             ;   in Loop: Header=BB4_1357 Depth=3
	v_mov_b32_e32 v86, v84
	s_and_saveexec_b32 s37, s36
	s_cbranch_execz .LBB4_1434
; %bb.1431:                             ;   in Loop: Header=BB4_1357 Depth=3
	v_mov_b32_e32 v86, v81
	s_or_b32 s15, s13, s14
	s_delay_alu instid0(SALU_CYCLE_1)
	s_and_saveexec_b32 s38, s15
; %bb.1432:                             ;   in Loop: Header=BB4_1357 Depth=3
	v_cmp_gt_f16_e64 s15, v81, v84
	v_cmp_lt_u16_e32 vcc_lo, 0x7c00, v87
	s_delay_alu instid0(VALU_DEP_2)
	v_cndmask_b32_e64 v86, v84, v81, s15
	s_and_b32 s15, s13, vcc_lo
	s_delay_alu instid0(VALU_DEP_1) | instid1(SALU_CYCLE_1)
	v_cndmask_b32_e64 v86, v86, 0x7fff, s15
; %bb.1433:                             ;   in Loop: Header=BB4_1357 Depth=3
	s_or_b32 exec_lo, exec_lo, s38
.LBB4_1434:                             ;   in Loop: Header=BB4_1357 Depth=3
	s_delay_alu instid0(SALU_CYCLE_1)
	s_or_b32 exec_lo, exec_lo, s37
	s_mov_b32 s15, 0
.LBB4_1435:                             ;   in Loop: Header=BB4_1357 Depth=3
	s_delay_alu instid0(SALU_CYCLE_1)
	s_and_not1_b32 vcc_lo, exec_lo, s15
	s_cbranch_vccnz .LBB4_1441
; %bb.1436:                             ;   in Loop: Header=BB4_1357 Depth=3
	s_and_saveexec_b32 s15, s36
	s_cbranch_execz .LBB4_1440
; %bb.1437:                             ;   in Loop: Header=BB4_1357 Depth=3
	s_or_b32 s14, s13, s14
	s_delay_alu instid0(SALU_CYCLE_1)
	s_and_saveexec_b32 s36, s14
; %bb.1438:                             ;   in Loop: Header=BB4_1357 Depth=3
	v_cmp_gt_f16_e64 s14, v81, v84
	v_cmp_lt_u16_e32 vcc_lo, 0x7c00, v87
	s_delay_alu instid0(VALU_DEP_2)
	v_cndmask_b32_e64 v81, v81, v84, s14
	s_and_b32 s13, s13, vcc_lo
	s_delay_alu instid0(VALU_DEP_1) | instid1(SALU_CYCLE_1)
	v_cndmask_b32_e64 v81, v81, 0x7fff, s13
; %bb.1439:                             ;   in Loop: Header=BB4_1357 Depth=3
	s_or_b32 exec_lo, exec_lo, s36
	s_delay_alu instid0(VALU_DEP_1)
	v_mov_b32_e32 v84, v81
.LBB4_1440:                             ;   in Loop: Header=BB4_1357 Depth=3
	s_or_b32 exec_lo, exec_lo, s15
	s_delay_alu instid0(VALU_DEP_1)
	v_mov_b32_e32 v86, v84
.LBB4_1441:                             ;   in Loop: Header=BB4_1357 Depth=3
	v_and_b32_e32 v84, 0x7fff, v21
	s_waitcnt vmcnt(0) lgkmcnt(0)
	v_and_b32_e32 v81, 0x7fff, v22
	s_mov_b32 s15, -1
	s_and_not1_b32 vcc_lo, exec_lo, s35
	v_cmp_lt_u16_e64 s13, 0x7c00, v84
	s_delay_alu instid0(VALU_DEP_2) | instskip(NEXT) | instid1(VALU_DEP_1)
	v_cmp_gt_u16_e64 s14, 0x7c01, v81
                                        ; implicit-def: $vgpr84
	s_and_b32 s36, s13, s14
	s_delay_alu instid0(SALU_CYCLE_1)
	s_xor_b32 s36, s36, -1
	s_cbranch_vccnz .LBB4_1447
; %bb.1442:                             ;   in Loop: Header=BB4_1357 Depth=3
	v_mov_b32_e32 v84, v22
	s_and_saveexec_b32 s37, s36
	s_cbranch_execz .LBB4_1446
; %bb.1443:                             ;   in Loop: Header=BB4_1357 Depth=3
	v_mov_b32_e32 v84, v21
	s_or_b32 s15, s13, s14
	s_delay_alu instid0(SALU_CYCLE_1)
	s_and_saveexec_b32 s38, s15
; %bb.1444:                             ;   in Loop: Header=BB4_1357 Depth=3
	v_cmp_gt_f16_e64 s15, v21, v22
	v_cmp_lt_u16_e32 vcc_lo, 0x7c00, v81
	s_delay_alu instid0(VALU_DEP_2)
	v_cndmask_b32_e64 v84, v22, v21, s15
	s_and_b32 s15, s13, vcc_lo
	s_delay_alu instid0(VALU_DEP_1) | instid1(SALU_CYCLE_1)
	v_cndmask_b32_e64 v84, v84, 0x7fff, s15
; %bb.1445:                             ;   in Loop: Header=BB4_1357 Depth=3
	s_or_b32 exec_lo, exec_lo, s38
.LBB4_1446:                             ;   in Loop: Header=BB4_1357 Depth=3
	s_delay_alu instid0(SALU_CYCLE_1)
	s_or_b32 exec_lo, exec_lo, s37
	s_mov_b32 s15, 0
.LBB4_1447:                             ;   in Loop: Header=BB4_1357 Depth=3
	s_delay_alu instid0(SALU_CYCLE_1)
	s_and_not1_b32 vcc_lo, exec_lo, s15
	s_cbranch_vccnz .LBB4_1356
; %bb.1448:                             ;   in Loop: Header=BB4_1357 Depth=3
	s_and_saveexec_b32 s15, s36
	s_cbranch_execz .LBB4_1355
; %bb.1449:                             ;   in Loop: Header=BB4_1357 Depth=3
	s_or_b32 s14, s13, s14
	s_delay_alu instid0(SALU_CYCLE_1)
	s_and_saveexec_b32 s36, s14
	s_cbranch_execz .LBB4_1354
; %bb.1450:                             ;   in Loop: Header=BB4_1357 Depth=3
	v_cmp_gt_f16_e64 s14, v21, v22
	v_cmp_lt_u16_e32 vcc_lo, 0x7c00, v81
	s_delay_alu instid0(VALU_DEP_2)
	v_cndmask_b32_e64 v21, v21, v22, s14
	s_and_b32 s13, s13, vcc_lo
	s_delay_alu instid0(VALU_DEP_1) | instid1(SALU_CYCLE_1)
	v_cndmask_b32_e64 v21, v21, 0x7fff, s13
	s_branch .LBB4_1354
.LBB4_1451:                             ;   in Loop: Header=BB4_961 Depth=2
	s_or_b32 exec_lo, exec_lo, s34
.LBB4_1452:                             ;   in Loop: Header=BB4_961 Depth=2
	s_delay_alu instid0(SALU_CYCLE_1) | instskip(SKIP_2) | instid1(VALU_DEP_1)
	s_or_b32 exec_lo, exec_lo, s31
	v_lshlrev_b32_e32 v8, 9, v20
	s_mov_b32 s31, exec_lo
	v_cmpx_ne_u32_e64 v17, v8
	s_cbranch_execz .LBB4_1471
; %bb.1453:                             ;   in Loop: Header=BB4_961 Depth=2
	v_ashrrev_i32_e32 v9, 31, v18
	v_lshlrev_b32_e32 v10, 5, v19
	s_delay_alu instid0(VALU_DEP_2) | instskip(NEXT) | instid1(VALU_DEP_1)
	v_lshrrev_b32_e32 v9, 27, v9
	v_add_nc_u32_e32 v9, v18, v9
	s_delay_alu instid0(VALU_DEP_1) | instskip(NEXT) | instid1(VALU_DEP_1)
	v_and_b32_e32 v9, 0xffffffe0, v9
	v_sub_nc_u32_e32 v9, v18, v9
	s_delay_alu instid0(VALU_DEP_1) | instskip(NEXT) | instid1(VALU_DEP_1)
	v_sub_nc_u32_e32 v9, v9, v10
	v_ashrrev_i32_e32 v10, 31, v9
	s_delay_alu instid0(VALU_DEP_1) | instskip(NEXT) | instid1(VALU_DEP_1)
	v_lshrrev_b32_e32 v10, 27, v10
	v_add_nc_u32_e32 v10, v9, v10
	s_delay_alu instid0(VALU_DEP_1) | instskip(SKIP_1) | instid1(VALU_DEP_2)
	v_and_b32_e32 v11, 0x7fffffe0, v10
	v_lshlrev_b32_e32 v10, 1, v10
	v_sub_nc_u32_e32 v9, v9, v11
	s_delay_alu instid0(VALU_DEP_2) | instskip(NEXT) | instid1(VALU_DEP_2)
	v_and_b32_e32 v10, 0xffffffc0, v10
	v_lshlrev_b32_e32 v9, 1, v9
	s_delay_alu instid0(VALU_DEP_1) | instskip(NEXT) | instid1(VALU_DEP_1)
	v_add3_u32 v8, v10, v9, v8
	v_sub_nc_u32_e32 v17, v17, v8
	s_delay_alu instid0(VALU_DEP_1)
	v_cmp_lt_i32_e32 vcc_lo, 1, v17
	s_and_b32 exec_lo, exec_lo, vcc_lo
	s_cbranch_execz .LBB4_1471
; %bb.1454:                             ;   in Loop: Header=BB4_961 Depth=2
	s_cbranch_execnz .LBB4_3008
; %bb.1455:                             ;   in Loop: Header=BB4_961 Depth=2
	ds_load_b128 v[9:12], v0
	v_add_nc_u32_e32 v13, v8, v16
	s_bitcmp1_b32 s30, 0
	s_mov_b32 s34, 0
	s_cselect_b32 s35, -1, 0
	s_delay_alu instid0(VALU_DEP_1) | instskip(SKIP_2) | instid1(VALU_DEP_2)
	v_ashrrev_i32_e32 v14, 31, v13
	s_waitcnt lgkmcnt(0)
	v_add_co_u32 v8, vcc_lo, v9, v13
	v_add_co_ci_u32_e32 v9, vcc_lo, v10, v14, vcc_lo
	v_add_co_u32 v10, vcc_lo, v11, v13
	v_add_co_ci_u32_e32 v11, vcc_lo, v12, v14, vcc_lo
	s_delay_alu instid0(VALU_DEP_3) | instskip(NEXT) | instid1(VALU_DEP_2)
	v_dual_mov_b32 v13, v9 :: v_dual_mov_b32 v12, v8
	v_dual_mov_b32 v15, v11 :: v_dual_mov_b32 v14, v10
.LBB4_1456:                             ;   Parent Loop BB4_51 Depth=1
                                        ;     Parent Loop BB4_961 Depth=2
                                        ; =>    This Loop Header: Depth=3
                                        ;         Child Loop BB4_1469 Depth 4
	flat_load_u16 v16, v[12:13] slc dlc
	flat_load_u16 v19, v[14:15] slc dlc
	s_mov_b32 s15, -1
	s_and_b32 vcc_lo, exec_lo, s35
	s_waitcnt vmcnt(1) lgkmcnt(1)
	v_and_b32_e32 v18, 0x7fff, v16
	s_waitcnt vmcnt(0) lgkmcnt(0)
	v_and_b32_e32 v20, 0x7fff, v19
	s_delay_alu instid0(VALU_DEP_2) | instskip(NEXT) | instid1(VALU_DEP_2)
	v_cmp_lt_u16_e64 s13, 0x7c00, v18
	v_cmp_gt_u16_e64 s14, 0x7c01, v20
                                        ; implicit-def: $vgpr18
	s_delay_alu instid0(VALU_DEP_1) | instskip(NEXT) | instid1(SALU_CYCLE_1)
	s_and_b32 s36, s13, s14
	s_xor_b32 s36, s36, -1
	s_cbranch_vccz .LBB4_1462
; %bb.1457:                             ;   in Loop: Header=BB4_1456 Depth=3
	v_mov_b32_e32 v18, v19
	s_and_saveexec_b32 s37, s36
	s_cbranch_execz .LBB4_1461
; %bb.1458:                             ;   in Loop: Header=BB4_1456 Depth=3
	v_mov_b32_e32 v18, v16
	s_or_b32 s15, s13, s14
	s_delay_alu instid0(SALU_CYCLE_1)
	s_and_saveexec_b32 s38, s15
; %bb.1459:                             ;   in Loop: Header=BB4_1456 Depth=3
	v_cmp_gt_f16_e64 s15, v16, v19
	v_cmp_lt_u16_e32 vcc_lo, 0x7c00, v20
	s_delay_alu instid0(VALU_DEP_2)
	v_cndmask_b32_e64 v18, v19, v16, s15
	s_and_b32 s15, s13, vcc_lo
	s_delay_alu instid0(VALU_DEP_1) | instid1(SALU_CYCLE_1)
	v_cndmask_b32_e64 v18, v18, 0x7fff, s15
; %bb.1460:                             ;   in Loop: Header=BB4_1456 Depth=3
	s_or_b32 exec_lo, exec_lo, s38
.LBB4_1461:                             ;   in Loop: Header=BB4_1456 Depth=3
	s_delay_alu instid0(SALU_CYCLE_1)
	s_or_b32 exec_lo, exec_lo, s37
	s_mov_b32 s15, 0
.LBB4_1462:                             ;   in Loop: Header=BB4_1456 Depth=3
	s_delay_alu instid0(SALU_CYCLE_1)
	s_and_not1_b32 vcc_lo, exec_lo, s15
	s_cbranch_vccnz .LBB4_1468
; %bb.1463:                             ;   in Loop: Header=BB4_1456 Depth=3
	s_and_saveexec_b32 s15, s36
	s_cbranch_execz .LBB4_1467
; %bb.1464:                             ;   in Loop: Header=BB4_1456 Depth=3
	s_or_b32 s14, s13, s14
	s_delay_alu instid0(SALU_CYCLE_1)
	s_and_saveexec_b32 s36, s14
; %bb.1465:                             ;   in Loop: Header=BB4_1456 Depth=3
	v_cmp_gt_f16_e64 s14, v16, v19
	v_cmp_lt_u16_e32 vcc_lo, 0x7c00, v20
	s_delay_alu instid0(VALU_DEP_2)
	v_cndmask_b32_e64 v16, v16, v19, s14
	s_and_b32 s13, s13, vcc_lo
	s_delay_alu instid0(VALU_DEP_1) | instid1(SALU_CYCLE_1)
	v_cndmask_b32_e64 v16, v16, 0x7fff, s13
; %bb.1466:                             ;   in Loop: Header=BB4_1456 Depth=3
	s_or_b32 exec_lo, exec_lo, s36
	s_delay_alu instid0(VALU_DEP_1)
	v_mov_b32_e32 v19, v16
.LBB4_1467:                             ;   in Loop: Header=BB4_1456 Depth=3
	s_or_b32 exec_lo, exec_lo, s15
	s_delay_alu instid0(VALU_DEP_1)
	v_mov_b32_e32 v18, v19
.LBB4_1468:                             ;   in Loop: Header=BB4_1456 Depth=3
	s_mov_b64 s[14:15], 0
	s_mov_b32 s13, -1
.LBB4_1469:                             ;   Parent Loop BB4_51 Depth=1
                                        ;     Parent Loop BB4_961 Depth=2
                                        ;       Parent Loop BB4_1456 Depth=3
                                        ; =>      This Inner Loop Header: Depth=4
	s_cmp_eq_u32 s14, 0
	v_cndmask_b32_e64 v16, 0, 1, s13
	s_cselect_b32 vcc_lo, -1, 0
	s_cmp_eq_u32 s14, 1
	s_cselect_b32 s13, -1, 0
	s_delay_alu instid0(SALU_CYCLE_1) | instskip(SKIP_1) | instid1(VALU_DEP_2)
	v_cndmask_b32_e64 v19, v8, v10, s13
	v_cndmask_b32_e64 v20, v9, v11, s13
	v_add_co_u32 v21, s14, v19, 64
	s_delay_alu instid0(VALU_DEP_1) | instskip(SKIP_1) | instid1(VALU_DEP_3)
	v_add_co_ci_u32_e64 v22, s14, 0, v20, s14
	v_cmp_ne_u32_e64 s14, 1, v16
	v_cndmask_b32_e64 v10, v10, v21, s13
	v_cndmask_b32_e32 v8, v8, v21, vcc_lo
	s_delay_alu instid0(VALU_DEP_4)
	v_cndmask_b32_e64 v11, v11, v22, s13
	v_cndmask_b32_e32 v9, v9, v22, vcc_lo
	s_mov_b32 s13, 0
	s_and_b32 vcc_lo, exec_lo, s14
	s_mov_b64 s[14:15], 1
	flat_store_b16 v[19:20], v18 glc slc dlc
	s_cbranch_vccz .LBB4_1469
; %bb.1470:                             ;   in Loop: Header=BB4_1456 Depth=3
	v_add_co_u32 v12, vcc_lo, v12, v134
	v_add_co_ci_u32_e32 v13, vcc_lo, v13, v135, vcc_lo
	v_add_co_u32 v14, vcc_lo, v14, v134
	v_sub_nc_u32_e32 v17, v17, v118
	v_add_co_ci_u32_e32 v15, vcc_lo, v15, v135, vcc_lo
	v_add_co_u32 v8, vcc_lo, v8, v130
	v_add_co_ci_u32_e32 v9, vcc_lo, v9, v133, vcc_lo
	s_delay_alu instid0(VALU_DEP_4) | instskip(SKIP_1) | instid1(VALU_DEP_1)
	v_cmp_gt_i32_e32 vcc_lo, 2, v17
	v_add_co_u32 v10, s13, v10, v130
	v_add_co_ci_u32_e64 v11, s13, v11, v133, s13
	s_or_b32 s34, vcc_lo, s34
	s_delay_alu instid0(SALU_CYCLE_1)
	s_and_not1_b32 exec_lo, exec_lo, s34
	s_cbranch_execnz .LBB4_1456
.LBB4_1471:                             ;   in Loop: Header=BB4_961 Depth=2
	s_or_b32 exec_lo, exec_lo, s31
.LBB4_1472:                             ;   in Loop: Header=BB4_961 Depth=2
	s_delay_alu instid0(SALU_CYCLE_1)
	s_or_b32 exec_lo, exec_lo, s16
	s_mov_b32 s13, 0
.LBB4_1473:                             ;   in Loop: Header=BB4_961 Depth=2
	s_delay_alu instid0(SALU_CYCLE_1)
	s_and_b32 vcc_lo, exec_lo, s13
	s_cbranch_vccz .LBB4_1904
; %bb.1474:                             ;   in Loop: Header=BB4_961 Depth=2
	s_mov_b32 s13, -1
	s_and_saveexec_b32 s14, s12
	s_cbranch_execz .LBB4_1476
; %bb.1475:                             ;   in Loop: Header=BB4_961 Depth=2
	ds_load_b32 v8, v0 offset:720
	s_waitcnt lgkmcnt(0)
	v_and_b32_e32 v8, 15, v8
	s_delay_alu instid0(VALU_DEP_1)
	v_cmp_eq_u32_e32 vcc_lo, 0, v8
	s_or_not1_b32 s13, vcc_lo, exec_lo
.LBB4_1476:                             ;   in Loop: Header=BB4_961 Depth=2
	s_or_b32 exec_lo, exec_lo, s14
	s_and_saveexec_b32 s14, s5
	s_cbranch_execz .LBB4_1478
; %bb.1477:                             ;   in Loop: Header=BB4_961 Depth=2
	ds_load_b32 v8, v0 offset:784
	s_waitcnt lgkmcnt(0)
	v_and_b32_e32 v8, 15, v8
	s_delay_alu instid0(VALU_DEP_1) | instskip(SKIP_3) | instid1(SALU_CYCLE_1)
	v_cmp_eq_u32_e32 vcc_lo, 0, v8
	s_and_b32 s15, s13, vcc_lo
	s_and_not1_b32 s13, s13, exec_lo
	s_and_b32 s15, s15, exec_lo
	s_or_b32 s13, s13, s15
.LBB4_1478:                             ;   in Loop: Header=BB4_961 Depth=2
	s_or_b32 exec_lo, exec_lo, s14
	s_xor_b32 s13, s13, -1
	v_mov_b32_e32 v14, 0
	v_cndmask_b32_e64 v8, 0, 1, s13
	;;#ASMSTART
	;;#ASMEND
	s_delay_alu instid0(VALU_DEP_1)
	v_cmp_ne_u32_e32 vcc_lo, 0, v8
	s_mov_b32 s13, -1
	s_cbranch_vccz .LBB4_1480
; %bb.1479:                             ;   in Loop: Header=BB4_961 Depth=2
	v_dual_mov_b32 v15, v0 :: v_dual_mov_b32 v8, v103
	s_branch .LBB4_1783
.LBB4_1480:                             ;   in Loop: Header=BB4_961 Depth=2
	v_ashrrev_i32_e32 v8, 31, v2
	s_mov_b32 s16, exec_lo
	s_delay_alu instid0(VALU_DEP_1) | instskip(NEXT) | instid1(VALU_DEP_1)
	v_lshrrev_b32_e32 v8, 22, v8
	v_add_nc_u32_e32 v8, v2, v8
	s_delay_alu instid0(VALU_DEP_1) | instskip(NEXT) | instid1(VALU_DEP_1)
	v_ashrrev_i32_e32 v98, 10, v8
	v_sub_nc_u32_e32 v81, v98, v103
	s_delay_alu instid0(VALU_DEP_1)
	v_cmpx_lt_i32_e32 0, v81
	s_cbranch_execz .LBB4_1677
; %bb.1481:                             ;   in Loop: Header=BB4_961 Depth=2
	s_cbranch_execnz .LBB4_2974
; %bb.1482:                             ;   in Loop: Header=BB4_961 Depth=2
	ds_load_b128 v[8:11], v0
	ds_load_b64 v[12:13], v0
	s_bitcmp1_b32 s30, 0
	s_mov_b32 s31, 0
	s_cselect_b32 s34, -1, 0
	s_waitcnt lgkmcnt(1)
	v_add_co_u32 v84, vcc_lo, v8, v144
	v_add_co_ci_u32_e32 v85, vcc_lo, v9, v145, vcc_lo
	v_add_co_u32 v86, vcc_lo, v10, v144
	v_add_co_ci_u32_e32 v87, vcc_lo, v11, v145, vcc_lo
	s_waitcnt lgkmcnt(0)
	v_add_co_u32 v96, vcc_lo, v12, v144
	v_add_co_ci_u32_e32 v97, vcc_lo, v13, v145, vcc_lo
	s_branch .LBB4_1486
.LBB4_1483:                             ;   in Loop: Header=BB4_1486 Depth=3
	s_or_b32 exec_lo, exec_lo, s35
	s_delay_alu instid0(VALU_DEP_1)
	v_mov_b32_e32 v160, v150
.LBB4_1484:                             ;   in Loop: Header=BB4_1486 Depth=3
	s_or_b32 exec_lo, exec_lo, s15
	s_delay_alu instid0(VALU_DEP_1)
	v_mov_b32_e32 v14, v160
.LBB4_1485:                             ;   in Loop: Header=BB4_1486 Depth=3
	v_lshlrev_b32_e32 v11, 16, v16
	v_and_b32_e32 v16, 0xffff, v99
	v_lshlrev_b32_e32 v19, 16, v19
	v_and_b32_e32 v18, 0xffff, v18
	;; [unrolled: 2-line block ×3, first 2 shown]
	v_or_b32_e32 v11, v11, v16
	v_lshlrev_b32_e32 v8, 16, v8
	v_or3_b32 v19, v19, v18, 0
	v_and_b32_e32 v18, 0xffff, v23
	v_lshlrev_b32_e32 v10, 16, v10
	v_and_b32_e32 v13, 0xffff, v13
	v_lshlrev_b32_e32 v20, 16, v20
	v_and_b32_e32 v17, 0xffff, v17
	v_or3_b32 v16, 0, 0, v11
	v_or_b32_e32 v11, v22, v21
	v_lshlrev_b32_e32 v12, 16, v12
	v_and_b32_e32 v9, 0xffff, v9
	v_or_b32_e32 v8, v8, v18
	v_lshlrev_b32_e32 v14, 16, v14
	v_and_b32_e32 v15, 0xffff, v15
	v_or_b32_e32 v10, v10, v13
	v_add_co_u32 v84, vcc_lo, v84, v146
	v_or3_b32 v17, v20, v17, 0
	v_or3_b32 v18, 0, 0, v11
	v_sub_nc_u32_e32 v81, v81, v113
	v_or3_b32 v9, v12, v9, 0
	v_or3_b32 v8, 0, 0, v8
	;; [unrolled: 1-line block ×4, first 2 shown]
	v_add_co_ci_u32_e32 v85, vcc_lo, v85, v147, vcc_lo
	v_add_co_u32 v86, vcc_lo, v86, v146
	v_add_co_ci_u32_e32 v87, vcc_lo, v87, v147, vcc_lo
	s_clause 0x1
	global_store_b128 v[96:97], v[16:19], off glc slc dlc
	global_store_b128 v[96:97], v[8:11], off offset:512 glc slc dlc
	v_cmp_gt_i32_e32 vcc_lo, 1, v81
	v_add_co_u32 v96, s13, v96, v146
	s_delay_alu instid0(VALU_DEP_1) | instskip(SKIP_1) | instid1(SALU_CYCLE_1)
	v_add_co_ci_u32_e64 v97, s13, v97, v147, s13
	s_or_b32 s31, vcc_lo, s31
	s_and_not1_b32 exec_lo, exec_lo, s31
	s_cbranch_execz .LBB4_1676
.LBB4_1486:                             ;   Parent Loop BB4_51 Depth=1
                                        ;     Parent Loop BB4_961 Depth=2
                                        ; =>    This Inner Loop Header: Depth=3
	global_load_b128 v[20:23], v[84:85], off slc dlc
	global_load_b128 v[16:19], v[86:87], off slc dlc
	global_load_b128 v[12:15], v[84:85], off offset:512 slc dlc
	global_load_b128 v[8:11], v[86:87], off offset:512 slc dlc
	s_mov_b32 s15, -1
	s_and_b32 vcc_lo, exec_lo, s34
	s_waitcnt vmcnt(3)
	v_and_b32_e32 v99, 0x7fff, v20
	s_waitcnt vmcnt(2)
	v_and_b32_e32 v150, 0x7fff, v16
	v_perm_b32 v151, v16, v20, 0x5040100
	s_delay_alu instid0(VALU_DEP_3) | instskip(NEXT) | instid1(VALU_DEP_3)
	v_cmp_lt_u16_e64 s13, 0x7c00, v99
	v_cmp_gt_u16_e64 s14, 0x7c01, v150
                                        ; implicit-def: $vgpr99
	s_delay_alu instid0(VALU_DEP_1) | instskip(NEXT) | instid1(SALU_CYCLE_1)
	s_and_b32 s35, s13, s14
	s_xor_b32 s35, s35, -1
	s_cbranch_vccz .LBB4_1492
; %bb.1487:                             ;   in Loop: Header=BB4_1486 Depth=3
	v_mov_b32_e32 v99, v16
	s_and_saveexec_b32 s36, s35
	s_cbranch_execz .LBB4_1491
; %bb.1488:                             ;   in Loop: Header=BB4_1486 Depth=3
	v_mov_b32_e32 v99, v20
	s_or_b32 s15, s13, s14
	s_delay_alu instid0(SALU_CYCLE_1)
	s_and_saveexec_b32 s37, s15
; %bb.1489:                             ;   in Loop: Header=BB4_1486 Depth=3
	v_lshrrev_b32_e32 v99, 16, v151
	v_cmp_lt_u16_e64 vcc_lo, 0x7c00, v150
	s_delay_alu instid0(VALU_DEP_2) | instskip(NEXT) | instid1(VALU_DEP_1)
	v_cmp_gt_f16_e64 s15, v151, v99
	v_cndmask_b32_e64 v99, v99, v151, s15
	s_delay_alu instid0(VALU_DEP_3)
	s_and_b32 s15, s13, vcc_lo
	s_delay_alu instid0(VALU_DEP_1) | instid1(SALU_CYCLE_1)
	v_cndmask_b32_e64 v99, v99, 0x7fff, s15
; %bb.1490:                             ;   in Loop: Header=BB4_1486 Depth=3
	s_or_b32 exec_lo, exec_lo, s37
.LBB4_1491:                             ;   in Loop: Header=BB4_1486 Depth=3
	s_delay_alu instid0(SALU_CYCLE_1)
	s_or_b32 exec_lo, exec_lo, s36
	s_mov_b32 s15, 0
.LBB4_1492:                             ;   in Loop: Header=BB4_1486 Depth=3
	s_delay_alu instid0(SALU_CYCLE_1)
	s_and_not1_b32 vcc_lo, exec_lo, s15
	s_cbranch_vccnz .LBB4_1498
; %bb.1493:                             ;   in Loop: Header=BB4_1486 Depth=3
	v_mov_b32_e32 v99, v16
	s_and_saveexec_b32 s15, s35
	s_cbranch_execz .LBB4_1497
; %bb.1494:                             ;   in Loop: Header=BB4_1486 Depth=3
	v_mov_b32_e32 v99, v20
	s_or_b32 s14, s13, s14
	s_delay_alu instid0(SALU_CYCLE_1)
	s_and_saveexec_b32 s35, s14
; %bb.1495:                             ;   in Loop: Header=BB4_1486 Depth=3
	v_lshrrev_b32_e32 v99, 16, v151
	v_cmp_lt_u16_e64 vcc_lo, 0x7c00, v150
	s_delay_alu instid0(VALU_DEP_2) | instskip(NEXT) | instid1(VALU_DEP_2)
	v_cmp_gt_f16_e64 s14, v151, v99
	s_and_b32 s13, s13, vcc_lo
	s_delay_alu instid0(VALU_DEP_1) | instskip(NEXT) | instid1(VALU_DEP_1)
	v_cndmask_b32_e64 v99, v151, v99, s14
	v_cndmask_b32_e64 v99, v99, 0x7fff, s13
; %bb.1496:                             ;   in Loop: Header=BB4_1486 Depth=3
	s_or_b32 exec_lo, exec_lo, s35
.LBB4_1497:                             ;   in Loop: Header=BB4_1486 Depth=3
	s_delay_alu instid0(SALU_CYCLE_1)
	s_or_b32 exec_lo, exec_lo, s15
.LBB4_1498:                             ;   in Loop: Header=BB4_1486 Depth=3
	v_mov_b32_e32 v161, v20
	v_mov_b32_e32 v162, v16
	;; [unrolled: 1-line block ×4, first 2 shown]
	s_mov_b32 s15, -1
	v_lshrrev_b32_e32 v150, 16, v161
	v_lshrrev_b32_e32 v160, 16, v162
	s_and_b32 vcc_lo, exec_lo, s34
	s_delay_alu instid0(VALU_DEP_2) | instskip(NEXT) | instid1(VALU_DEP_2)
	v_and_b32_e32 v16, 0x7fff, v150
	v_and_b32_e32 v151, 0x7fff, v160
	v_perm_b32 v17, v162, v161, 0x7060302
	s_delay_alu instid0(VALU_DEP_3) | instskip(NEXT) | instid1(VALU_DEP_3)
	v_cmp_lt_u16_e64 s13, 0x7c00, v16
	v_cmp_gt_u16_e64 s14, 0x7c01, v151
                                        ; implicit-def: $vgpr16
	s_delay_alu instid0(VALU_DEP_1) | instskip(NEXT) | instid1(SALU_CYCLE_1)
	s_and_b32 s35, s13, s14
	s_xor_b32 s35, s35, -1
	s_cbranch_vccz .LBB4_1504
; %bb.1499:                             ;   in Loop: Header=BB4_1486 Depth=3
	v_mov_b32_e32 v16, v160
	s_and_saveexec_b32 s36, s35
	s_cbranch_execz .LBB4_1503
; %bb.1500:                             ;   in Loop: Header=BB4_1486 Depth=3
	v_mov_b32_e32 v16, v150
	s_or_b32 s15, s13, s14
	s_delay_alu instid0(SALU_CYCLE_1)
	s_and_saveexec_b32 s37, s15
; %bb.1501:                             ;   in Loop: Header=BB4_1486 Depth=3
	v_lshrrev_b32_e32 v16, 16, v17
	v_cmp_lt_u16_e64 vcc_lo, 0x7c00, v151
	s_delay_alu instid0(VALU_DEP_2) | instskip(NEXT) | instid1(VALU_DEP_1)
	v_cmp_gt_f16_e64 s15, v17, v16
	v_cndmask_b32_e64 v16, v16, v17, s15
	s_delay_alu instid0(VALU_DEP_3)
	s_and_b32 s15, s13, vcc_lo
	s_delay_alu instid0(VALU_DEP_1) | instid1(SALU_CYCLE_1)
	v_cndmask_b32_e64 v16, v16, 0x7fff, s15
; %bb.1502:                             ;   in Loop: Header=BB4_1486 Depth=3
	s_or_b32 exec_lo, exec_lo, s37
.LBB4_1503:                             ;   in Loop: Header=BB4_1486 Depth=3
	s_delay_alu instid0(SALU_CYCLE_1)
	s_or_b32 exec_lo, exec_lo, s36
	s_mov_b32 s15, 0
.LBB4_1504:                             ;   in Loop: Header=BB4_1486 Depth=3
	s_delay_alu instid0(SALU_CYCLE_1)
	s_and_not1_b32 vcc_lo, exec_lo, s15
	s_cbranch_vccnz .LBB4_1510
; %bb.1505:                             ;   in Loop: Header=BB4_1486 Depth=3
	s_and_saveexec_b32 s15, s35
	s_cbranch_execz .LBB4_1509
; %bb.1506:                             ;   in Loop: Header=BB4_1486 Depth=3
	s_or_b32 s14, s13, s14
	s_delay_alu instid0(SALU_CYCLE_1)
	s_and_saveexec_b32 s35, s14
; %bb.1507:                             ;   in Loop: Header=BB4_1486 Depth=3
	v_lshrrev_b32_e32 v16, 16, v17
	v_cmp_lt_u16_e64 vcc_lo, 0x7c00, v151
	s_delay_alu instid0(VALU_DEP_2) | instskip(NEXT) | instid1(VALU_DEP_2)
	v_cmp_gt_f16_e64 s14, v17, v16
	s_and_b32 s13, s13, vcc_lo
	s_delay_alu instid0(VALU_DEP_1) | instskip(NEXT) | instid1(VALU_DEP_1)
	v_cndmask_b32_e64 v16, v17, v16, s14
	v_cndmask_b32_e64 v150, v16, 0x7fff, s13
; %bb.1508:                             ;   in Loop: Header=BB4_1486 Depth=3
	s_or_b32 exec_lo, exec_lo, s35
	s_delay_alu instid0(VALU_DEP_1)
	v_mov_b32_e32 v160, v150
.LBB4_1509:                             ;   in Loop: Header=BB4_1486 Depth=3
	s_or_b32 exec_lo, exec_lo, s15
	s_delay_alu instid0(VALU_DEP_1)
	v_mov_b32_e32 v16, v160
.LBB4_1510:                             ;   in Loop: Header=BB4_1486 Depth=3
	v_and_b32_e32 v17, 0x7fff, v20
	v_and_b32_e32 v150, 0x7fff, v21
	v_perm_b32 v151, v21, v20, 0x5040100
	s_mov_b32 s15, -1
	s_and_b32 vcc_lo, exec_lo, s34
	v_cmp_lt_u16_e64 s13, 0x7c00, v17
	v_cmp_gt_u16_e64 s14, 0x7c01, v150
                                        ; implicit-def: $vgpr17
	s_delay_alu instid0(VALU_DEP_1) | instskip(NEXT) | instid1(SALU_CYCLE_1)
	s_and_b32 s35, s13, s14
	s_xor_b32 s35, s35, -1
	s_cbranch_vccz .LBB4_1516
; %bb.1511:                             ;   in Loop: Header=BB4_1486 Depth=3
	v_mov_b32_e32 v17, v21
	s_and_saveexec_b32 s36, s35
	s_cbranch_execz .LBB4_1515
; %bb.1512:                             ;   in Loop: Header=BB4_1486 Depth=3
	v_mov_b32_e32 v17, v20
	s_or_b32 s15, s13, s14
	s_delay_alu instid0(SALU_CYCLE_1)
	s_and_saveexec_b32 s37, s15
; %bb.1513:                             ;   in Loop: Header=BB4_1486 Depth=3
	v_lshrrev_b32_e32 v17, 16, v151
	v_cmp_lt_u16_e64 vcc_lo, 0x7c00, v150
	s_delay_alu instid0(VALU_DEP_2) | instskip(NEXT) | instid1(VALU_DEP_1)
	v_cmp_gt_f16_e64 s15, v151, v17
	v_cndmask_b32_e64 v17, v17, v151, s15
	s_delay_alu instid0(VALU_DEP_3)
	s_and_b32 s15, s13, vcc_lo
	s_delay_alu instid0(VALU_DEP_1) | instid1(SALU_CYCLE_1)
	v_cndmask_b32_e64 v17, v17, 0x7fff, s15
; %bb.1514:                             ;   in Loop: Header=BB4_1486 Depth=3
	s_or_b32 exec_lo, exec_lo, s37
.LBB4_1515:                             ;   in Loop: Header=BB4_1486 Depth=3
	s_delay_alu instid0(SALU_CYCLE_1)
	s_or_b32 exec_lo, exec_lo, s36
	s_mov_b32 s15, 0
.LBB4_1516:                             ;   in Loop: Header=BB4_1486 Depth=3
	s_delay_alu instid0(SALU_CYCLE_1)
	s_and_not1_b32 vcc_lo, exec_lo, s15
	s_cbranch_vccnz .LBB4_1522
; %bb.1517:                             ;   in Loop: Header=BB4_1486 Depth=3
	v_mov_b32_e32 v17, v21
	s_and_saveexec_b32 s15, s35
	s_cbranch_execz .LBB4_1521
; %bb.1518:                             ;   in Loop: Header=BB4_1486 Depth=3
	v_mov_b32_e32 v17, v20
	s_or_b32 s14, s13, s14
	s_delay_alu instid0(SALU_CYCLE_1)
	s_and_saveexec_b32 s35, s14
; %bb.1519:                             ;   in Loop: Header=BB4_1486 Depth=3
	v_lshrrev_b32_e32 v17, 16, v151
	v_cmp_lt_u16_e64 vcc_lo, 0x7c00, v150
	s_delay_alu instid0(VALU_DEP_2) | instskip(NEXT) | instid1(VALU_DEP_2)
	v_cmp_gt_f16_e64 s14, v151, v17
	s_and_b32 s13, s13, vcc_lo
	s_delay_alu instid0(VALU_DEP_1) | instskip(NEXT) | instid1(VALU_DEP_1)
	v_cndmask_b32_e64 v17, v151, v17, s14
	v_cndmask_b32_e64 v17, v17, 0x7fff, s13
; %bb.1520:                             ;   in Loop: Header=BB4_1486 Depth=3
	s_or_b32 exec_lo, exec_lo, s35
.LBB4_1521:                             ;   in Loop: Header=BB4_1486 Depth=3
	s_delay_alu instid0(SALU_CYCLE_1)
	s_or_b32 exec_lo, exec_lo, s15
.LBB4_1522:                             ;   in Loop: Header=BB4_1486 Depth=3
	v_lshrrev_b32_e32 v150, 16, v20
	v_lshrrev_b32_e32 v160, 16, v21
	v_perm_b32 v21, v21, v20, 0x7060302
	s_mov_b32 s15, -1
	s_and_b32 vcc_lo, exec_lo, s34
	v_and_b32_e32 v161, 0x7fff, v150
	v_and_b32_e32 v151, 0x7fff, v160
                                        ; implicit-def: $vgpr20
	s_delay_alu instid0(VALU_DEP_2) | instskip(NEXT) | instid1(VALU_DEP_2)
	v_cmp_lt_u16_e64 s13, 0x7c00, v161
	v_cmp_gt_u16_e64 s14, 0x7c01, v151
	s_delay_alu instid0(VALU_DEP_1) | instskip(NEXT) | instid1(SALU_CYCLE_1)
	s_and_b32 s35, s13, s14
	s_xor_b32 s35, s35, -1
	s_cbranch_vccz .LBB4_1528
; %bb.1523:                             ;   in Loop: Header=BB4_1486 Depth=3
	v_mov_b32_e32 v20, v160
	s_and_saveexec_b32 s36, s35
	s_cbranch_execz .LBB4_1527
; %bb.1524:                             ;   in Loop: Header=BB4_1486 Depth=3
	v_mov_b32_e32 v20, v150
	s_or_b32 s15, s13, s14
	s_delay_alu instid0(SALU_CYCLE_1)
	s_and_saveexec_b32 s37, s15
; %bb.1525:                             ;   in Loop: Header=BB4_1486 Depth=3
	v_lshrrev_b32_e32 v20, 16, v21
	v_cmp_lt_u16_e64 vcc_lo, 0x7c00, v151
	s_delay_alu instid0(VALU_DEP_2) | instskip(NEXT) | instid1(VALU_DEP_1)
	v_cmp_gt_f16_e64 s15, v21, v20
	v_cndmask_b32_e64 v20, v20, v21, s15
	s_delay_alu instid0(VALU_DEP_3)
	s_and_b32 s15, s13, vcc_lo
	s_delay_alu instid0(VALU_DEP_1) | instid1(SALU_CYCLE_1)
	v_cndmask_b32_e64 v20, v20, 0x7fff, s15
; %bb.1526:                             ;   in Loop: Header=BB4_1486 Depth=3
	s_or_b32 exec_lo, exec_lo, s37
.LBB4_1527:                             ;   in Loop: Header=BB4_1486 Depth=3
	s_delay_alu instid0(SALU_CYCLE_1)
	s_or_b32 exec_lo, exec_lo, s36
	s_mov_b32 s15, 0
.LBB4_1528:                             ;   in Loop: Header=BB4_1486 Depth=3
	s_delay_alu instid0(SALU_CYCLE_1)
	s_and_not1_b32 vcc_lo, exec_lo, s15
	s_cbranch_vccnz .LBB4_1534
; %bb.1529:                             ;   in Loop: Header=BB4_1486 Depth=3
	s_and_saveexec_b32 s15, s35
	s_cbranch_execz .LBB4_1533
; %bb.1530:                             ;   in Loop: Header=BB4_1486 Depth=3
	s_or_b32 s14, s13, s14
	s_delay_alu instid0(SALU_CYCLE_1)
	s_and_saveexec_b32 s35, s14
; %bb.1531:                             ;   in Loop: Header=BB4_1486 Depth=3
	v_lshrrev_b32_e32 v20, 16, v21
	v_cmp_lt_u16_e64 vcc_lo, 0x7c00, v151
	s_delay_alu instid0(VALU_DEP_2) | instskip(NEXT) | instid1(VALU_DEP_2)
	v_cmp_gt_f16_e64 s14, v21, v20
	s_and_b32 s13, s13, vcc_lo
	s_delay_alu instid0(VALU_DEP_1) | instskip(NEXT) | instid1(VALU_DEP_1)
	v_cndmask_b32_e64 v20, v21, v20, s14
	v_cndmask_b32_e64 v150, v20, 0x7fff, s13
; %bb.1532:                             ;   in Loop: Header=BB4_1486 Depth=3
	s_or_b32 exec_lo, exec_lo, s35
	s_delay_alu instid0(VALU_DEP_1)
	v_mov_b32_e32 v160, v150
.LBB4_1533:                             ;   in Loop: Header=BB4_1486 Depth=3
	s_or_b32 exec_lo, exec_lo, s15
	s_delay_alu instid0(VALU_DEP_1)
	v_mov_b32_e32 v20, v160
.LBB4_1534:                             ;   in Loop: Header=BB4_1486 Depth=3
	v_and_b32_e32 v21, 0x7fff, v22
	v_and_b32_e32 v150, 0x7fff, v18
	v_perm_b32 v151, v18, v22, 0x5040100
	s_mov_b32 s15, -1
	s_and_b32 vcc_lo, exec_lo, s34
	v_cmp_lt_u16_e64 s13, 0x7c00, v21
	v_cmp_gt_u16_e64 s14, 0x7c01, v150
                                        ; implicit-def: $vgpr21
	s_delay_alu instid0(VALU_DEP_1) | instskip(NEXT) | instid1(SALU_CYCLE_1)
	s_and_b32 s35, s13, s14
	s_xor_b32 s35, s35, -1
	s_cbranch_vccz .LBB4_1540
; %bb.1535:                             ;   in Loop: Header=BB4_1486 Depth=3
	v_mov_b32_e32 v21, v18
	s_and_saveexec_b32 s36, s35
	s_cbranch_execz .LBB4_1539
; %bb.1536:                             ;   in Loop: Header=BB4_1486 Depth=3
	v_mov_b32_e32 v21, v22
	s_or_b32 s15, s13, s14
	s_delay_alu instid0(SALU_CYCLE_1)
	s_and_saveexec_b32 s37, s15
; %bb.1537:                             ;   in Loop: Header=BB4_1486 Depth=3
	v_lshrrev_b32_e32 v21, 16, v151
	v_cmp_lt_u16_e64 vcc_lo, 0x7c00, v150
	s_delay_alu instid0(VALU_DEP_2) | instskip(NEXT) | instid1(VALU_DEP_1)
	v_cmp_gt_f16_e64 s15, v151, v21
	v_cndmask_b32_e64 v21, v21, v151, s15
	s_delay_alu instid0(VALU_DEP_3)
	s_and_b32 s15, s13, vcc_lo
	s_delay_alu instid0(VALU_DEP_1) | instid1(SALU_CYCLE_1)
	v_cndmask_b32_e64 v21, v21, 0x7fff, s15
; %bb.1538:                             ;   in Loop: Header=BB4_1486 Depth=3
	s_or_b32 exec_lo, exec_lo, s37
.LBB4_1539:                             ;   in Loop: Header=BB4_1486 Depth=3
	s_delay_alu instid0(SALU_CYCLE_1)
	s_or_b32 exec_lo, exec_lo, s36
	s_mov_b32 s15, 0
.LBB4_1540:                             ;   in Loop: Header=BB4_1486 Depth=3
	s_delay_alu instid0(SALU_CYCLE_1)
	s_and_not1_b32 vcc_lo, exec_lo, s15
	s_cbranch_vccnz .LBB4_1546
; %bb.1541:                             ;   in Loop: Header=BB4_1486 Depth=3
	v_mov_b32_e32 v21, v18
	s_and_saveexec_b32 s15, s35
	s_cbranch_execz .LBB4_1545
; %bb.1542:                             ;   in Loop: Header=BB4_1486 Depth=3
	v_mov_b32_e32 v21, v22
	s_or_b32 s14, s13, s14
	s_delay_alu instid0(SALU_CYCLE_1)
	s_and_saveexec_b32 s35, s14
; %bb.1543:                             ;   in Loop: Header=BB4_1486 Depth=3
	v_lshrrev_b32_e32 v21, 16, v151
	v_cmp_lt_u16_e64 vcc_lo, 0x7c00, v150
	s_delay_alu instid0(VALU_DEP_2) | instskip(NEXT) | instid1(VALU_DEP_2)
	v_cmp_gt_f16_e64 s14, v151, v21
	s_and_b32 s13, s13, vcc_lo
	s_delay_alu instid0(VALU_DEP_1) | instskip(NEXT) | instid1(VALU_DEP_1)
	v_cndmask_b32_e64 v21, v151, v21, s14
	v_cndmask_b32_e64 v21, v21, 0x7fff, s13
; %bb.1544:                             ;   in Loop: Header=BB4_1486 Depth=3
	s_or_b32 exec_lo, exec_lo, s35
.LBB4_1545:                             ;   in Loop: Header=BB4_1486 Depth=3
	s_delay_alu instid0(SALU_CYCLE_1)
	s_or_b32 exec_lo, exec_lo, s15
.LBB4_1546:                             ;   in Loop: Header=BB4_1486 Depth=3
	v_mov_b32_e32 v161, v22
	v_lshrrev_b32_e32 v160, 16, v18
	s_mov_b32 s15, -1
	s_and_b32 vcc_lo, exec_lo, s34
	s_delay_alu instid0(VALU_DEP_2) | instskip(NEXT) | instid1(VALU_DEP_2)
	v_lshrrev_b32_e32 v150, 16, v161
	v_and_b32_e32 v151, 0x7fff, v160
	s_delay_alu instid0(VALU_DEP_2) | instskip(NEXT) | instid1(VALU_DEP_2)
	v_and_b32_e32 v22, 0x7fff, v150
	v_cmp_gt_u16_e64 s14, 0x7c01, v151
	v_perm_b32 v18, v18, v161, 0x7060302
	s_delay_alu instid0(VALU_DEP_3) | instskip(NEXT) | instid1(VALU_DEP_1)
	v_cmp_lt_u16_e64 s13, 0x7c00, v22
                                        ; implicit-def: $vgpr22
	s_and_b32 s35, s13, s14
	s_delay_alu instid0(SALU_CYCLE_1)
	s_xor_b32 s35, s35, -1
	s_cbranch_vccz .LBB4_1552
; %bb.1547:                             ;   in Loop: Header=BB4_1486 Depth=3
	v_mov_b32_e32 v22, v160
	s_and_saveexec_b32 s36, s35
	s_cbranch_execz .LBB4_1551
; %bb.1548:                             ;   in Loop: Header=BB4_1486 Depth=3
	v_mov_b32_e32 v22, v150
	s_or_b32 s15, s13, s14
	s_delay_alu instid0(SALU_CYCLE_1)
	s_and_saveexec_b32 s37, s15
; %bb.1549:                             ;   in Loop: Header=BB4_1486 Depth=3
	v_lshrrev_b32_e32 v22, 16, v18
	v_cmp_lt_u16_e64 vcc_lo, 0x7c00, v151
	s_delay_alu instid0(VALU_DEP_2) | instskip(NEXT) | instid1(VALU_DEP_1)
	v_cmp_gt_f16_e64 s15, v18, v22
	v_cndmask_b32_e64 v22, v22, v18, s15
	s_delay_alu instid0(VALU_DEP_3)
	s_and_b32 s15, s13, vcc_lo
	s_delay_alu instid0(VALU_DEP_1) | instid1(SALU_CYCLE_1)
	v_cndmask_b32_e64 v22, v22, 0x7fff, s15
; %bb.1550:                             ;   in Loop: Header=BB4_1486 Depth=3
	s_or_b32 exec_lo, exec_lo, s37
.LBB4_1551:                             ;   in Loop: Header=BB4_1486 Depth=3
	s_delay_alu instid0(SALU_CYCLE_1)
	s_or_b32 exec_lo, exec_lo, s36
	s_mov_b32 s15, 0
.LBB4_1552:                             ;   in Loop: Header=BB4_1486 Depth=3
	s_delay_alu instid0(SALU_CYCLE_1)
	s_and_not1_b32 vcc_lo, exec_lo, s15
	s_cbranch_vccnz .LBB4_1558
; %bb.1553:                             ;   in Loop: Header=BB4_1486 Depth=3
	s_and_saveexec_b32 s15, s35
	s_cbranch_execz .LBB4_1557
; %bb.1554:                             ;   in Loop: Header=BB4_1486 Depth=3
	s_or_b32 s14, s13, s14
	s_delay_alu instid0(SALU_CYCLE_1)
	s_and_saveexec_b32 s35, s14
; %bb.1555:                             ;   in Loop: Header=BB4_1486 Depth=3
	v_lshrrev_b32_e32 v22, 16, v18
	v_cmp_lt_u16_e64 vcc_lo, 0x7c00, v151
	s_delay_alu instid0(VALU_DEP_2) | instskip(NEXT) | instid1(VALU_DEP_2)
	v_cmp_gt_f16_e64 s14, v18, v22
	s_and_b32 s13, s13, vcc_lo
	s_delay_alu instid0(VALU_DEP_1) | instskip(NEXT) | instid1(VALU_DEP_1)
	v_cndmask_b32_e64 v18, v18, v22, s14
	v_cndmask_b32_e64 v150, v18, 0x7fff, s13
; %bb.1556:                             ;   in Loop: Header=BB4_1486 Depth=3
	s_or_b32 exec_lo, exec_lo, s35
	s_delay_alu instid0(VALU_DEP_1)
	v_mov_b32_e32 v160, v150
.LBB4_1557:                             ;   in Loop: Header=BB4_1486 Depth=3
	s_or_b32 exec_lo, exec_lo, s15
	s_delay_alu instid0(VALU_DEP_1)
	v_mov_b32_e32 v22, v160
.LBB4_1558:                             ;   in Loop: Header=BB4_1486 Depth=3
	v_and_b32_e32 v18, 0x7fff, v23
	v_and_b32_e32 v150, 0x7fff, v19
	v_perm_b32 v151, v19, v23, 0x5040100
	s_mov_b32 s15, -1
	s_and_b32 vcc_lo, exec_lo, s34
	v_cmp_lt_u16_e64 s13, 0x7c00, v18
	v_cmp_gt_u16_e64 s14, 0x7c01, v150
                                        ; implicit-def: $vgpr18
	s_delay_alu instid0(VALU_DEP_1) | instskip(NEXT) | instid1(SALU_CYCLE_1)
	s_and_b32 s35, s13, s14
	s_xor_b32 s35, s35, -1
	s_cbranch_vccz .LBB4_1564
; %bb.1559:                             ;   in Loop: Header=BB4_1486 Depth=3
	v_mov_b32_e32 v18, v19
	s_and_saveexec_b32 s36, s35
	s_cbranch_execz .LBB4_1563
; %bb.1560:                             ;   in Loop: Header=BB4_1486 Depth=3
	v_mov_b32_e32 v18, v23
	s_or_b32 s15, s13, s14
	s_delay_alu instid0(SALU_CYCLE_1)
	s_and_saveexec_b32 s37, s15
; %bb.1561:                             ;   in Loop: Header=BB4_1486 Depth=3
	v_lshrrev_b32_e32 v18, 16, v151
	v_cmp_lt_u16_e64 vcc_lo, 0x7c00, v150
	s_delay_alu instid0(VALU_DEP_2) | instskip(NEXT) | instid1(VALU_DEP_1)
	v_cmp_gt_f16_e64 s15, v151, v18
	v_cndmask_b32_e64 v18, v18, v151, s15
	s_delay_alu instid0(VALU_DEP_3)
	s_and_b32 s15, s13, vcc_lo
	s_delay_alu instid0(VALU_DEP_1) | instid1(SALU_CYCLE_1)
	v_cndmask_b32_e64 v18, v18, 0x7fff, s15
; %bb.1562:                             ;   in Loop: Header=BB4_1486 Depth=3
	s_or_b32 exec_lo, exec_lo, s37
.LBB4_1563:                             ;   in Loop: Header=BB4_1486 Depth=3
	s_delay_alu instid0(SALU_CYCLE_1)
	s_or_b32 exec_lo, exec_lo, s36
	s_mov_b32 s15, 0
.LBB4_1564:                             ;   in Loop: Header=BB4_1486 Depth=3
	s_delay_alu instid0(SALU_CYCLE_1)
	s_and_not1_b32 vcc_lo, exec_lo, s15
	s_cbranch_vccnz .LBB4_1570
; %bb.1565:                             ;   in Loop: Header=BB4_1486 Depth=3
	v_mov_b32_e32 v18, v19
	s_and_saveexec_b32 s15, s35
	s_cbranch_execz .LBB4_1569
; %bb.1566:                             ;   in Loop: Header=BB4_1486 Depth=3
	v_mov_b32_e32 v18, v23
	s_or_b32 s14, s13, s14
	s_delay_alu instid0(SALU_CYCLE_1)
	s_and_saveexec_b32 s35, s14
; %bb.1567:                             ;   in Loop: Header=BB4_1486 Depth=3
	v_lshrrev_b32_e32 v18, 16, v151
	v_cmp_lt_u16_e64 vcc_lo, 0x7c00, v150
	s_delay_alu instid0(VALU_DEP_2) | instskip(NEXT) | instid1(VALU_DEP_2)
	v_cmp_gt_f16_e64 s14, v151, v18
	s_and_b32 s13, s13, vcc_lo
	s_delay_alu instid0(VALU_DEP_1) | instskip(NEXT) | instid1(VALU_DEP_1)
	v_cndmask_b32_e64 v18, v151, v18, s14
	v_cndmask_b32_e64 v18, v18, 0x7fff, s13
; %bb.1568:                             ;   in Loop: Header=BB4_1486 Depth=3
	s_or_b32 exec_lo, exec_lo, s35
.LBB4_1569:                             ;   in Loop: Header=BB4_1486 Depth=3
	s_delay_alu instid0(SALU_CYCLE_1)
	s_or_b32 exec_lo, exec_lo, s15
.LBB4_1570:                             ;   in Loop: Header=BB4_1486 Depth=3
	v_lshrrev_b32_e32 v150, 16, v23
	v_lshrrev_b32_e32 v160, 16, v19
	v_perm_b32 v23, v19, v23, 0x7060302
	s_mov_b32 s15, -1
	s_and_b32 vcc_lo, exec_lo, s34
	v_and_b32_e32 v161, 0x7fff, v150
	v_and_b32_e32 v151, 0x7fff, v160
                                        ; implicit-def: $vgpr19
	s_delay_alu instid0(VALU_DEP_2) | instskip(NEXT) | instid1(VALU_DEP_2)
	v_cmp_lt_u16_e64 s13, 0x7c00, v161
	v_cmp_gt_u16_e64 s14, 0x7c01, v151
	s_delay_alu instid0(VALU_DEP_1) | instskip(NEXT) | instid1(SALU_CYCLE_1)
	s_and_b32 s35, s13, s14
	s_xor_b32 s35, s35, -1
	s_cbranch_vccz .LBB4_1576
; %bb.1571:                             ;   in Loop: Header=BB4_1486 Depth=3
	v_mov_b32_e32 v19, v160
	s_and_saveexec_b32 s36, s35
	s_cbranch_execz .LBB4_1575
; %bb.1572:                             ;   in Loop: Header=BB4_1486 Depth=3
	v_mov_b32_e32 v19, v150
	s_or_b32 s15, s13, s14
	s_delay_alu instid0(SALU_CYCLE_1)
	s_and_saveexec_b32 s37, s15
; %bb.1573:                             ;   in Loop: Header=BB4_1486 Depth=3
	v_lshrrev_b32_e32 v19, 16, v23
	v_cmp_lt_u16_e64 vcc_lo, 0x7c00, v151
	s_delay_alu instid0(VALU_DEP_2) | instskip(NEXT) | instid1(VALU_DEP_1)
	v_cmp_gt_f16_e64 s15, v23, v19
	v_cndmask_b32_e64 v19, v19, v23, s15
	s_delay_alu instid0(VALU_DEP_3)
	s_and_b32 s15, s13, vcc_lo
	s_delay_alu instid0(VALU_DEP_1) | instid1(SALU_CYCLE_1)
	v_cndmask_b32_e64 v19, v19, 0x7fff, s15
; %bb.1574:                             ;   in Loop: Header=BB4_1486 Depth=3
	s_or_b32 exec_lo, exec_lo, s37
.LBB4_1575:                             ;   in Loop: Header=BB4_1486 Depth=3
	s_delay_alu instid0(SALU_CYCLE_1)
	s_or_b32 exec_lo, exec_lo, s36
	s_mov_b32 s15, 0
.LBB4_1576:                             ;   in Loop: Header=BB4_1486 Depth=3
	s_delay_alu instid0(SALU_CYCLE_1)
	s_and_not1_b32 vcc_lo, exec_lo, s15
	s_cbranch_vccnz .LBB4_1582
; %bb.1577:                             ;   in Loop: Header=BB4_1486 Depth=3
	s_and_saveexec_b32 s15, s35
	s_cbranch_execz .LBB4_1581
; %bb.1578:                             ;   in Loop: Header=BB4_1486 Depth=3
	s_or_b32 s14, s13, s14
	s_delay_alu instid0(SALU_CYCLE_1)
	s_and_saveexec_b32 s35, s14
; %bb.1579:                             ;   in Loop: Header=BB4_1486 Depth=3
	v_lshrrev_b32_e32 v19, 16, v23
	v_cmp_lt_u16_e64 vcc_lo, 0x7c00, v151
	s_delay_alu instid0(VALU_DEP_2) | instskip(NEXT) | instid1(VALU_DEP_2)
	v_cmp_gt_f16_e64 s14, v23, v19
	s_and_b32 s13, s13, vcc_lo
	s_delay_alu instid0(VALU_DEP_1) | instskip(NEXT) | instid1(VALU_DEP_1)
	v_cndmask_b32_e64 v19, v23, v19, s14
	v_cndmask_b32_e64 v150, v19, 0x7fff, s13
; %bb.1580:                             ;   in Loop: Header=BB4_1486 Depth=3
	s_or_b32 exec_lo, exec_lo, s35
	s_delay_alu instid0(VALU_DEP_1)
	v_mov_b32_e32 v160, v150
.LBB4_1581:                             ;   in Loop: Header=BB4_1486 Depth=3
	s_or_b32 exec_lo, exec_lo, s15
	s_delay_alu instid0(VALU_DEP_1)
	v_mov_b32_e32 v19, v160
.LBB4_1582:                             ;   in Loop: Header=BB4_1486 Depth=3
	s_waitcnt vmcnt(1)
	v_and_b32_e32 v23, 0x7fff, v12
	s_waitcnt vmcnt(0)
	v_and_b32_e32 v150, 0x7fff, v8
	v_perm_b32 v151, v8, v12, 0x5040100
	s_mov_b32 s15, -1
	s_and_not1_b32 vcc_lo, exec_lo, s34
	v_cmp_lt_u16_e64 s13, 0x7c00, v23
	v_cmp_gt_u16_e64 s14, 0x7c01, v150
                                        ; implicit-def: $vgpr23
	s_delay_alu instid0(VALU_DEP_1) | instskip(NEXT) | instid1(SALU_CYCLE_1)
	s_and_b32 s35, s13, s14
	s_xor_b32 s35, s35, -1
	s_cbranch_vccnz .LBB4_1588
; %bb.1583:                             ;   in Loop: Header=BB4_1486 Depth=3
	v_mov_b32_e32 v23, v8
	s_and_saveexec_b32 s36, s35
	s_cbranch_execz .LBB4_1587
; %bb.1584:                             ;   in Loop: Header=BB4_1486 Depth=3
	v_mov_b32_e32 v23, v12
	s_or_b32 s15, s13, s14
	s_delay_alu instid0(SALU_CYCLE_1)
	s_and_saveexec_b32 s37, s15
; %bb.1585:                             ;   in Loop: Header=BB4_1486 Depth=3
	v_lshrrev_b32_e32 v23, 16, v151
	v_cmp_lt_u16_e64 vcc_lo, 0x7c00, v150
	s_delay_alu instid0(VALU_DEP_2) | instskip(NEXT) | instid1(VALU_DEP_1)
	v_cmp_gt_f16_e64 s15, v151, v23
	v_cndmask_b32_e64 v23, v23, v151, s15
	s_delay_alu instid0(VALU_DEP_3)
	s_and_b32 s15, s13, vcc_lo
	s_delay_alu instid0(VALU_DEP_1) | instid1(SALU_CYCLE_1)
	v_cndmask_b32_e64 v23, v23, 0x7fff, s15
; %bb.1586:                             ;   in Loop: Header=BB4_1486 Depth=3
	s_or_b32 exec_lo, exec_lo, s37
.LBB4_1587:                             ;   in Loop: Header=BB4_1486 Depth=3
	s_delay_alu instid0(SALU_CYCLE_1)
	s_or_b32 exec_lo, exec_lo, s36
	s_mov_b32 s15, 0
.LBB4_1588:                             ;   in Loop: Header=BB4_1486 Depth=3
	s_delay_alu instid0(SALU_CYCLE_1)
	s_and_not1_b32 vcc_lo, exec_lo, s15
	s_cbranch_vccnz .LBB4_1594
; %bb.1589:                             ;   in Loop: Header=BB4_1486 Depth=3
	v_mov_b32_e32 v23, v8
	s_and_saveexec_b32 s15, s35
	s_cbranch_execz .LBB4_1593
; %bb.1590:                             ;   in Loop: Header=BB4_1486 Depth=3
	v_mov_b32_e32 v23, v12
	s_or_b32 s14, s13, s14
	s_delay_alu instid0(SALU_CYCLE_1)
	s_and_saveexec_b32 s35, s14
; %bb.1591:                             ;   in Loop: Header=BB4_1486 Depth=3
	v_lshrrev_b32_e32 v23, 16, v151
	v_cmp_lt_u16_e64 vcc_lo, 0x7c00, v150
	s_delay_alu instid0(VALU_DEP_2) | instskip(NEXT) | instid1(VALU_DEP_2)
	v_cmp_gt_f16_e64 s14, v151, v23
	s_and_b32 s13, s13, vcc_lo
	s_delay_alu instid0(VALU_DEP_1) | instskip(NEXT) | instid1(VALU_DEP_1)
	v_cndmask_b32_e64 v23, v151, v23, s14
	v_cndmask_b32_e64 v23, v23, 0x7fff, s13
; %bb.1592:                             ;   in Loop: Header=BB4_1486 Depth=3
	s_or_b32 exec_lo, exec_lo, s35
.LBB4_1593:                             ;   in Loop: Header=BB4_1486 Depth=3
	s_delay_alu instid0(SALU_CYCLE_1)
	s_or_b32 exec_lo, exec_lo, s15
.LBB4_1594:                             ;   in Loop: Header=BB4_1486 Depth=3
	v_mov_b32_e32 v161, v12
	v_lshrrev_b32_e32 v160, 16, v8
	s_mov_b32 s15, -1
	s_and_not1_b32 vcc_lo, exec_lo, s34
	s_delay_alu instid0(VALU_DEP_2) | instskip(NEXT) | instid1(VALU_DEP_2)
	v_lshrrev_b32_e32 v150, 16, v161
	v_and_b32_e32 v151, 0x7fff, v160
	s_delay_alu instid0(VALU_DEP_2) | instskip(NEXT) | instid1(VALU_DEP_1)
	v_and_b32_e32 v12, 0x7fff, v150
	v_cmp_lt_u16_e64 s13, 0x7c00, v12
	v_mov_b32_e32 v12, v13
	s_delay_alu instid0(VALU_DEP_4) | instskip(SKIP_2) | instid1(VALU_DEP_3)
	v_cmp_gt_u16_e64 s14, 0x7c01, v151
	v_mov_b32_e32 v13, v9
	v_perm_b32 v9, v8, v161, 0x7060302
                                        ; implicit-def: $vgpr8
	s_and_b32 s35, s13, s14
	s_delay_alu instid0(SALU_CYCLE_1)
	s_xor_b32 s35, s35, -1
	s_cbranch_vccnz .LBB4_1600
; %bb.1595:                             ;   in Loop: Header=BB4_1486 Depth=3
	v_mov_b32_e32 v8, v160
	s_and_saveexec_b32 s36, s35
	s_cbranch_execz .LBB4_1599
; %bb.1596:                             ;   in Loop: Header=BB4_1486 Depth=3
	v_mov_b32_e32 v8, v150
	s_or_b32 s15, s13, s14
	s_delay_alu instid0(SALU_CYCLE_1)
	s_and_saveexec_b32 s37, s15
; %bb.1597:                             ;   in Loop: Header=BB4_1486 Depth=3
	v_lshrrev_b32_e32 v8, 16, v9
	v_cmp_lt_u16_e64 vcc_lo, 0x7c00, v151
	s_delay_alu instid0(VALU_DEP_2) | instskip(NEXT) | instid1(VALU_DEP_1)
	v_cmp_gt_f16_e64 s15, v9, v8
	v_cndmask_b32_e64 v8, v8, v9, s15
	s_delay_alu instid0(VALU_DEP_3)
	s_and_b32 s15, s13, vcc_lo
	s_delay_alu instid0(VALU_DEP_1) | instid1(SALU_CYCLE_1)
	v_cndmask_b32_e64 v8, v8, 0x7fff, s15
; %bb.1598:                             ;   in Loop: Header=BB4_1486 Depth=3
	s_or_b32 exec_lo, exec_lo, s37
.LBB4_1599:                             ;   in Loop: Header=BB4_1486 Depth=3
	s_delay_alu instid0(SALU_CYCLE_1)
	s_or_b32 exec_lo, exec_lo, s36
	s_mov_b32 s15, 0
.LBB4_1600:                             ;   in Loop: Header=BB4_1486 Depth=3
	s_delay_alu instid0(SALU_CYCLE_1)
	s_and_not1_b32 vcc_lo, exec_lo, s15
	s_cbranch_vccnz .LBB4_1606
; %bb.1601:                             ;   in Loop: Header=BB4_1486 Depth=3
	s_and_saveexec_b32 s15, s35
	s_cbranch_execz .LBB4_1605
; %bb.1602:                             ;   in Loop: Header=BB4_1486 Depth=3
	s_or_b32 s14, s13, s14
	s_delay_alu instid0(SALU_CYCLE_1)
	s_and_saveexec_b32 s35, s14
; %bb.1603:                             ;   in Loop: Header=BB4_1486 Depth=3
	v_lshrrev_b32_e32 v8, 16, v9
	v_cmp_lt_u16_e64 vcc_lo, 0x7c00, v151
	s_delay_alu instid0(VALU_DEP_2) | instskip(NEXT) | instid1(VALU_DEP_2)
	v_cmp_gt_f16_e64 s14, v9, v8
	s_and_b32 s13, s13, vcc_lo
	s_delay_alu instid0(VALU_DEP_1) | instskip(NEXT) | instid1(VALU_DEP_1)
	v_cndmask_b32_e64 v8, v9, v8, s14
	v_cndmask_b32_e64 v150, v8, 0x7fff, s13
; %bb.1604:                             ;   in Loop: Header=BB4_1486 Depth=3
	s_or_b32 exec_lo, exec_lo, s35
	s_delay_alu instid0(VALU_DEP_1)
	v_mov_b32_e32 v160, v150
.LBB4_1605:                             ;   in Loop: Header=BB4_1486 Depth=3
	s_or_b32 exec_lo, exec_lo, s15
	s_delay_alu instid0(VALU_DEP_1)
	v_mov_b32_e32 v8, v160
.LBB4_1606:                             ;   in Loop: Header=BB4_1486 Depth=3
	v_and_b32_e32 v9, 0x7fff, v12
	v_and_b32_e32 v150, 0x7fff, v13
	v_perm_b32 v151, v13, v12, 0x5040100
	s_mov_b32 s15, -1
	s_and_not1_b32 vcc_lo, exec_lo, s34
	v_cmp_lt_u16_e64 s13, 0x7c00, v9
	v_cmp_gt_u16_e64 s14, 0x7c01, v150
                                        ; implicit-def: $vgpr9
	s_delay_alu instid0(VALU_DEP_1) | instskip(NEXT) | instid1(SALU_CYCLE_1)
	s_and_b32 s35, s13, s14
	s_xor_b32 s35, s35, -1
	s_cbranch_vccnz .LBB4_1612
; %bb.1607:                             ;   in Loop: Header=BB4_1486 Depth=3
	v_mov_b32_e32 v9, v13
	s_and_saveexec_b32 s36, s35
	s_cbranch_execz .LBB4_1611
; %bb.1608:                             ;   in Loop: Header=BB4_1486 Depth=3
	v_mov_b32_e32 v9, v12
	s_or_b32 s15, s13, s14
	s_delay_alu instid0(SALU_CYCLE_1)
	s_and_saveexec_b32 s37, s15
; %bb.1609:                             ;   in Loop: Header=BB4_1486 Depth=3
	v_lshrrev_b32_e32 v9, 16, v151
	v_cmp_lt_u16_e64 vcc_lo, 0x7c00, v150
	s_delay_alu instid0(VALU_DEP_2) | instskip(NEXT) | instid1(VALU_DEP_1)
	v_cmp_gt_f16_e64 s15, v151, v9
	v_cndmask_b32_e64 v9, v9, v151, s15
	s_delay_alu instid0(VALU_DEP_3)
	s_and_b32 s15, s13, vcc_lo
	s_delay_alu instid0(VALU_DEP_1) | instid1(SALU_CYCLE_1)
	v_cndmask_b32_e64 v9, v9, 0x7fff, s15
; %bb.1610:                             ;   in Loop: Header=BB4_1486 Depth=3
	s_or_b32 exec_lo, exec_lo, s37
.LBB4_1611:                             ;   in Loop: Header=BB4_1486 Depth=3
	s_delay_alu instid0(SALU_CYCLE_1)
	s_or_b32 exec_lo, exec_lo, s36
	s_mov_b32 s15, 0
.LBB4_1612:                             ;   in Loop: Header=BB4_1486 Depth=3
	s_delay_alu instid0(SALU_CYCLE_1)
	s_and_not1_b32 vcc_lo, exec_lo, s15
	s_cbranch_vccnz .LBB4_1618
; %bb.1613:                             ;   in Loop: Header=BB4_1486 Depth=3
	v_mov_b32_e32 v9, v13
	s_and_saveexec_b32 s15, s35
	s_cbranch_execz .LBB4_1617
; %bb.1614:                             ;   in Loop: Header=BB4_1486 Depth=3
	v_mov_b32_e32 v9, v12
	s_or_b32 s14, s13, s14
	s_delay_alu instid0(SALU_CYCLE_1)
	s_and_saveexec_b32 s35, s14
; %bb.1615:                             ;   in Loop: Header=BB4_1486 Depth=3
	v_lshrrev_b32_e32 v9, 16, v151
	v_cmp_lt_u16_e64 vcc_lo, 0x7c00, v150
	s_delay_alu instid0(VALU_DEP_2) | instskip(NEXT) | instid1(VALU_DEP_2)
	v_cmp_gt_f16_e64 s14, v151, v9
	s_and_b32 s13, s13, vcc_lo
	s_delay_alu instid0(VALU_DEP_1) | instskip(NEXT) | instid1(VALU_DEP_1)
	v_cndmask_b32_e64 v9, v151, v9, s14
	v_cndmask_b32_e64 v9, v9, 0x7fff, s13
; %bb.1616:                             ;   in Loop: Header=BB4_1486 Depth=3
	s_or_b32 exec_lo, exec_lo, s35
.LBB4_1617:                             ;   in Loop: Header=BB4_1486 Depth=3
	s_delay_alu instid0(SALU_CYCLE_1)
	s_or_b32 exec_lo, exec_lo, s15
.LBB4_1618:                             ;   in Loop: Header=BB4_1486 Depth=3
	v_lshrrev_b32_e32 v150, 16, v12
	v_lshrrev_b32_e32 v160, 16, v13
	v_perm_b32 v13, v13, v12, 0x7060302
	s_mov_b32 s15, -1
	s_and_not1_b32 vcc_lo, exec_lo, s34
	v_and_b32_e32 v161, 0x7fff, v150
	v_and_b32_e32 v151, 0x7fff, v160
                                        ; implicit-def: $vgpr12
	s_delay_alu instid0(VALU_DEP_2) | instskip(NEXT) | instid1(VALU_DEP_2)
	v_cmp_lt_u16_e64 s13, 0x7c00, v161
	v_cmp_gt_u16_e64 s14, 0x7c01, v151
	s_delay_alu instid0(VALU_DEP_1) | instskip(NEXT) | instid1(SALU_CYCLE_1)
	s_and_b32 s35, s13, s14
	s_xor_b32 s35, s35, -1
	s_cbranch_vccnz .LBB4_1624
; %bb.1619:                             ;   in Loop: Header=BB4_1486 Depth=3
	v_mov_b32_e32 v12, v160
	s_and_saveexec_b32 s36, s35
	s_cbranch_execz .LBB4_1623
; %bb.1620:                             ;   in Loop: Header=BB4_1486 Depth=3
	v_mov_b32_e32 v12, v150
	s_or_b32 s15, s13, s14
	s_delay_alu instid0(SALU_CYCLE_1)
	s_and_saveexec_b32 s37, s15
; %bb.1621:                             ;   in Loop: Header=BB4_1486 Depth=3
	v_lshrrev_b32_e32 v12, 16, v13
	v_cmp_lt_u16_e64 vcc_lo, 0x7c00, v151
	s_delay_alu instid0(VALU_DEP_2) | instskip(NEXT) | instid1(VALU_DEP_1)
	v_cmp_gt_f16_e64 s15, v13, v12
	v_cndmask_b32_e64 v12, v12, v13, s15
	s_delay_alu instid0(VALU_DEP_3)
	s_and_b32 s15, s13, vcc_lo
	s_delay_alu instid0(VALU_DEP_1) | instid1(SALU_CYCLE_1)
	v_cndmask_b32_e64 v12, v12, 0x7fff, s15
; %bb.1622:                             ;   in Loop: Header=BB4_1486 Depth=3
	s_or_b32 exec_lo, exec_lo, s37
.LBB4_1623:                             ;   in Loop: Header=BB4_1486 Depth=3
	s_delay_alu instid0(SALU_CYCLE_1)
	s_or_b32 exec_lo, exec_lo, s36
	s_mov_b32 s15, 0
.LBB4_1624:                             ;   in Loop: Header=BB4_1486 Depth=3
	s_delay_alu instid0(SALU_CYCLE_1)
	s_and_not1_b32 vcc_lo, exec_lo, s15
	s_cbranch_vccnz .LBB4_1630
; %bb.1625:                             ;   in Loop: Header=BB4_1486 Depth=3
	s_and_saveexec_b32 s15, s35
	s_cbranch_execz .LBB4_1629
; %bb.1626:                             ;   in Loop: Header=BB4_1486 Depth=3
	s_or_b32 s14, s13, s14
	s_delay_alu instid0(SALU_CYCLE_1)
	s_and_saveexec_b32 s35, s14
; %bb.1627:                             ;   in Loop: Header=BB4_1486 Depth=3
	v_lshrrev_b32_e32 v12, 16, v13
	v_cmp_lt_u16_e64 vcc_lo, 0x7c00, v151
	s_delay_alu instid0(VALU_DEP_2) | instskip(NEXT) | instid1(VALU_DEP_2)
	v_cmp_gt_f16_e64 s14, v13, v12
	s_and_b32 s13, s13, vcc_lo
	s_delay_alu instid0(VALU_DEP_1) | instskip(NEXT) | instid1(VALU_DEP_1)
	v_cndmask_b32_e64 v12, v13, v12, s14
	v_cndmask_b32_e64 v150, v12, 0x7fff, s13
; %bb.1628:                             ;   in Loop: Header=BB4_1486 Depth=3
	s_or_b32 exec_lo, exec_lo, s35
	s_delay_alu instid0(VALU_DEP_1)
	v_mov_b32_e32 v160, v150
.LBB4_1629:                             ;   in Loop: Header=BB4_1486 Depth=3
	s_or_b32 exec_lo, exec_lo, s15
	s_delay_alu instid0(VALU_DEP_1)
	v_mov_b32_e32 v12, v160
.LBB4_1630:                             ;   in Loop: Header=BB4_1486 Depth=3
	v_and_b32_e32 v13, 0x7fff, v14
	v_and_b32_e32 v150, 0x7fff, v10
	v_perm_b32 v151, v10, v14, 0x5040100
	s_mov_b32 s15, -1
	s_and_not1_b32 vcc_lo, exec_lo, s34
	v_cmp_lt_u16_e64 s13, 0x7c00, v13
	v_cmp_gt_u16_e64 s14, 0x7c01, v150
                                        ; implicit-def: $vgpr13
	s_delay_alu instid0(VALU_DEP_1) | instskip(NEXT) | instid1(SALU_CYCLE_1)
	s_and_b32 s35, s13, s14
	s_xor_b32 s35, s35, -1
	s_cbranch_vccnz .LBB4_1636
; %bb.1631:                             ;   in Loop: Header=BB4_1486 Depth=3
	v_mov_b32_e32 v13, v10
	s_and_saveexec_b32 s36, s35
	s_cbranch_execz .LBB4_1635
; %bb.1632:                             ;   in Loop: Header=BB4_1486 Depth=3
	v_mov_b32_e32 v13, v14
	s_or_b32 s15, s13, s14
	s_delay_alu instid0(SALU_CYCLE_1)
	s_and_saveexec_b32 s37, s15
; %bb.1633:                             ;   in Loop: Header=BB4_1486 Depth=3
	v_lshrrev_b32_e32 v13, 16, v151
	v_cmp_lt_u16_e64 vcc_lo, 0x7c00, v150
	s_delay_alu instid0(VALU_DEP_2) | instskip(NEXT) | instid1(VALU_DEP_1)
	v_cmp_gt_f16_e64 s15, v151, v13
	v_cndmask_b32_e64 v13, v13, v151, s15
	s_delay_alu instid0(VALU_DEP_3)
	s_and_b32 s15, s13, vcc_lo
	s_delay_alu instid0(VALU_DEP_1) | instid1(SALU_CYCLE_1)
	v_cndmask_b32_e64 v13, v13, 0x7fff, s15
; %bb.1634:                             ;   in Loop: Header=BB4_1486 Depth=3
	s_or_b32 exec_lo, exec_lo, s37
.LBB4_1635:                             ;   in Loop: Header=BB4_1486 Depth=3
	s_delay_alu instid0(SALU_CYCLE_1)
	s_or_b32 exec_lo, exec_lo, s36
	s_mov_b32 s15, 0
.LBB4_1636:                             ;   in Loop: Header=BB4_1486 Depth=3
	s_delay_alu instid0(SALU_CYCLE_1)
	s_and_not1_b32 vcc_lo, exec_lo, s15
	s_cbranch_vccnz .LBB4_1642
; %bb.1637:                             ;   in Loop: Header=BB4_1486 Depth=3
	v_mov_b32_e32 v13, v10
	s_and_saveexec_b32 s15, s35
	s_cbranch_execz .LBB4_1641
; %bb.1638:                             ;   in Loop: Header=BB4_1486 Depth=3
	v_mov_b32_e32 v13, v14
	s_or_b32 s14, s13, s14
	s_delay_alu instid0(SALU_CYCLE_1)
	s_and_saveexec_b32 s35, s14
; %bb.1639:                             ;   in Loop: Header=BB4_1486 Depth=3
	v_lshrrev_b32_e32 v13, 16, v151
	v_cmp_lt_u16_e64 vcc_lo, 0x7c00, v150
	s_delay_alu instid0(VALU_DEP_2) | instskip(NEXT) | instid1(VALU_DEP_2)
	v_cmp_gt_f16_e64 s14, v151, v13
	s_and_b32 s13, s13, vcc_lo
	s_delay_alu instid0(VALU_DEP_1) | instskip(NEXT) | instid1(VALU_DEP_1)
	v_cndmask_b32_e64 v13, v151, v13, s14
	v_cndmask_b32_e64 v13, v13, 0x7fff, s13
; %bb.1640:                             ;   in Loop: Header=BB4_1486 Depth=3
	s_or_b32 exec_lo, exec_lo, s35
.LBB4_1641:                             ;   in Loop: Header=BB4_1486 Depth=3
	s_delay_alu instid0(SALU_CYCLE_1)
	s_or_b32 exec_lo, exec_lo, s15
.LBB4_1642:                             ;   in Loop: Header=BB4_1486 Depth=3
	v_mov_b32_e32 v161, v14
	v_lshrrev_b32_e32 v160, 16, v10
	s_mov_b32 s15, -1
	s_and_not1_b32 vcc_lo, exec_lo, s34
	s_delay_alu instid0(VALU_DEP_2) | instskip(NEXT) | instid1(VALU_DEP_2)
	v_lshrrev_b32_e32 v150, 16, v161
	v_and_b32_e32 v151, 0x7fff, v160
	s_delay_alu instid0(VALU_DEP_2) | instskip(NEXT) | instid1(VALU_DEP_1)
	v_and_b32_e32 v14, 0x7fff, v150
	v_cmp_lt_u16_e64 s13, 0x7c00, v14
	v_mov_b32_e32 v14, v15
	s_delay_alu instid0(VALU_DEP_4) | instskip(SKIP_1) | instid1(VALU_DEP_2)
	v_cmp_gt_u16_e64 s14, 0x7c01, v151
	v_perm_b32 v15, v10, v161, 0x7060302
                                        ; implicit-def: $vgpr10
	s_and_b32 s35, s13, s14
	s_delay_alu instid0(SALU_CYCLE_1)
	s_xor_b32 s35, s35, -1
	s_cbranch_vccnz .LBB4_1648
; %bb.1643:                             ;   in Loop: Header=BB4_1486 Depth=3
	v_mov_b32_e32 v10, v160
	s_and_saveexec_b32 s36, s35
	s_cbranch_execz .LBB4_1647
; %bb.1644:                             ;   in Loop: Header=BB4_1486 Depth=3
	v_mov_b32_e32 v10, v150
	s_or_b32 s15, s13, s14
	s_delay_alu instid0(SALU_CYCLE_1)
	s_and_saveexec_b32 s37, s15
; %bb.1645:                             ;   in Loop: Header=BB4_1486 Depth=3
	v_lshrrev_b32_e32 v10, 16, v15
	v_cmp_lt_u16_e64 vcc_lo, 0x7c00, v151
	s_delay_alu instid0(VALU_DEP_2) | instskip(NEXT) | instid1(VALU_DEP_1)
	v_cmp_gt_f16_e64 s15, v15, v10
	v_cndmask_b32_e64 v10, v10, v15, s15
	s_delay_alu instid0(VALU_DEP_3)
	s_and_b32 s15, s13, vcc_lo
	s_delay_alu instid0(VALU_DEP_1) | instid1(SALU_CYCLE_1)
	v_cndmask_b32_e64 v10, v10, 0x7fff, s15
; %bb.1646:                             ;   in Loop: Header=BB4_1486 Depth=3
	s_or_b32 exec_lo, exec_lo, s37
.LBB4_1647:                             ;   in Loop: Header=BB4_1486 Depth=3
	s_delay_alu instid0(SALU_CYCLE_1)
	s_or_b32 exec_lo, exec_lo, s36
	s_mov_b32 s15, 0
.LBB4_1648:                             ;   in Loop: Header=BB4_1486 Depth=3
	s_delay_alu instid0(SALU_CYCLE_1)
	s_and_not1_b32 vcc_lo, exec_lo, s15
	s_cbranch_vccnz .LBB4_1654
; %bb.1649:                             ;   in Loop: Header=BB4_1486 Depth=3
	s_and_saveexec_b32 s15, s35
	s_cbranch_execz .LBB4_1653
; %bb.1650:                             ;   in Loop: Header=BB4_1486 Depth=3
	s_or_b32 s14, s13, s14
	s_delay_alu instid0(SALU_CYCLE_1)
	s_and_saveexec_b32 s35, s14
; %bb.1651:                             ;   in Loop: Header=BB4_1486 Depth=3
	v_lshrrev_b32_e32 v10, 16, v15
	v_cmp_lt_u16_e64 vcc_lo, 0x7c00, v151
	s_delay_alu instid0(VALU_DEP_2) | instskip(NEXT) | instid1(VALU_DEP_2)
	v_cmp_gt_f16_e64 s14, v15, v10
	s_and_b32 s13, s13, vcc_lo
	s_delay_alu instid0(VALU_DEP_1) | instskip(NEXT) | instid1(VALU_DEP_1)
	v_cndmask_b32_e64 v10, v15, v10, s14
	v_cndmask_b32_e64 v150, v10, 0x7fff, s13
; %bb.1652:                             ;   in Loop: Header=BB4_1486 Depth=3
	s_or_b32 exec_lo, exec_lo, s35
	s_delay_alu instid0(VALU_DEP_1)
	v_mov_b32_e32 v160, v150
.LBB4_1653:                             ;   in Loop: Header=BB4_1486 Depth=3
	s_or_b32 exec_lo, exec_lo, s15
	s_delay_alu instid0(VALU_DEP_1)
	v_mov_b32_e32 v10, v160
.LBB4_1654:                             ;   in Loop: Header=BB4_1486 Depth=3
	v_and_b32_e32 v15, 0x7fff, v14
	v_and_b32_e32 v150, 0x7fff, v11
	v_perm_b32 v151, v11, v14, 0x5040100
	s_mov_b32 s15, -1
	s_and_not1_b32 vcc_lo, exec_lo, s34
	v_cmp_lt_u16_e64 s13, 0x7c00, v15
	v_cmp_gt_u16_e64 s14, 0x7c01, v150
                                        ; implicit-def: $vgpr15
	s_delay_alu instid0(VALU_DEP_1) | instskip(NEXT) | instid1(SALU_CYCLE_1)
	s_and_b32 s35, s13, s14
	s_xor_b32 s35, s35, -1
	s_cbranch_vccnz .LBB4_1660
; %bb.1655:                             ;   in Loop: Header=BB4_1486 Depth=3
	v_mov_b32_e32 v15, v11
	s_and_saveexec_b32 s36, s35
	s_cbranch_execz .LBB4_1659
; %bb.1656:                             ;   in Loop: Header=BB4_1486 Depth=3
	v_mov_b32_e32 v15, v14
	s_or_b32 s15, s13, s14
	s_delay_alu instid0(SALU_CYCLE_1)
	s_and_saveexec_b32 s37, s15
; %bb.1657:                             ;   in Loop: Header=BB4_1486 Depth=3
	v_lshrrev_b32_e32 v15, 16, v151
	v_cmp_lt_u16_e64 vcc_lo, 0x7c00, v150
	s_delay_alu instid0(VALU_DEP_2) | instskip(NEXT) | instid1(VALU_DEP_1)
	v_cmp_gt_f16_e64 s15, v151, v15
	v_cndmask_b32_e64 v15, v15, v151, s15
	s_delay_alu instid0(VALU_DEP_3)
	s_and_b32 s15, s13, vcc_lo
	s_delay_alu instid0(VALU_DEP_1) | instid1(SALU_CYCLE_1)
	v_cndmask_b32_e64 v15, v15, 0x7fff, s15
; %bb.1658:                             ;   in Loop: Header=BB4_1486 Depth=3
	s_or_b32 exec_lo, exec_lo, s37
.LBB4_1659:                             ;   in Loop: Header=BB4_1486 Depth=3
	s_delay_alu instid0(SALU_CYCLE_1)
	s_or_b32 exec_lo, exec_lo, s36
	s_mov_b32 s15, 0
.LBB4_1660:                             ;   in Loop: Header=BB4_1486 Depth=3
	s_delay_alu instid0(SALU_CYCLE_1)
	s_and_not1_b32 vcc_lo, exec_lo, s15
	s_cbranch_vccnz .LBB4_1666
; %bb.1661:                             ;   in Loop: Header=BB4_1486 Depth=3
	v_mov_b32_e32 v15, v11
	s_and_saveexec_b32 s15, s35
	s_cbranch_execz .LBB4_1665
; %bb.1662:                             ;   in Loop: Header=BB4_1486 Depth=3
	v_mov_b32_e32 v15, v14
	s_or_b32 s14, s13, s14
	s_delay_alu instid0(SALU_CYCLE_1)
	s_and_saveexec_b32 s35, s14
; %bb.1663:                             ;   in Loop: Header=BB4_1486 Depth=3
	v_lshrrev_b32_e32 v15, 16, v151
	v_cmp_lt_u16_e64 vcc_lo, 0x7c00, v150
	s_delay_alu instid0(VALU_DEP_2) | instskip(NEXT) | instid1(VALU_DEP_2)
	v_cmp_gt_f16_e64 s14, v151, v15
	s_and_b32 s13, s13, vcc_lo
	s_delay_alu instid0(VALU_DEP_1) | instskip(NEXT) | instid1(VALU_DEP_1)
	v_cndmask_b32_e64 v15, v151, v15, s14
	v_cndmask_b32_e64 v15, v15, 0x7fff, s13
; %bb.1664:                             ;   in Loop: Header=BB4_1486 Depth=3
	s_or_b32 exec_lo, exec_lo, s35
.LBB4_1665:                             ;   in Loop: Header=BB4_1486 Depth=3
	s_delay_alu instid0(SALU_CYCLE_1)
	s_or_b32 exec_lo, exec_lo, s15
.LBB4_1666:                             ;   in Loop: Header=BB4_1486 Depth=3
	v_lshrrev_b32_e32 v150, 16, v14
	v_lshrrev_b32_e32 v160, 16, v11
	v_perm_b32 v11, v11, v14, 0x7060302
	s_mov_b32 s15, -1
	s_and_not1_b32 vcc_lo, exec_lo, s34
	v_and_b32_e32 v161, 0x7fff, v150
	v_and_b32_e32 v151, 0x7fff, v160
                                        ; implicit-def: $vgpr14
	s_delay_alu instid0(VALU_DEP_2) | instskip(NEXT) | instid1(VALU_DEP_2)
	v_cmp_lt_u16_e64 s13, 0x7c00, v161
	v_cmp_gt_u16_e64 s14, 0x7c01, v151
	s_delay_alu instid0(VALU_DEP_1) | instskip(NEXT) | instid1(SALU_CYCLE_1)
	s_and_b32 s35, s13, s14
	s_xor_b32 s35, s35, -1
	s_cbranch_vccnz .LBB4_1672
; %bb.1667:                             ;   in Loop: Header=BB4_1486 Depth=3
	v_mov_b32_e32 v14, v160
	s_and_saveexec_b32 s36, s35
	s_cbranch_execz .LBB4_1671
; %bb.1668:                             ;   in Loop: Header=BB4_1486 Depth=3
	v_mov_b32_e32 v14, v150
	s_or_b32 s15, s13, s14
	s_delay_alu instid0(SALU_CYCLE_1)
	s_and_saveexec_b32 s37, s15
; %bb.1669:                             ;   in Loop: Header=BB4_1486 Depth=3
	v_lshrrev_b32_e32 v14, 16, v11
	v_cmp_lt_u16_e64 vcc_lo, 0x7c00, v151
	s_delay_alu instid0(VALU_DEP_2) | instskip(NEXT) | instid1(VALU_DEP_1)
	v_cmp_gt_f16_e64 s15, v11, v14
	v_cndmask_b32_e64 v14, v14, v11, s15
	s_delay_alu instid0(VALU_DEP_3)
	s_and_b32 s15, s13, vcc_lo
	s_delay_alu instid0(VALU_DEP_1) | instid1(SALU_CYCLE_1)
	v_cndmask_b32_e64 v14, v14, 0x7fff, s15
; %bb.1670:                             ;   in Loop: Header=BB4_1486 Depth=3
	s_or_b32 exec_lo, exec_lo, s37
.LBB4_1671:                             ;   in Loop: Header=BB4_1486 Depth=3
	s_delay_alu instid0(SALU_CYCLE_1)
	s_or_b32 exec_lo, exec_lo, s36
	s_mov_b32 s15, 0
.LBB4_1672:                             ;   in Loop: Header=BB4_1486 Depth=3
	s_delay_alu instid0(SALU_CYCLE_1)
	s_and_not1_b32 vcc_lo, exec_lo, s15
	s_cbranch_vccnz .LBB4_1485
; %bb.1673:                             ;   in Loop: Header=BB4_1486 Depth=3
	s_and_saveexec_b32 s15, s35
	s_cbranch_execz .LBB4_1484
; %bb.1674:                             ;   in Loop: Header=BB4_1486 Depth=3
	s_or_b32 s14, s13, s14
	s_delay_alu instid0(SALU_CYCLE_1)
	s_and_saveexec_b32 s35, s14
	s_cbranch_execz .LBB4_1483
; %bb.1675:                             ;   in Loop: Header=BB4_1486 Depth=3
	v_lshrrev_b32_e32 v14, 16, v11
	v_cmp_lt_u16_e64 vcc_lo, 0x7c00, v151
	s_delay_alu instid0(VALU_DEP_2) | instskip(NEXT) | instid1(VALU_DEP_2)
	v_cmp_gt_f16_e64 s14, v11, v14
	s_and_b32 s13, s13, vcc_lo
	s_delay_alu instid0(VALU_DEP_1) | instskip(NEXT) | instid1(VALU_DEP_1)
	v_cndmask_b32_e64 v11, v11, v14, s14
	v_cndmask_b32_e64 v150, v11, 0x7fff, s13
	s_branch .LBB4_1483
.LBB4_1676:                             ;   in Loop: Header=BB4_961 Depth=2
	s_or_b32 exec_lo, exec_lo, s31
.LBB4_1677:                             ;   in Loop: Header=BB4_961 Depth=2
	s_delay_alu instid0(SALU_CYCLE_1) | instskip(SKIP_4) | instid1(VALU_DEP_2)
	s_or_b32 exec_lo, exec_lo, s16
	v_lshlrev_b32_e32 v22, 10, v98
	v_mov_b32_e32 v14, 0
	s_mov_b32 s13, 0
	s_mov_b32 s31, exec_lo
                                        ; implicit-def: $vgpr15
                                        ; implicit-def: $vgpr8
	v_cmpx_ne_u32_e64 v2, v22
	s_cbranch_execz .LBB4_1782
; %bb.1678:                             ;   in Loop: Header=BB4_961 Depth=2
	v_lshlrev_b32_e32 v8, 5, v81
	v_sub_nc_u32_e32 v10, v2, v22
	s_mov_b32 s34, exec_lo
	s_delay_alu instid0(VALU_DEP_2) | instskip(NEXT) | instid1(VALU_DEP_2)
	v_sub_nc_u32_e32 v8, v112, v8
	v_ashrrev_i32_e32 v11, 31, v10
	s_delay_alu instid0(VALU_DEP_2) | instskip(NEXT) | instid1(VALU_DEP_2)
	v_ashrrev_i32_e32 v9, 31, v8
	v_lshrrev_b32_e32 v11, 23, v11
	s_delay_alu instid0(VALU_DEP_2) | instskip(NEXT) | instid1(VALU_DEP_2)
	v_lshrrev_b32_e32 v9, 27, v9
	v_add_nc_u32_e32 v11, v10, v11
	s_delay_alu instid0(VALU_DEP_2) | instskip(NEXT) | instid1(VALU_DEP_2)
	v_add_nc_u32_e32 v9, v8, v9
	v_and_b32_e32 v23, 0xfffffe00, v11
	v_ashrrev_i32_e32 v11, 9, v11
	s_delay_alu instid0(VALU_DEP_3) | instskip(NEXT) | instid1(VALU_DEP_3)
	v_and_b32_e32 v12, 0xffffffe0, v9
	v_sub_nc_u32_e32 v84, v10, v23
	v_ashrrev_i32_e32 v9, 5, v9
	s_delay_alu instid0(VALU_DEP_3) | instskip(NEXT) | instid1(VALU_DEP_3)
	v_sub_nc_u32_e32 v81, v8, v12
	v_cmp_lt_i32_e64 s13, 15, v84
	s_delay_alu instid0(VALU_DEP_2) | instskip(NEXT) | instid1(VALU_DEP_2)
	v_lshlrev_b32_e32 v8, 4, v81
	v_add_co_ci_u32_e64 v11, vcc_lo, 0, v11, s13
	s_delay_alu instid0(VALU_DEP_2) | instskip(NEXT) | instid1(VALU_DEP_2)
	v_lshl_add_u32 v8, v9, 9, v8
	v_sub_nc_u32_e32 v85, v11, v9
	s_delay_alu instid0(VALU_DEP_2) | instskip(NEXT) | instid1(VALU_DEP_1)
	v_sub_nc_u32_e32 v86, v10, v8
	v_cmpx_lt_i32_e32 15, v86
	s_cbranch_execz .LBB4_1779
; %bb.1679:                             ;   in Loop: Header=BB4_961 Depth=2
	s_cbranch_execnz .LBB4_3034
; %bb.1680:                             ;   in Loop: Header=BB4_961 Depth=2
	ds_load_b128 v[9:12], v0
	ds_load_b64 v[13:14], v0
	v_add_nc_u32_e32 v8, v8, v22
	s_bitcmp1_b32 s30, 0
	s_mov_b32 s35, 0
	s_cselect_b32 s36, -1, 0
	s_delay_alu instid0(VALU_DEP_1) | instskip(SKIP_2) | instid1(VALU_DEP_2)
	v_ashrrev_i32_e32 v15, 31, v8
	s_waitcnt lgkmcnt(1)
	v_add_co_u32 v16, vcc_lo, v9, v8
	v_add_co_ci_u32_e32 v17, vcc_lo, v10, v15, vcc_lo
	v_add_co_u32 v18, vcc_lo, v11, v8
	v_add_co_ci_u32_e32 v19, vcc_lo, v12, v15, vcc_lo
	s_waitcnt lgkmcnt(0)
	v_add_co_u32 v20, vcc_lo, v13, v8
	v_add_co_ci_u32_e32 v21, vcc_lo, v14, v15, vcc_lo
	s_branch .LBB4_1684
.LBB4_1681:                             ;   in Loop: Header=BB4_1684 Depth=3
	s_or_b32 exec_lo, exec_lo, s37
	s_delay_alu instid0(VALU_DEP_1)
	v_mov_b32_e32 v98, v96
.LBB4_1682:                             ;   in Loop: Header=BB4_1684 Depth=3
	s_or_b32 exec_lo, exec_lo, s16
	s_delay_alu instid0(VALU_DEP_1)
	v_mov_b32_e32 v15, v98
.LBB4_1683:                             ;   in Loop: Header=BB4_1684 Depth=3
	v_lshlrev_b32_e32 v8, 16, v8
	v_and_b32_e32 v11, 0xffff, v87
	v_lshlrev_b32_e32 v14, 16, v14
	v_and_b32_e32 v13, 0xffff, v13
	;; [unrolled: 2-line block ×3, first 2 shown]
	v_or_b32_e32 v8, v8, v11
	v_lshlrev_b32_e32 v11, 16, v15
	v_and_b32_e32 v10, 0xffff, v10
	v_or_b32_e32 v13, v14, v13
	v_add_co_u32 v16, vcc_lo, v16, v131
	v_or3_b32 v9, v12, v9, 0
	v_or3_b32 v8, 0, 0, v8
	;; [unrolled: 1-line block ×4, first 2 shown]
	v_sub_nc_u32_e32 v86, v86, v115
	v_add_co_ci_u32_e32 v17, vcc_lo, v17, v132, vcc_lo
	v_add_co_u32 v18, vcc_lo, v18, v131
	v_add_co_ci_u32_e32 v19, vcc_lo, v19, v132, vcc_lo
	global_store_b128 v[20:21], v[8:11], off glc slc dlc
	v_cmp_gt_i32_e32 vcc_lo, 16, v86
	v_add_co_u32 v20, s14, v20, v131
	s_delay_alu instid0(VALU_DEP_1) | instskip(SKIP_2) | instid1(SALU_CYCLE_1)
	v_add_co_ci_u32_e64 v21, s14, v21, v132, s14
	v_sub_nc_u32_e32 v85, v85, v113
	s_or_b32 s35, vcc_lo, s35
	s_and_not1_b32 exec_lo, exec_lo, s35
	s_cbranch_execz .LBB4_1778
.LBB4_1684:                             ;   Parent Loop BB4_51 Depth=1
                                        ;     Parent Loop BB4_961 Depth=2
                                        ; =>    This Inner Loop Header: Depth=3
	global_load_b128 v[12:15], v[16:17], off slc dlc
	global_load_b128 v[8:11], v[18:19], off slc dlc
	s_mov_b32 s16, -1
	s_and_b32 vcc_lo, exec_lo, s36
	s_waitcnt vmcnt(1)
	v_and_b32_e32 v87, 0x7fff, v12
	s_waitcnt vmcnt(0)
	v_and_b32_e32 v96, 0x7fff, v8
	v_perm_b32 v97, v8, v12, 0x5040100
	s_delay_alu instid0(VALU_DEP_3) | instskip(NEXT) | instid1(VALU_DEP_3)
	v_cmp_lt_u16_e64 s14, 0x7c00, v87
	v_cmp_gt_u16_e64 s15, 0x7c01, v96
                                        ; implicit-def: $vgpr87
	s_delay_alu instid0(VALU_DEP_1) | instskip(NEXT) | instid1(SALU_CYCLE_1)
	s_and_b32 s37, s14, s15
	s_xor_b32 s37, s37, -1
	s_cbranch_vccz .LBB4_1690
; %bb.1685:                             ;   in Loop: Header=BB4_1684 Depth=3
	v_mov_b32_e32 v87, v8
	s_and_saveexec_b32 s38, s37
	s_cbranch_execz .LBB4_1689
; %bb.1686:                             ;   in Loop: Header=BB4_1684 Depth=3
	v_mov_b32_e32 v87, v12
	s_or_b32 s16, s14, s15
	s_delay_alu instid0(SALU_CYCLE_1)
	s_and_saveexec_b32 s39, s16
; %bb.1687:                             ;   in Loop: Header=BB4_1684 Depth=3
	v_lshrrev_b32_e32 v87, 16, v97
	v_cmp_lt_u16_e32 vcc_lo, 0x7c00, v96
	s_delay_alu instid0(VALU_DEP_2) | instskip(NEXT) | instid1(VALU_DEP_1)
	v_cmp_gt_f16_e64 s16, v97, v87
	v_cndmask_b32_e64 v87, v87, v97, s16
	s_and_b32 s16, s14, vcc_lo
	s_delay_alu instid0(VALU_DEP_1) | instid1(SALU_CYCLE_1)
	v_cndmask_b32_e64 v87, v87, 0x7fff, s16
; %bb.1688:                             ;   in Loop: Header=BB4_1684 Depth=3
	s_or_b32 exec_lo, exec_lo, s39
.LBB4_1689:                             ;   in Loop: Header=BB4_1684 Depth=3
	s_delay_alu instid0(SALU_CYCLE_1)
	s_or_b32 exec_lo, exec_lo, s38
	s_mov_b32 s16, 0
.LBB4_1690:                             ;   in Loop: Header=BB4_1684 Depth=3
	s_delay_alu instid0(SALU_CYCLE_1)
	s_and_not1_b32 vcc_lo, exec_lo, s16
	s_cbranch_vccnz .LBB4_1696
; %bb.1691:                             ;   in Loop: Header=BB4_1684 Depth=3
	v_mov_b32_e32 v87, v8
	s_and_saveexec_b32 s16, s37
	s_cbranch_execz .LBB4_1695
; %bb.1692:                             ;   in Loop: Header=BB4_1684 Depth=3
	v_mov_b32_e32 v87, v12
	s_or_b32 s15, s14, s15
	s_delay_alu instid0(SALU_CYCLE_1)
	s_and_saveexec_b32 s37, s15
; %bb.1693:                             ;   in Loop: Header=BB4_1684 Depth=3
	v_lshrrev_b32_e32 v87, 16, v97
	v_cmp_lt_u16_e32 vcc_lo, 0x7c00, v96
	s_delay_alu instid0(VALU_DEP_2) | instskip(SKIP_1) | instid1(VALU_DEP_1)
	v_cmp_gt_f16_e64 s15, v97, v87
	s_and_b32 s14, s14, vcc_lo
	v_cndmask_b32_e64 v87, v97, v87, s15
	s_delay_alu instid0(VALU_DEP_1)
	v_cndmask_b32_e64 v87, v87, 0x7fff, s14
; %bb.1694:                             ;   in Loop: Header=BB4_1684 Depth=3
	s_or_b32 exec_lo, exec_lo, s37
.LBB4_1695:                             ;   in Loop: Header=BB4_1684 Depth=3
	s_delay_alu instid0(SALU_CYCLE_1)
	s_or_b32 exec_lo, exec_lo, s16
.LBB4_1696:                             ;   in Loop: Header=BB4_1684 Depth=3
	v_mov_b32_e32 v99, v12
	v_mov_b32_e32 v150, v8
	;; [unrolled: 1-line block ×4, first 2 shown]
	s_mov_b32 s16, -1
	v_lshrrev_b32_e32 v96, 16, v99
	v_lshrrev_b32_e32 v98, 16, v150
	s_and_b32 vcc_lo, exec_lo, s36
	s_delay_alu instid0(VALU_DEP_2) | instskip(NEXT) | instid1(VALU_DEP_2)
	v_and_b32_e32 v8, 0x7fff, v96
	v_and_b32_e32 v97, 0x7fff, v98
	v_perm_b32 v9, v150, v99, 0x7060302
	s_delay_alu instid0(VALU_DEP_3) | instskip(NEXT) | instid1(VALU_DEP_3)
	v_cmp_lt_u16_e64 s14, 0x7c00, v8
	v_cmp_gt_u16_e64 s15, 0x7c01, v97
                                        ; implicit-def: $vgpr8
	s_delay_alu instid0(VALU_DEP_1) | instskip(NEXT) | instid1(SALU_CYCLE_1)
	s_and_b32 s37, s14, s15
	s_xor_b32 s37, s37, -1
	s_cbranch_vccz .LBB4_1702
; %bb.1697:                             ;   in Loop: Header=BB4_1684 Depth=3
	v_mov_b32_e32 v8, v98
	s_and_saveexec_b32 s38, s37
	s_cbranch_execz .LBB4_1701
; %bb.1698:                             ;   in Loop: Header=BB4_1684 Depth=3
	v_mov_b32_e32 v8, v96
	s_or_b32 s16, s14, s15
	s_delay_alu instid0(SALU_CYCLE_1)
	s_and_saveexec_b32 s39, s16
; %bb.1699:                             ;   in Loop: Header=BB4_1684 Depth=3
	v_lshrrev_b32_e32 v8, 16, v9
	v_cmp_lt_u16_e32 vcc_lo, 0x7c00, v97
	s_delay_alu instid0(VALU_DEP_2) | instskip(NEXT) | instid1(VALU_DEP_1)
	v_cmp_gt_f16_e64 s16, v9, v8
	v_cndmask_b32_e64 v8, v8, v9, s16
	s_and_b32 s16, s14, vcc_lo
	s_delay_alu instid0(VALU_DEP_1) | instid1(SALU_CYCLE_1)
	v_cndmask_b32_e64 v8, v8, 0x7fff, s16
; %bb.1700:                             ;   in Loop: Header=BB4_1684 Depth=3
	s_or_b32 exec_lo, exec_lo, s39
.LBB4_1701:                             ;   in Loop: Header=BB4_1684 Depth=3
	s_delay_alu instid0(SALU_CYCLE_1)
	s_or_b32 exec_lo, exec_lo, s38
	s_mov_b32 s16, 0
.LBB4_1702:                             ;   in Loop: Header=BB4_1684 Depth=3
	s_delay_alu instid0(SALU_CYCLE_1)
	s_and_not1_b32 vcc_lo, exec_lo, s16
	s_cbranch_vccnz .LBB4_1708
; %bb.1703:                             ;   in Loop: Header=BB4_1684 Depth=3
	s_and_saveexec_b32 s16, s37
	s_cbranch_execz .LBB4_1707
; %bb.1704:                             ;   in Loop: Header=BB4_1684 Depth=3
	s_or_b32 s15, s14, s15
	s_delay_alu instid0(SALU_CYCLE_1)
	s_and_saveexec_b32 s37, s15
; %bb.1705:                             ;   in Loop: Header=BB4_1684 Depth=3
	v_lshrrev_b32_e32 v8, 16, v9
	v_cmp_lt_u16_e32 vcc_lo, 0x7c00, v97
	s_delay_alu instid0(VALU_DEP_2) | instskip(SKIP_1) | instid1(VALU_DEP_1)
	v_cmp_gt_f16_e64 s15, v9, v8
	s_and_b32 s14, s14, vcc_lo
	v_cndmask_b32_e64 v8, v9, v8, s15
	s_delay_alu instid0(VALU_DEP_1)
	v_cndmask_b32_e64 v96, v8, 0x7fff, s14
; %bb.1706:                             ;   in Loop: Header=BB4_1684 Depth=3
	s_or_b32 exec_lo, exec_lo, s37
	s_delay_alu instid0(VALU_DEP_1)
	v_mov_b32_e32 v98, v96
.LBB4_1707:                             ;   in Loop: Header=BB4_1684 Depth=3
	s_or_b32 exec_lo, exec_lo, s16
	s_delay_alu instid0(VALU_DEP_1)
	v_mov_b32_e32 v8, v98
.LBB4_1708:                             ;   in Loop: Header=BB4_1684 Depth=3
	v_and_b32_e32 v9, 0x7fff, v12
	v_and_b32_e32 v96, 0x7fff, v13
	v_perm_b32 v97, v13, v12, 0x5040100
	s_mov_b32 s16, -1
	s_and_b32 vcc_lo, exec_lo, s36
	v_cmp_lt_u16_e64 s14, 0x7c00, v9
	v_cmp_gt_u16_e64 s15, 0x7c01, v96
                                        ; implicit-def: $vgpr9
	s_delay_alu instid0(VALU_DEP_1) | instskip(NEXT) | instid1(SALU_CYCLE_1)
	s_and_b32 s37, s14, s15
	s_xor_b32 s37, s37, -1
	s_cbranch_vccz .LBB4_1714
; %bb.1709:                             ;   in Loop: Header=BB4_1684 Depth=3
	v_mov_b32_e32 v9, v13
	s_and_saveexec_b32 s38, s37
	s_cbranch_execz .LBB4_1713
; %bb.1710:                             ;   in Loop: Header=BB4_1684 Depth=3
	v_mov_b32_e32 v9, v12
	s_or_b32 s16, s14, s15
	s_delay_alu instid0(SALU_CYCLE_1)
	s_and_saveexec_b32 s39, s16
; %bb.1711:                             ;   in Loop: Header=BB4_1684 Depth=3
	v_lshrrev_b32_e32 v9, 16, v97
	v_cmp_lt_u16_e32 vcc_lo, 0x7c00, v96
	s_delay_alu instid0(VALU_DEP_2) | instskip(NEXT) | instid1(VALU_DEP_1)
	v_cmp_gt_f16_e64 s16, v97, v9
	v_cndmask_b32_e64 v9, v9, v97, s16
	s_and_b32 s16, s14, vcc_lo
	s_delay_alu instid0(VALU_DEP_1) | instid1(SALU_CYCLE_1)
	v_cndmask_b32_e64 v9, v9, 0x7fff, s16
; %bb.1712:                             ;   in Loop: Header=BB4_1684 Depth=3
	s_or_b32 exec_lo, exec_lo, s39
.LBB4_1713:                             ;   in Loop: Header=BB4_1684 Depth=3
	s_delay_alu instid0(SALU_CYCLE_1)
	s_or_b32 exec_lo, exec_lo, s38
	s_mov_b32 s16, 0
.LBB4_1714:                             ;   in Loop: Header=BB4_1684 Depth=3
	s_delay_alu instid0(SALU_CYCLE_1)
	s_and_not1_b32 vcc_lo, exec_lo, s16
	s_cbranch_vccnz .LBB4_1720
; %bb.1715:                             ;   in Loop: Header=BB4_1684 Depth=3
	v_mov_b32_e32 v9, v13
	s_and_saveexec_b32 s16, s37
	s_cbranch_execz .LBB4_1719
; %bb.1716:                             ;   in Loop: Header=BB4_1684 Depth=3
	v_mov_b32_e32 v9, v12
	s_or_b32 s15, s14, s15
	s_delay_alu instid0(SALU_CYCLE_1)
	s_and_saveexec_b32 s37, s15
; %bb.1717:                             ;   in Loop: Header=BB4_1684 Depth=3
	v_lshrrev_b32_e32 v9, 16, v97
	v_cmp_lt_u16_e32 vcc_lo, 0x7c00, v96
	s_delay_alu instid0(VALU_DEP_2) | instskip(SKIP_1) | instid1(VALU_DEP_1)
	v_cmp_gt_f16_e64 s15, v97, v9
	s_and_b32 s14, s14, vcc_lo
	v_cndmask_b32_e64 v9, v97, v9, s15
	s_delay_alu instid0(VALU_DEP_1)
	v_cndmask_b32_e64 v9, v9, 0x7fff, s14
; %bb.1718:                             ;   in Loop: Header=BB4_1684 Depth=3
	s_or_b32 exec_lo, exec_lo, s37
.LBB4_1719:                             ;   in Loop: Header=BB4_1684 Depth=3
	s_delay_alu instid0(SALU_CYCLE_1)
	s_or_b32 exec_lo, exec_lo, s16
.LBB4_1720:                             ;   in Loop: Header=BB4_1684 Depth=3
	v_lshrrev_b32_e32 v96, 16, v12
	v_lshrrev_b32_e32 v98, 16, v13
	v_perm_b32 v13, v13, v12, 0x7060302
	s_mov_b32 s16, -1
	s_and_b32 vcc_lo, exec_lo, s36
	v_and_b32_e32 v99, 0x7fff, v96
	v_and_b32_e32 v97, 0x7fff, v98
                                        ; implicit-def: $vgpr12
	s_delay_alu instid0(VALU_DEP_2) | instskip(NEXT) | instid1(VALU_DEP_2)
	v_cmp_lt_u16_e64 s14, 0x7c00, v99
	v_cmp_gt_u16_e64 s15, 0x7c01, v97
	s_delay_alu instid0(VALU_DEP_1) | instskip(NEXT) | instid1(SALU_CYCLE_1)
	s_and_b32 s37, s14, s15
	s_xor_b32 s37, s37, -1
	s_cbranch_vccz .LBB4_1726
; %bb.1721:                             ;   in Loop: Header=BB4_1684 Depth=3
	v_mov_b32_e32 v12, v98
	s_and_saveexec_b32 s38, s37
	s_cbranch_execz .LBB4_1725
; %bb.1722:                             ;   in Loop: Header=BB4_1684 Depth=3
	v_mov_b32_e32 v12, v96
	s_or_b32 s16, s14, s15
	s_delay_alu instid0(SALU_CYCLE_1)
	s_and_saveexec_b32 s39, s16
; %bb.1723:                             ;   in Loop: Header=BB4_1684 Depth=3
	v_lshrrev_b32_e32 v12, 16, v13
	v_cmp_lt_u16_e32 vcc_lo, 0x7c00, v97
	s_delay_alu instid0(VALU_DEP_2) | instskip(NEXT) | instid1(VALU_DEP_1)
	v_cmp_gt_f16_e64 s16, v13, v12
	v_cndmask_b32_e64 v12, v12, v13, s16
	s_and_b32 s16, s14, vcc_lo
	s_delay_alu instid0(VALU_DEP_1) | instid1(SALU_CYCLE_1)
	v_cndmask_b32_e64 v12, v12, 0x7fff, s16
; %bb.1724:                             ;   in Loop: Header=BB4_1684 Depth=3
	s_or_b32 exec_lo, exec_lo, s39
.LBB4_1725:                             ;   in Loop: Header=BB4_1684 Depth=3
	s_delay_alu instid0(SALU_CYCLE_1)
	s_or_b32 exec_lo, exec_lo, s38
	s_mov_b32 s16, 0
.LBB4_1726:                             ;   in Loop: Header=BB4_1684 Depth=3
	s_delay_alu instid0(SALU_CYCLE_1)
	s_and_not1_b32 vcc_lo, exec_lo, s16
	s_cbranch_vccnz .LBB4_1732
; %bb.1727:                             ;   in Loop: Header=BB4_1684 Depth=3
	s_and_saveexec_b32 s16, s37
	s_cbranch_execz .LBB4_1731
; %bb.1728:                             ;   in Loop: Header=BB4_1684 Depth=3
	s_or_b32 s15, s14, s15
	s_delay_alu instid0(SALU_CYCLE_1)
	s_and_saveexec_b32 s37, s15
; %bb.1729:                             ;   in Loop: Header=BB4_1684 Depth=3
	v_lshrrev_b32_e32 v12, 16, v13
	v_cmp_lt_u16_e32 vcc_lo, 0x7c00, v97
	s_delay_alu instid0(VALU_DEP_2) | instskip(SKIP_1) | instid1(VALU_DEP_1)
	v_cmp_gt_f16_e64 s15, v13, v12
	s_and_b32 s14, s14, vcc_lo
	v_cndmask_b32_e64 v12, v13, v12, s15
	s_delay_alu instid0(VALU_DEP_1)
	v_cndmask_b32_e64 v96, v12, 0x7fff, s14
; %bb.1730:                             ;   in Loop: Header=BB4_1684 Depth=3
	s_or_b32 exec_lo, exec_lo, s37
	s_delay_alu instid0(VALU_DEP_1)
	v_mov_b32_e32 v98, v96
.LBB4_1731:                             ;   in Loop: Header=BB4_1684 Depth=3
	s_or_b32 exec_lo, exec_lo, s16
	s_delay_alu instid0(VALU_DEP_1)
	v_mov_b32_e32 v12, v98
.LBB4_1732:                             ;   in Loop: Header=BB4_1684 Depth=3
	v_and_b32_e32 v13, 0x7fff, v14
	v_and_b32_e32 v96, 0x7fff, v10
	v_perm_b32 v97, v10, v14, 0x5040100
	s_mov_b32 s16, -1
	s_and_b32 vcc_lo, exec_lo, s36
	v_cmp_lt_u16_e64 s14, 0x7c00, v13
	v_cmp_gt_u16_e64 s15, 0x7c01, v96
                                        ; implicit-def: $vgpr13
	s_delay_alu instid0(VALU_DEP_1) | instskip(NEXT) | instid1(SALU_CYCLE_1)
	s_and_b32 s37, s14, s15
	s_xor_b32 s37, s37, -1
	s_cbranch_vccz .LBB4_1738
; %bb.1733:                             ;   in Loop: Header=BB4_1684 Depth=3
	v_mov_b32_e32 v13, v10
	s_and_saveexec_b32 s38, s37
	s_cbranch_execz .LBB4_1737
; %bb.1734:                             ;   in Loop: Header=BB4_1684 Depth=3
	v_mov_b32_e32 v13, v14
	s_or_b32 s16, s14, s15
	s_delay_alu instid0(SALU_CYCLE_1)
	s_and_saveexec_b32 s39, s16
; %bb.1735:                             ;   in Loop: Header=BB4_1684 Depth=3
	v_lshrrev_b32_e32 v13, 16, v97
	v_cmp_lt_u16_e32 vcc_lo, 0x7c00, v96
	s_delay_alu instid0(VALU_DEP_2) | instskip(NEXT) | instid1(VALU_DEP_1)
	v_cmp_gt_f16_e64 s16, v97, v13
	v_cndmask_b32_e64 v13, v13, v97, s16
	s_and_b32 s16, s14, vcc_lo
	s_delay_alu instid0(VALU_DEP_1) | instid1(SALU_CYCLE_1)
	v_cndmask_b32_e64 v13, v13, 0x7fff, s16
; %bb.1736:                             ;   in Loop: Header=BB4_1684 Depth=3
	s_or_b32 exec_lo, exec_lo, s39
.LBB4_1737:                             ;   in Loop: Header=BB4_1684 Depth=3
	s_delay_alu instid0(SALU_CYCLE_1)
	s_or_b32 exec_lo, exec_lo, s38
	s_mov_b32 s16, 0
.LBB4_1738:                             ;   in Loop: Header=BB4_1684 Depth=3
	s_delay_alu instid0(SALU_CYCLE_1)
	s_and_not1_b32 vcc_lo, exec_lo, s16
	s_cbranch_vccnz .LBB4_1744
; %bb.1739:                             ;   in Loop: Header=BB4_1684 Depth=3
	v_mov_b32_e32 v13, v10
	s_and_saveexec_b32 s16, s37
	s_cbranch_execz .LBB4_1743
; %bb.1740:                             ;   in Loop: Header=BB4_1684 Depth=3
	v_mov_b32_e32 v13, v14
	s_or_b32 s15, s14, s15
	s_delay_alu instid0(SALU_CYCLE_1)
	s_and_saveexec_b32 s37, s15
; %bb.1741:                             ;   in Loop: Header=BB4_1684 Depth=3
	v_lshrrev_b32_e32 v13, 16, v97
	v_cmp_lt_u16_e32 vcc_lo, 0x7c00, v96
	s_delay_alu instid0(VALU_DEP_2) | instskip(SKIP_1) | instid1(VALU_DEP_1)
	v_cmp_gt_f16_e64 s15, v97, v13
	s_and_b32 s14, s14, vcc_lo
	v_cndmask_b32_e64 v13, v97, v13, s15
	s_delay_alu instid0(VALU_DEP_1)
	v_cndmask_b32_e64 v13, v13, 0x7fff, s14
; %bb.1742:                             ;   in Loop: Header=BB4_1684 Depth=3
	s_or_b32 exec_lo, exec_lo, s37
.LBB4_1743:                             ;   in Loop: Header=BB4_1684 Depth=3
	s_delay_alu instid0(SALU_CYCLE_1)
	s_or_b32 exec_lo, exec_lo, s16
.LBB4_1744:                             ;   in Loop: Header=BB4_1684 Depth=3
	v_mov_b32_e32 v99, v14
	v_lshrrev_b32_e32 v98, 16, v10
	s_mov_b32 s16, -1
	s_and_b32 vcc_lo, exec_lo, s36
	s_delay_alu instid0(VALU_DEP_2) | instskip(NEXT) | instid1(VALU_DEP_2)
	v_lshrrev_b32_e32 v96, 16, v99
	v_and_b32_e32 v97, 0x7fff, v98
	s_delay_alu instid0(VALU_DEP_2) | instskip(NEXT) | instid1(VALU_DEP_2)
	v_and_b32_e32 v14, 0x7fff, v96
	v_cmp_gt_u16_e64 s15, 0x7c01, v97
	v_perm_b32 v10, v10, v99, 0x7060302
	s_delay_alu instid0(VALU_DEP_3) | instskip(NEXT) | instid1(VALU_DEP_1)
	v_cmp_lt_u16_e64 s14, 0x7c00, v14
                                        ; implicit-def: $vgpr14
	s_and_b32 s37, s14, s15
	s_delay_alu instid0(SALU_CYCLE_1)
	s_xor_b32 s37, s37, -1
	s_cbranch_vccz .LBB4_1750
; %bb.1745:                             ;   in Loop: Header=BB4_1684 Depth=3
	v_mov_b32_e32 v14, v98
	s_and_saveexec_b32 s38, s37
	s_cbranch_execz .LBB4_1749
; %bb.1746:                             ;   in Loop: Header=BB4_1684 Depth=3
	v_mov_b32_e32 v14, v96
	s_or_b32 s16, s14, s15
	s_delay_alu instid0(SALU_CYCLE_1)
	s_and_saveexec_b32 s39, s16
; %bb.1747:                             ;   in Loop: Header=BB4_1684 Depth=3
	v_lshrrev_b32_e32 v14, 16, v10
	v_cmp_lt_u16_e32 vcc_lo, 0x7c00, v97
	s_delay_alu instid0(VALU_DEP_2) | instskip(NEXT) | instid1(VALU_DEP_1)
	v_cmp_gt_f16_e64 s16, v10, v14
	v_cndmask_b32_e64 v14, v14, v10, s16
	s_and_b32 s16, s14, vcc_lo
	s_delay_alu instid0(VALU_DEP_1) | instid1(SALU_CYCLE_1)
	v_cndmask_b32_e64 v14, v14, 0x7fff, s16
; %bb.1748:                             ;   in Loop: Header=BB4_1684 Depth=3
	s_or_b32 exec_lo, exec_lo, s39
.LBB4_1749:                             ;   in Loop: Header=BB4_1684 Depth=3
	s_delay_alu instid0(SALU_CYCLE_1)
	s_or_b32 exec_lo, exec_lo, s38
	s_mov_b32 s16, 0
.LBB4_1750:                             ;   in Loop: Header=BB4_1684 Depth=3
	s_delay_alu instid0(SALU_CYCLE_1)
	s_and_not1_b32 vcc_lo, exec_lo, s16
	s_cbranch_vccnz .LBB4_1756
; %bb.1751:                             ;   in Loop: Header=BB4_1684 Depth=3
	s_and_saveexec_b32 s16, s37
	s_cbranch_execz .LBB4_1755
; %bb.1752:                             ;   in Loop: Header=BB4_1684 Depth=3
	s_or_b32 s15, s14, s15
	s_delay_alu instid0(SALU_CYCLE_1)
	s_and_saveexec_b32 s37, s15
; %bb.1753:                             ;   in Loop: Header=BB4_1684 Depth=3
	v_lshrrev_b32_e32 v14, 16, v10
	v_cmp_lt_u16_e32 vcc_lo, 0x7c00, v97
	s_delay_alu instid0(VALU_DEP_2) | instskip(SKIP_1) | instid1(VALU_DEP_1)
	v_cmp_gt_f16_e64 s15, v10, v14
	s_and_b32 s14, s14, vcc_lo
	v_cndmask_b32_e64 v10, v10, v14, s15
	s_delay_alu instid0(VALU_DEP_1)
	v_cndmask_b32_e64 v96, v10, 0x7fff, s14
; %bb.1754:                             ;   in Loop: Header=BB4_1684 Depth=3
	s_or_b32 exec_lo, exec_lo, s37
	s_delay_alu instid0(VALU_DEP_1)
	v_mov_b32_e32 v98, v96
.LBB4_1755:                             ;   in Loop: Header=BB4_1684 Depth=3
	s_or_b32 exec_lo, exec_lo, s16
	s_delay_alu instid0(VALU_DEP_1)
	v_mov_b32_e32 v14, v98
.LBB4_1756:                             ;   in Loop: Header=BB4_1684 Depth=3
	v_and_b32_e32 v10, 0x7fff, v15
	v_and_b32_e32 v96, 0x7fff, v11
	v_perm_b32 v97, v11, v15, 0x5040100
	s_mov_b32 s16, -1
	s_and_b32 vcc_lo, exec_lo, s36
	v_cmp_lt_u16_e64 s14, 0x7c00, v10
	v_cmp_gt_u16_e64 s15, 0x7c01, v96
                                        ; implicit-def: $vgpr10
	s_delay_alu instid0(VALU_DEP_1) | instskip(NEXT) | instid1(SALU_CYCLE_1)
	s_and_b32 s37, s14, s15
	s_xor_b32 s37, s37, -1
	s_cbranch_vccz .LBB4_1762
; %bb.1757:                             ;   in Loop: Header=BB4_1684 Depth=3
	v_mov_b32_e32 v10, v11
	s_and_saveexec_b32 s38, s37
	s_cbranch_execz .LBB4_1761
; %bb.1758:                             ;   in Loop: Header=BB4_1684 Depth=3
	v_mov_b32_e32 v10, v15
	s_or_b32 s16, s14, s15
	s_delay_alu instid0(SALU_CYCLE_1)
	s_and_saveexec_b32 s39, s16
; %bb.1759:                             ;   in Loop: Header=BB4_1684 Depth=3
	v_lshrrev_b32_e32 v10, 16, v97
	v_cmp_lt_u16_e32 vcc_lo, 0x7c00, v96
	s_delay_alu instid0(VALU_DEP_2) | instskip(NEXT) | instid1(VALU_DEP_1)
	v_cmp_gt_f16_e64 s16, v97, v10
	v_cndmask_b32_e64 v10, v10, v97, s16
	s_and_b32 s16, s14, vcc_lo
	s_delay_alu instid0(VALU_DEP_1) | instid1(SALU_CYCLE_1)
	v_cndmask_b32_e64 v10, v10, 0x7fff, s16
; %bb.1760:                             ;   in Loop: Header=BB4_1684 Depth=3
	s_or_b32 exec_lo, exec_lo, s39
.LBB4_1761:                             ;   in Loop: Header=BB4_1684 Depth=3
	s_delay_alu instid0(SALU_CYCLE_1)
	s_or_b32 exec_lo, exec_lo, s38
	s_mov_b32 s16, 0
.LBB4_1762:                             ;   in Loop: Header=BB4_1684 Depth=3
	s_delay_alu instid0(SALU_CYCLE_1)
	s_and_not1_b32 vcc_lo, exec_lo, s16
	s_cbranch_vccnz .LBB4_1768
; %bb.1763:                             ;   in Loop: Header=BB4_1684 Depth=3
	v_mov_b32_e32 v10, v11
	s_and_saveexec_b32 s16, s37
	s_cbranch_execz .LBB4_1767
; %bb.1764:                             ;   in Loop: Header=BB4_1684 Depth=3
	v_mov_b32_e32 v10, v15
	s_or_b32 s15, s14, s15
	s_delay_alu instid0(SALU_CYCLE_1)
	s_and_saveexec_b32 s37, s15
; %bb.1765:                             ;   in Loop: Header=BB4_1684 Depth=3
	v_lshrrev_b32_e32 v10, 16, v97
	v_cmp_lt_u16_e32 vcc_lo, 0x7c00, v96
	s_delay_alu instid0(VALU_DEP_2) | instskip(SKIP_1) | instid1(VALU_DEP_1)
	v_cmp_gt_f16_e64 s15, v97, v10
	s_and_b32 s14, s14, vcc_lo
	v_cndmask_b32_e64 v10, v97, v10, s15
	s_delay_alu instid0(VALU_DEP_1)
	v_cndmask_b32_e64 v10, v10, 0x7fff, s14
; %bb.1766:                             ;   in Loop: Header=BB4_1684 Depth=3
	s_or_b32 exec_lo, exec_lo, s37
.LBB4_1767:                             ;   in Loop: Header=BB4_1684 Depth=3
	s_delay_alu instid0(SALU_CYCLE_1)
	s_or_b32 exec_lo, exec_lo, s16
.LBB4_1768:                             ;   in Loop: Header=BB4_1684 Depth=3
	v_lshrrev_b32_e32 v96, 16, v15
	v_lshrrev_b32_e32 v98, 16, v11
	v_perm_b32 v11, v11, v15, 0x7060302
	s_mov_b32 s16, -1
	s_and_b32 vcc_lo, exec_lo, s36
	v_and_b32_e32 v99, 0x7fff, v96
	v_and_b32_e32 v97, 0x7fff, v98
                                        ; implicit-def: $vgpr15
	s_delay_alu instid0(VALU_DEP_2) | instskip(NEXT) | instid1(VALU_DEP_2)
	v_cmp_lt_u16_e64 s14, 0x7c00, v99
	v_cmp_gt_u16_e64 s15, 0x7c01, v97
	s_delay_alu instid0(VALU_DEP_1) | instskip(NEXT) | instid1(SALU_CYCLE_1)
	s_and_b32 s37, s14, s15
	s_xor_b32 s37, s37, -1
	s_cbranch_vccz .LBB4_1774
; %bb.1769:                             ;   in Loop: Header=BB4_1684 Depth=3
	v_mov_b32_e32 v15, v98
	s_and_saveexec_b32 s38, s37
	s_cbranch_execz .LBB4_1773
; %bb.1770:                             ;   in Loop: Header=BB4_1684 Depth=3
	v_mov_b32_e32 v15, v96
	s_or_b32 s16, s14, s15
	s_delay_alu instid0(SALU_CYCLE_1)
	s_and_saveexec_b32 s39, s16
; %bb.1771:                             ;   in Loop: Header=BB4_1684 Depth=3
	v_lshrrev_b32_e32 v15, 16, v11
	v_cmp_lt_u16_e32 vcc_lo, 0x7c00, v97
	s_delay_alu instid0(VALU_DEP_2) | instskip(NEXT) | instid1(VALU_DEP_1)
	v_cmp_gt_f16_e64 s16, v11, v15
	v_cndmask_b32_e64 v15, v15, v11, s16
	s_and_b32 s16, s14, vcc_lo
	s_delay_alu instid0(VALU_DEP_1) | instid1(SALU_CYCLE_1)
	v_cndmask_b32_e64 v15, v15, 0x7fff, s16
; %bb.1772:                             ;   in Loop: Header=BB4_1684 Depth=3
	s_or_b32 exec_lo, exec_lo, s39
.LBB4_1773:                             ;   in Loop: Header=BB4_1684 Depth=3
	s_delay_alu instid0(SALU_CYCLE_1)
	s_or_b32 exec_lo, exec_lo, s38
	s_mov_b32 s16, 0
.LBB4_1774:                             ;   in Loop: Header=BB4_1684 Depth=3
	s_delay_alu instid0(SALU_CYCLE_1)
	s_and_not1_b32 vcc_lo, exec_lo, s16
	s_cbranch_vccnz .LBB4_1683
; %bb.1775:                             ;   in Loop: Header=BB4_1684 Depth=3
	s_and_saveexec_b32 s16, s37
	s_cbranch_execz .LBB4_1682
; %bb.1776:                             ;   in Loop: Header=BB4_1684 Depth=3
	s_or_b32 s15, s14, s15
	s_delay_alu instid0(SALU_CYCLE_1)
	s_and_saveexec_b32 s37, s15
	s_cbranch_execz .LBB4_1681
; %bb.1777:                             ;   in Loop: Header=BB4_1684 Depth=3
	v_lshrrev_b32_e32 v15, 16, v11
	v_cmp_lt_u16_e32 vcc_lo, 0x7c00, v97
	s_delay_alu instid0(VALU_DEP_2) | instskip(SKIP_1) | instid1(VALU_DEP_1)
	v_cmp_gt_f16_e64 s15, v11, v15
	s_and_b32 s14, s14, vcc_lo
	v_cndmask_b32_e64 v11, v11, v15, s15
	s_delay_alu instid0(VALU_DEP_1)
	v_cndmask_b32_e64 v96, v11, 0x7fff, s14
	s_branch .LBB4_1681
.LBB4_1778:                             ;   in Loop: Header=BB4_961 Depth=2
	s_or_b32 exec_lo, exec_lo, s35
.LBB4_1779:                             ;   in Loop: Header=BB4_961 Depth=2
	s_delay_alu instid0(SALU_CYCLE_1) | instskip(SKIP_3) | instid1(VALU_DEP_1)
	s_or_b32 exec_lo, exec_lo, s34
	v_dual_mov_b32 v14, 0 :: v_dual_and_b32 v9, 14, v2
	s_mov_b32 s14, 0
	s_mov_b32 s15, exec_lo
                                        ; implicit-def: $vgpr15
                                        ; implicit-def: $vgpr8
	v_cndmask_b32_e64 v2, v84, v9, s13
	s_delay_alu instid0(VALU_DEP_1)
	v_cmpx_ne_u32_e32 0, v2
	s_cbranch_execz .LBB4_1781
; %bb.1780:                             ;   in Loop: Header=BB4_961 Depth=2
	v_cmp_lt_i32_e32 vcc_lo, 0, v85
	v_sub_nc_u32_e32 v9, v84, v9
	s_mov_b32 s14, exec_lo
	v_cndmask_b32_e32 v8, 0, v113, vcc_lo
	s_delay_alu instid0(VALU_DEP_2) | instskip(NEXT) | instid1(VALU_DEP_2)
	v_cndmask_b32_e64 v9, 0, v9, s13
	v_sub_nc_u32_e32 v8, v8, v85
	s_delay_alu instid0(VALU_DEP_2) | instskip(NEXT) | instid1(VALU_DEP_2)
	v_add3_u32 v14, v23, v22, v9
	v_lshl_add_u32 v15, v8, 5, v81
	s_delay_alu instid0(VALU_DEP_1) | instskip(NEXT) | instid1(VALU_DEP_1)
	v_ashrrev_i32_e32 v8, 31, v15
	v_lshrrev_b32_e32 v8, 27, v8
	s_delay_alu instid0(VALU_DEP_1) | instskip(NEXT) | instid1(VALU_DEP_1)
	v_add_nc_u32_e32 v8, v15, v8
	v_ashrrev_i32_e32 v8, 5, v8
.LBB4_1781:                             ;   in Loop: Header=BB4_961 Depth=2
	s_or_b32 exec_lo, exec_lo, s15
	s_delay_alu instid0(SALU_CYCLE_1)
	s_and_b32 s13, s14, exec_lo
.LBB4_1782:                             ;   in Loop: Header=BB4_961 Depth=2
	s_or_b32 exec_lo, exec_lo, s31
.LBB4_1783:                             ;   in Loop: Header=BB4_961 Depth=2
	s_and_saveexec_b32 s16, s13
	s_cbranch_execz .LBB4_1903
; %bb.1784:                             ;   in Loop: Header=BB4_961 Depth=2
	v_ashrrev_i32_e32 v9, 31, v2
	s_mov_b32 s31, exec_lo
	s_delay_alu instid0(VALU_DEP_1) | instskip(NEXT) | instid1(VALU_DEP_1)
	v_lshrrev_b32_e32 v9, 23, v9
	v_add_nc_u32_e32 v9, v2, v9
	s_delay_alu instid0(VALU_DEP_1) | instskip(NEXT) | instid1(VALU_DEP_1)
	v_ashrrev_i32_e32 v17, 9, v9
	v_sub_nc_u32_e32 v16, v17, v8
	s_delay_alu instid0(VALU_DEP_1)
	v_cmpx_lt_i32_e32 0, v16
	s_cbranch_execz .LBB4_1885
; %bb.1785:                             ;   in Loop: Header=BB4_961 Depth=2
	s_cbranch_execnz .LBB4_2960
; %bb.1786:                             ;   in Loop: Header=BB4_961 Depth=2
	v_ashrrev_i32_e32 v9, 31, v15
	ds_load_b64 v[18:19], v0
	v_lshlrev_b32_e32 v8, 9, v8
	s_bitcmp1_b32 s30, 0
	s_mov_b32 s35, 0
	v_lshrrev_b32_e32 v9, 27, v9
	s_cselect_b32 s34, -1, 0
	s_delay_alu instid0(VALU_DEP_1) | instskip(NEXT) | instid1(VALU_DEP_1)
	v_add_nc_u32_e32 v9, v15, v9
	v_and_b32_e32 v9, 0x7fffffe0, v9
	s_delay_alu instid0(VALU_DEP_1)
	v_sub_nc_u32_e32 v13, v15, v9
	ds_load_b128 v[9:12], v0
	s_waitcnt lgkmcnt(1)
	v_add_co_u32 v18, vcc_lo, 0x1c0, v18
	v_add_co_ci_u32_e32 v19, vcc_lo, 0, v19, vcc_lo
	v_lshlrev_b32_e32 v13, 1, v13
	s_delay_alu instid0(VALU_DEP_1) | instskip(NEXT) | instid1(VALU_DEP_1)
	v_add3_u32 v13, v13, v14, v8
	v_ashrrev_i32_e32 v20, 31, v13
	s_waitcnt lgkmcnt(0)
	v_add_co_u32 v8, vcc_lo, v9, v13
	s_delay_alu instid0(VALU_DEP_2)
	v_add_co_ci_u32_e32 v9, vcc_lo, v10, v20, vcc_lo
	v_add_co_u32 v10, vcc_lo, v11, v13
	v_add_co_ci_u32_e32 v11, vcc_lo, v12, v20, vcc_lo
	v_add_co_u32 v12, vcc_lo, v18, v13
	v_add_co_ci_u32_e32 v13, vcc_lo, v19, v20, vcc_lo
	s_branch .LBB4_1790
.LBB4_1787:                             ;   in Loop: Header=BB4_1790 Depth=3
	s_or_b32 exec_lo, exec_lo, s36
	s_delay_alu instid0(VALU_DEP_1)
	v_mov_b32_e32 v19, v18
.LBB4_1788:                             ;   in Loop: Header=BB4_1790 Depth=3
	s_or_b32 exec_lo, exec_lo, s15
	s_delay_alu instid0(VALU_DEP_1)
	v_mov_b32_e32 v21, v19
.LBB4_1789:                             ;   in Loop: Header=BB4_1790 Depth=3
	v_add_co_u32 v18, vcc_lo, 0xfffffe40, v12
	v_add_co_ci_u32_e32 v19, vcc_lo, -1, v13, vcc_lo
	v_add_co_u32 v98, vcc_lo, 0xfffffe80, v12
	v_add_co_ci_u32_e32 v99, vcc_lo, -1, v13, vcc_lo
	v_sub_nc_u32_e32 v16, v16, v113
	flat_store_b16 v[18:19], v20 glc slc dlc
	flat_store_b16 v[98:99], v23 glc slc dlc
	v_add_co_u32 v18, vcc_lo, 0xfffffec0, v12
	v_add_co_ci_u32_e32 v19, vcc_lo, -1, v13, vcc_lo
	v_add_co_u32 v22, vcc_lo, 0xffffff00, v12
	v_add_co_ci_u32_e32 v23, vcc_lo, -1, v13, vcc_lo
	;; [unrolled: 2-line block ×5, first 2 shown]
	v_add_co_u32 v8, vcc_lo, v8, v131
	v_add_co_ci_u32_e32 v9, vcc_lo, v9, v132, vcc_lo
	v_add_co_u32 v10, vcc_lo, v10, v131
	v_add_co_ci_u32_e32 v11, vcc_lo, v11, v132, vcc_lo
	flat_store_b16 v[18:19], v85 glc slc dlc
	flat_store_b16 v[22:23], v96 glc slc dlc
	;; [unrolled: 1-line block ×6, first 2 shown]
	v_cmp_gt_i32_e32 vcc_lo, 1, v16
	v_add_co_u32 v12, s13, v12, v131
	s_delay_alu instid0(VALU_DEP_1) | instskip(SKIP_1) | instid1(SALU_CYCLE_1)
	v_add_co_ci_u32_e64 v13, s13, v13, v132, s13
	s_or_b32 s35, vcc_lo, s35
	s_and_not1_b32 exec_lo, exec_lo, s35
	s_cbranch_execz .LBB4_1884
.LBB4_1790:                             ;   Parent Loop BB4_51 Depth=1
                                        ;     Parent Loop BB4_961 Depth=2
                                        ; =>    This Inner Loop Header: Depth=3
	flat_load_u16 v23, v[8:9] slc dlc
	flat_load_u16 v151, v[10:11] slc dlc
	s_clause 0x6
	flat_load_u16 v85, v[8:9] offset:64 slc dlc
	flat_load_u16 v96, v[8:9] offset:128 slc dlc
	;; [unrolled: 1-line block ×7, first 2 shown]
	s_clause 0x6
	flat_load_u16 v150, v[10:11] offset:64 slc dlc
	flat_load_u16 v99, v[10:11] offset:128 slc dlc
	;; [unrolled: 1-line block ×7, first 2 shown]
	s_mov_b32 s15, -1
	s_and_b32 vcc_lo, exec_lo, s34
	s_waitcnt vmcnt(15) lgkmcnt(15)
	v_and_b32_e32 v20, 0x7fff, v23
	s_waitcnt vmcnt(14) lgkmcnt(14)
	v_and_b32_e32 v160, 0x7fff, v151
	s_delay_alu instid0(VALU_DEP_2) | instskip(NEXT) | instid1(VALU_DEP_2)
	v_cmp_lt_u16_e64 s13, 0x7c00, v20
	v_cmp_gt_u16_e64 s14, 0x7c01, v160
                                        ; implicit-def: $vgpr20
	s_delay_alu instid0(VALU_DEP_1) | instskip(NEXT) | instid1(SALU_CYCLE_1)
	s_and_b32 s36, s13, s14
	s_xor_b32 s36, s36, -1
	s_cbranch_vccz .LBB4_1796
; %bb.1791:                             ;   in Loop: Header=BB4_1790 Depth=3
	v_mov_b32_e32 v20, v151
	s_and_saveexec_b32 s37, s36
	s_cbranch_execz .LBB4_1795
; %bb.1792:                             ;   in Loop: Header=BB4_1790 Depth=3
	v_mov_b32_e32 v20, v23
	s_or_b32 s15, s13, s14
	s_delay_alu instid0(SALU_CYCLE_1)
	s_and_saveexec_b32 s38, s15
; %bb.1793:                             ;   in Loop: Header=BB4_1790 Depth=3
	v_cmp_gt_f16_e64 s15, v23, v151
	v_cmp_lt_u16_e64 vcc_lo, 0x7c00, v160
	s_delay_alu instid0(VALU_DEP_2) | instskip(NEXT) | instid1(VALU_DEP_2)
	v_cndmask_b32_e64 v20, v151, v23, s15
	s_and_b32 s15, s13, vcc_lo
	s_delay_alu instid0(VALU_DEP_1) | instid1(SALU_CYCLE_1)
	v_cndmask_b32_e64 v20, v20, 0x7fff, s15
; %bb.1794:                             ;   in Loop: Header=BB4_1790 Depth=3
	s_or_b32 exec_lo, exec_lo, s38
.LBB4_1795:                             ;   in Loop: Header=BB4_1790 Depth=3
	s_delay_alu instid0(SALU_CYCLE_1)
	s_or_b32 exec_lo, exec_lo, s37
	s_mov_b32 s15, 0
.LBB4_1796:                             ;   in Loop: Header=BB4_1790 Depth=3
	s_delay_alu instid0(SALU_CYCLE_1)
	s_and_not1_b32 vcc_lo, exec_lo, s15
	s_cbranch_vccnz .LBB4_1802
; %bb.1797:                             ;   in Loop: Header=BB4_1790 Depth=3
	s_and_saveexec_b32 s15, s36
	s_cbranch_execz .LBB4_1801
; %bb.1798:                             ;   in Loop: Header=BB4_1790 Depth=3
	s_or_b32 s14, s13, s14
	s_delay_alu instid0(SALU_CYCLE_1)
	s_and_saveexec_b32 s36, s14
; %bb.1799:                             ;   in Loop: Header=BB4_1790 Depth=3
	v_cmp_gt_f16_e64 s14, v23, v151
	v_cmp_lt_u16_e64 vcc_lo, 0x7c00, v160
	s_delay_alu instid0(VALU_DEP_2) | instskip(NEXT) | instid1(VALU_DEP_2)
	v_cndmask_b32_e64 v20, v23, v151, s14
	s_and_b32 s13, s13, vcc_lo
	s_delay_alu instid0(VALU_DEP_1) | instid1(SALU_CYCLE_1)
	v_cndmask_b32_e64 v23, v20, 0x7fff, s13
; %bb.1800:                             ;   in Loop: Header=BB4_1790 Depth=3
	s_or_b32 exec_lo, exec_lo, s36
	s_delay_alu instid0(VALU_DEP_1)
	v_mov_b32_e32 v151, v23
.LBB4_1801:                             ;   in Loop: Header=BB4_1790 Depth=3
	s_or_b32 exec_lo, exec_lo, s15
	s_delay_alu instid0(VALU_DEP_1)
	v_mov_b32_e32 v20, v151
.LBB4_1802:                             ;   in Loop: Header=BB4_1790 Depth=3
	s_waitcnt vmcnt(13) lgkmcnt(13)
	v_and_b32_e32 v23, 0x7fff, v85
	s_waitcnt vmcnt(6) lgkmcnt(6)
	v_and_b32_e32 v151, 0x7fff, v150
	s_mov_b32 s15, -1
	s_and_not1_b32 vcc_lo, exec_lo, s34
	v_cmp_lt_u16_e64 s13, 0x7c00, v23
	s_delay_alu instid0(VALU_DEP_2) | instskip(NEXT) | instid1(VALU_DEP_1)
	v_cmp_gt_u16_e64 s14, 0x7c01, v151
                                        ; implicit-def: $vgpr23
	s_and_b32 s36, s13, s14
	s_delay_alu instid0(SALU_CYCLE_1)
	s_xor_b32 s36, s36, -1
	s_cbranch_vccnz .LBB4_1808
; %bb.1803:                             ;   in Loop: Header=BB4_1790 Depth=3
	v_mov_b32_e32 v23, v150
	s_and_saveexec_b32 s37, s36
	s_cbranch_execz .LBB4_1807
; %bb.1804:                             ;   in Loop: Header=BB4_1790 Depth=3
	v_mov_b32_e32 v23, v85
	s_or_b32 s15, s13, s14
	s_delay_alu instid0(SALU_CYCLE_1)
	s_and_saveexec_b32 s38, s15
; %bb.1805:                             ;   in Loop: Header=BB4_1790 Depth=3
	v_cmp_gt_f16_e64 s15, v85, v150
	v_cmp_lt_u16_e64 vcc_lo, 0x7c00, v151
	s_delay_alu instid0(VALU_DEP_2) | instskip(NEXT) | instid1(VALU_DEP_2)
	v_cndmask_b32_e64 v23, v150, v85, s15
	s_and_b32 s15, s13, vcc_lo
	s_delay_alu instid0(VALU_DEP_1) | instid1(SALU_CYCLE_1)
	v_cndmask_b32_e64 v23, v23, 0x7fff, s15
; %bb.1806:                             ;   in Loop: Header=BB4_1790 Depth=3
	s_or_b32 exec_lo, exec_lo, s38
.LBB4_1807:                             ;   in Loop: Header=BB4_1790 Depth=3
	s_delay_alu instid0(SALU_CYCLE_1)
	s_or_b32 exec_lo, exec_lo, s37
	s_mov_b32 s15, 0
.LBB4_1808:                             ;   in Loop: Header=BB4_1790 Depth=3
	s_delay_alu instid0(SALU_CYCLE_1)
	s_and_not1_b32 vcc_lo, exec_lo, s15
	s_cbranch_vccnz .LBB4_1814
; %bb.1809:                             ;   in Loop: Header=BB4_1790 Depth=3
	s_and_saveexec_b32 s15, s36
	s_cbranch_execz .LBB4_1813
; %bb.1810:                             ;   in Loop: Header=BB4_1790 Depth=3
	s_or_b32 s14, s13, s14
	s_delay_alu instid0(SALU_CYCLE_1)
	s_and_saveexec_b32 s36, s14
; %bb.1811:                             ;   in Loop: Header=BB4_1790 Depth=3
	v_cmp_gt_f16_e64 s14, v85, v150
	v_cmp_lt_u16_e64 vcc_lo, 0x7c00, v151
	s_delay_alu instid0(VALU_DEP_2) | instskip(NEXT) | instid1(VALU_DEP_2)
	v_cndmask_b32_e64 v23, v85, v150, s14
	s_and_b32 s13, s13, vcc_lo
	s_delay_alu instid0(VALU_DEP_1) | instid1(SALU_CYCLE_1)
	v_cndmask_b32_e64 v85, v23, 0x7fff, s13
; %bb.1812:                             ;   in Loop: Header=BB4_1790 Depth=3
	s_or_b32 exec_lo, exec_lo, s36
	s_delay_alu instid0(VALU_DEP_1)
	v_mov_b32_e32 v150, v85
.LBB4_1813:                             ;   in Loop: Header=BB4_1790 Depth=3
	s_or_b32 exec_lo, exec_lo, s15
	s_delay_alu instid0(VALU_DEP_1)
	v_mov_b32_e32 v23, v150
.LBB4_1814:                             ;   in Loop: Header=BB4_1790 Depth=3
	v_and_b32_e32 v85, 0x7fff, v96
	s_waitcnt vmcnt(5) lgkmcnt(5)
	v_and_b32_e32 v150, 0x7fff, v99
	s_mov_b32 s15, -1
	s_and_not1_b32 vcc_lo, exec_lo, s34
	v_cmp_lt_u16_e64 s13, 0x7c00, v85
	s_delay_alu instid0(VALU_DEP_2) | instskip(NEXT) | instid1(VALU_DEP_1)
	v_cmp_gt_u16_e64 s14, 0x7c01, v150
                                        ; implicit-def: $vgpr85
	s_and_b32 s36, s13, s14
	s_delay_alu instid0(SALU_CYCLE_1)
	s_xor_b32 s36, s36, -1
	s_cbranch_vccnz .LBB4_1820
; %bb.1815:                             ;   in Loop: Header=BB4_1790 Depth=3
	v_mov_b32_e32 v85, v99
	s_and_saveexec_b32 s37, s36
	s_cbranch_execz .LBB4_1819
; %bb.1816:                             ;   in Loop: Header=BB4_1790 Depth=3
	v_mov_b32_e32 v85, v96
	s_or_b32 s15, s13, s14
	s_delay_alu instid0(SALU_CYCLE_1)
	s_and_saveexec_b32 s38, s15
; %bb.1817:                             ;   in Loop: Header=BB4_1790 Depth=3
	v_cmp_gt_f16_e64 s15, v96, v99
	v_cmp_lt_u16_e64 vcc_lo, 0x7c00, v150
	s_delay_alu instid0(VALU_DEP_2) | instskip(NEXT) | instid1(VALU_DEP_2)
	v_cndmask_b32_e64 v85, v99, v96, s15
	s_and_b32 s15, s13, vcc_lo
	s_delay_alu instid0(VALU_DEP_1) | instid1(SALU_CYCLE_1)
	v_cndmask_b32_e64 v85, v85, 0x7fff, s15
; %bb.1818:                             ;   in Loop: Header=BB4_1790 Depth=3
	s_or_b32 exec_lo, exec_lo, s38
.LBB4_1819:                             ;   in Loop: Header=BB4_1790 Depth=3
	s_delay_alu instid0(SALU_CYCLE_1)
	s_or_b32 exec_lo, exec_lo, s37
	s_mov_b32 s15, 0
.LBB4_1820:                             ;   in Loop: Header=BB4_1790 Depth=3
	s_delay_alu instid0(SALU_CYCLE_1)
	s_and_not1_b32 vcc_lo, exec_lo, s15
	s_cbranch_vccnz .LBB4_1826
; %bb.1821:                             ;   in Loop: Header=BB4_1790 Depth=3
	s_and_saveexec_b32 s15, s36
	s_cbranch_execz .LBB4_1825
; %bb.1822:                             ;   in Loop: Header=BB4_1790 Depth=3
	s_or_b32 s14, s13, s14
	s_delay_alu instid0(SALU_CYCLE_1)
	s_and_saveexec_b32 s36, s14
; %bb.1823:                             ;   in Loop: Header=BB4_1790 Depth=3
	v_cmp_gt_f16_e64 s14, v96, v99
	v_cmp_lt_u16_e64 vcc_lo, 0x7c00, v150
	s_delay_alu instid0(VALU_DEP_2) | instskip(NEXT) | instid1(VALU_DEP_2)
	v_cndmask_b32_e64 v85, v96, v99, s14
	s_and_b32 s13, s13, vcc_lo
	s_delay_alu instid0(VALU_DEP_1) | instid1(SALU_CYCLE_1)
	v_cndmask_b32_e64 v96, v85, 0x7fff, s13
; %bb.1824:                             ;   in Loop: Header=BB4_1790 Depth=3
	s_or_b32 exec_lo, exec_lo, s36
	s_delay_alu instid0(VALU_DEP_1)
	v_mov_b32_e32 v99, v96
.LBB4_1825:                             ;   in Loop: Header=BB4_1790 Depth=3
	s_or_b32 exec_lo, exec_lo, s15
	s_delay_alu instid0(VALU_DEP_1)
	v_mov_b32_e32 v85, v99
.LBB4_1826:                             ;   in Loop: Header=BB4_1790 Depth=3
	v_and_b32_e32 v96, 0x7fff, v97
	s_waitcnt vmcnt(4) lgkmcnt(4)
	v_and_b32_e32 v99, 0x7fff, v98
	s_mov_b32 s15, -1
	s_and_not1_b32 vcc_lo, exec_lo, s34
	v_cmp_lt_u16_e64 s13, 0x7c00, v96
	s_delay_alu instid0(VALU_DEP_2) | instskip(NEXT) | instid1(VALU_DEP_1)
	v_cmp_gt_u16_e64 s14, 0x7c01, v99
                                        ; implicit-def: $vgpr96
	s_and_b32 s36, s13, s14
	s_delay_alu instid0(SALU_CYCLE_1)
	s_xor_b32 s36, s36, -1
	s_cbranch_vccnz .LBB4_1832
; %bb.1827:                             ;   in Loop: Header=BB4_1790 Depth=3
	v_mov_b32_e32 v96, v98
	s_and_saveexec_b32 s37, s36
	s_cbranch_execz .LBB4_1831
; %bb.1828:                             ;   in Loop: Header=BB4_1790 Depth=3
	v_mov_b32_e32 v96, v97
	s_or_b32 s15, s13, s14
	s_delay_alu instid0(SALU_CYCLE_1)
	s_and_saveexec_b32 s38, s15
; %bb.1829:                             ;   in Loop: Header=BB4_1790 Depth=3
	v_cmp_gt_f16_e64 s15, v97, v98
	v_cmp_lt_u16_e32 vcc_lo, 0x7c00, v99
	s_delay_alu instid0(VALU_DEP_2)
	v_cndmask_b32_e64 v96, v98, v97, s15
	s_and_b32 s15, s13, vcc_lo
	s_delay_alu instid0(VALU_DEP_1) | instid1(SALU_CYCLE_1)
	v_cndmask_b32_e64 v96, v96, 0x7fff, s15
; %bb.1830:                             ;   in Loop: Header=BB4_1790 Depth=3
	s_or_b32 exec_lo, exec_lo, s38
.LBB4_1831:                             ;   in Loop: Header=BB4_1790 Depth=3
	s_delay_alu instid0(SALU_CYCLE_1)
	s_or_b32 exec_lo, exec_lo, s37
	s_mov_b32 s15, 0
.LBB4_1832:                             ;   in Loop: Header=BB4_1790 Depth=3
	s_delay_alu instid0(SALU_CYCLE_1)
	s_and_not1_b32 vcc_lo, exec_lo, s15
	s_cbranch_vccnz .LBB4_1838
; %bb.1833:                             ;   in Loop: Header=BB4_1790 Depth=3
	s_and_saveexec_b32 s15, s36
	s_cbranch_execz .LBB4_1837
; %bb.1834:                             ;   in Loop: Header=BB4_1790 Depth=3
	s_or_b32 s14, s13, s14
	s_delay_alu instid0(SALU_CYCLE_1)
	s_and_saveexec_b32 s36, s14
; %bb.1835:                             ;   in Loop: Header=BB4_1790 Depth=3
	v_cmp_gt_f16_e64 s14, v97, v98
	v_cmp_lt_u16_e32 vcc_lo, 0x7c00, v99
	s_delay_alu instid0(VALU_DEP_2)
	v_cndmask_b32_e64 v96, v97, v98, s14
	s_and_b32 s13, s13, vcc_lo
	s_delay_alu instid0(VALU_DEP_1) | instid1(SALU_CYCLE_1)
	v_cndmask_b32_e64 v97, v96, 0x7fff, s13
; %bb.1836:                             ;   in Loop: Header=BB4_1790 Depth=3
	s_or_b32 exec_lo, exec_lo, s36
	s_delay_alu instid0(VALU_DEP_1)
	v_mov_b32_e32 v98, v97
.LBB4_1837:                             ;   in Loop: Header=BB4_1790 Depth=3
	s_or_b32 exec_lo, exec_lo, s15
	s_delay_alu instid0(VALU_DEP_1)
	v_mov_b32_e32 v96, v98
.LBB4_1838:                             ;   in Loop: Header=BB4_1790 Depth=3
	v_and_b32_e32 v97, 0x7fff, v86
	s_waitcnt vmcnt(3) lgkmcnt(3)
	v_and_b32_e32 v98, 0x7fff, v87
	s_mov_b32 s15, -1
	s_and_not1_b32 vcc_lo, exec_lo, s34
	v_cmp_lt_u16_e64 s13, 0x7c00, v97
	s_delay_alu instid0(VALU_DEP_2) | instskip(NEXT) | instid1(VALU_DEP_1)
	v_cmp_gt_u16_e64 s14, 0x7c01, v98
                                        ; implicit-def: $vgpr97
	s_and_b32 s36, s13, s14
	s_delay_alu instid0(SALU_CYCLE_1)
	s_xor_b32 s36, s36, -1
	s_cbranch_vccnz .LBB4_1844
; %bb.1839:                             ;   in Loop: Header=BB4_1790 Depth=3
	v_mov_b32_e32 v97, v87
	s_and_saveexec_b32 s37, s36
	s_cbranch_execz .LBB4_1843
; %bb.1840:                             ;   in Loop: Header=BB4_1790 Depth=3
	v_mov_b32_e32 v97, v86
	s_or_b32 s15, s13, s14
	s_delay_alu instid0(SALU_CYCLE_1)
	s_and_saveexec_b32 s38, s15
; %bb.1841:                             ;   in Loop: Header=BB4_1790 Depth=3
	v_cmp_gt_f16_e64 s15, v86, v87
	v_cmp_lt_u16_e32 vcc_lo, 0x7c00, v98
	s_delay_alu instid0(VALU_DEP_2)
	v_cndmask_b32_e64 v97, v87, v86, s15
	s_and_b32 s15, s13, vcc_lo
	s_delay_alu instid0(VALU_DEP_1) | instid1(SALU_CYCLE_1)
	v_cndmask_b32_e64 v97, v97, 0x7fff, s15
; %bb.1842:                             ;   in Loop: Header=BB4_1790 Depth=3
	s_or_b32 exec_lo, exec_lo, s38
.LBB4_1843:                             ;   in Loop: Header=BB4_1790 Depth=3
	s_delay_alu instid0(SALU_CYCLE_1)
	s_or_b32 exec_lo, exec_lo, s37
	s_mov_b32 s15, 0
.LBB4_1844:                             ;   in Loop: Header=BB4_1790 Depth=3
	s_delay_alu instid0(SALU_CYCLE_1)
	s_and_not1_b32 vcc_lo, exec_lo, s15
	s_cbranch_vccnz .LBB4_1850
; %bb.1845:                             ;   in Loop: Header=BB4_1790 Depth=3
	s_and_saveexec_b32 s15, s36
	s_cbranch_execz .LBB4_1849
; %bb.1846:                             ;   in Loop: Header=BB4_1790 Depth=3
	s_or_b32 s14, s13, s14
	s_delay_alu instid0(SALU_CYCLE_1)
	s_and_saveexec_b32 s36, s14
; %bb.1847:                             ;   in Loop: Header=BB4_1790 Depth=3
	v_cmp_gt_f16_e64 s14, v86, v87
	v_cmp_lt_u16_e32 vcc_lo, 0x7c00, v98
	s_delay_alu instid0(VALU_DEP_2)
	v_cndmask_b32_e64 v86, v86, v87, s14
	s_and_b32 s13, s13, vcc_lo
	s_delay_alu instid0(VALU_DEP_1) | instid1(SALU_CYCLE_1)
	v_cndmask_b32_e64 v86, v86, 0x7fff, s13
; %bb.1848:                             ;   in Loop: Header=BB4_1790 Depth=3
	s_or_b32 exec_lo, exec_lo, s36
	s_delay_alu instid0(VALU_DEP_1)
	v_mov_b32_e32 v87, v86
.LBB4_1849:                             ;   in Loop: Header=BB4_1790 Depth=3
	s_or_b32 exec_lo, exec_lo, s15
	s_delay_alu instid0(VALU_DEP_1)
	v_mov_b32_e32 v97, v87
.LBB4_1850:                             ;   in Loop: Header=BB4_1790 Depth=3
	v_and_b32_e32 v86, 0x7fff, v81
	s_waitcnt vmcnt(2) lgkmcnt(2)
	v_and_b32_e32 v87, 0x7fff, v84
	s_mov_b32 s15, -1
	s_and_not1_b32 vcc_lo, exec_lo, s34
	v_cmp_lt_u16_e64 s13, 0x7c00, v86
	s_delay_alu instid0(VALU_DEP_2) | instskip(NEXT) | instid1(VALU_DEP_1)
	v_cmp_gt_u16_e64 s14, 0x7c01, v87
                                        ; implicit-def: $vgpr86
	s_and_b32 s36, s13, s14
	s_delay_alu instid0(SALU_CYCLE_1)
	s_xor_b32 s36, s36, -1
	s_cbranch_vccnz .LBB4_1856
; %bb.1851:                             ;   in Loop: Header=BB4_1790 Depth=3
	v_mov_b32_e32 v86, v84
	s_and_saveexec_b32 s37, s36
	s_cbranch_execz .LBB4_1855
; %bb.1852:                             ;   in Loop: Header=BB4_1790 Depth=3
	v_mov_b32_e32 v86, v81
	s_or_b32 s15, s13, s14
	s_delay_alu instid0(SALU_CYCLE_1)
	s_and_saveexec_b32 s38, s15
; %bb.1853:                             ;   in Loop: Header=BB4_1790 Depth=3
	v_cmp_gt_f16_e64 s15, v81, v84
	v_cmp_lt_u16_e32 vcc_lo, 0x7c00, v87
	s_delay_alu instid0(VALU_DEP_2)
	v_cndmask_b32_e64 v86, v84, v81, s15
	s_and_b32 s15, s13, vcc_lo
	s_delay_alu instid0(VALU_DEP_1) | instid1(SALU_CYCLE_1)
	v_cndmask_b32_e64 v86, v86, 0x7fff, s15
; %bb.1854:                             ;   in Loop: Header=BB4_1790 Depth=3
	s_or_b32 exec_lo, exec_lo, s38
.LBB4_1855:                             ;   in Loop: Header=BB4_1790 Depth=3
	s_delay_alu instid0(SALU_CYCLE_1)
	s_or_b32 exec_lo, exec_lo, s37
	s_mov_b32 s15, 0
.LBB4_1856:                             ;   in Loop: Header=BB4_1790 Depth=3
	s_delay_alu instid0(SALU_CYCLE_1)
	s_and_not1_b32 vcc_lo, exec_lo, s15
	s_cbranch_vccnz .LBB4_1862
; %bb.1857:                             ;   in Loop: Header=BB4_1790 Depth=3
	s_and_saveexec_b32 s15, s36
	s_cbranch_execz .LBB4_1861
; %bb.1858:                             ;   in Loop: Header=BB4_1790 Depth=3
	s_or_b32 s14, s13, s14
	s_delay_alu instid0(SALU_CYCLE_1)
	s_and_saveexec_b32 s36, s14
; %bb.1859:                             ;   in Loop: Header=BB4_1790 Depth=3
	v_cmp_gt_f16_e64 s14, v81, v84
	v_cmp_lt_u16_e32 vcc_lo, 0x7c00, v87
	s_delay_alu instid0(VALU_DEP_2)
	v_cndmask_b32_e64 v81, v81, v84, s14
	s_and_b32 s13, s13, vcc_lo
	s_delay_alu instid0(VALU_DEP_1) | instid1(SALU_CYCLE_1)
	v_cndmask_b32_e64 v81, v81, 0x7fff, s13
; %bb.1860:                             ;   in Loop: Header=BB4_1790 Depth=3
	s_or_b32 exec_lo, exec_lo, s36
	s_delay_alu instid0(VALU_DEP_1)
	v_mov_b32_e32 v84, v81
.LBB4_1861:                             ;   in Loop: Header=BB4_1790 Depth=3
	s_or_b32 exec_lo, exec_lo, s15
	s_delay_alu instid0(VALU_DEP_1)
	v_mov_b32_e32 v86, v84
.LBB4_1862:                             ;   in Loop: Header=BB4_1790 Depth=3
	v_and_b32_e32 v81, 0x7fff, v21
	s_waitcnt vmcnt(1) lgkmcnt(1)
	v_and_b32_e32 v84, 0x7fff, v22
	s_mov_b32 s15, -1
	s_and_not1_b32 vcc_lo, exec_lo, s34
	v_cmp_lt_u16_e64 s13, 0x7c00, v81
	s_delay_alu instid0(VALU_DEP_2) | instskip(NEXT) | instid1(VALU_DEP_1)
	v_cmp_gt_u16_e64 s14, 0x7c01, v84
                                        ; implicit-def: $vgpr81
	s_and_b32 s36, s13, s14
	s_delay_alu instid0(SALU_CYCLE_1)
	s_xor_b32 s36, s36, -1
	s_cbranch_vccnz .LBB4_1868
; %bb.1863:                             ;   in Loop: Header=BB4_1790 Depth=3
	v_mov_b32_e32 v81, v22
	s_and_saveexec_b32 s37, s36
	s_cbranch_execz .LBB4_1867
; %bb.1864:                             ;   in Loop: Header=BB4_1790 Depth=3
	v_mov_b32_e32 v81, v21
	s_or_b32 s15, s13, s14
	s_delay_alu instid0(SALU_CYCLE_1)
	s_and_saveexec_b32 s38, s15
; %bb.1865:                             ;   in Loop: Header=BB4_1790 Depth=3
	v_cmp_gt_f16_e64 s15, v21, v22
	v_cmp_lt_u16_e32 vcc_lo, 0x7c00, v84
	s_delay_alu instid0(VALU_DEP_2)
	v_cndmask_b32_e64 v81, v22, v21, s15
	s_and_b32 s15, s13, vcc_lo
	s_delay_alu instid0(VALU_DEP_1) | instid1(SALU_CYCLE_1)
	v_cndmask_b32_e64 v81, v81, 0x7fff, s15
; %bb.1866:                             ;   in Loop: Header=BB4_1790 Depth=3
	s_or_b32 exec_lo, exec_lo, s38
.LBB4_1867:                             ;   in Loop: Header=BB4_1790 Depth=3
	s_delay_alu instid0(SALU_CYCLE_1)
	s_or_b32 exec_lo, exec_lo, s37
	s_mov_b32 s15, 0
.LBB4_1868:                             ;   in Loop: Header=BB4_1790 Depth=3
	s_delay_alu instid0(SALU_CYCLE_1)
	s_and_not1_b32 vcc_lo, exec_lo, s15
	s_cbranch_vccnz .LBB4_1874
; %bb.1869:                             ;   in Loop: Header=BB4_1790 Depth=3
	s_and_saveexec_b32 s15, s36
	s_cbranch_execz .LBB4_1873
; %bb.1870:                             ;   in Loop: Header=BB4_1790 Depth=3
	s_or_b32 s14, s13, s14
	s_delay_alu instid0(SALU_CYCLE_1)
	s_and_saveexec_b32 s36, s14
; %bb.1871:                             ;   in Loop: Header=BB4_1790 Depth=3
	v_cmp_gt_f16_e64 s14, v21, v22
	v_cmp_lt_u16_e32 vcc_lo, 0x7c00, v84
	s_delay_alu instid0(VALU_DEP_2)
	v_cndmask_b32_e64 v21, v21, v22, s14
	s_and_b32 s13, s13, vcc_lo
	s_delay_alu instid0(VALU_DEP_1) | instid1(SALU_CYCLE_1)
	v_cndmask_b32_e64 v21, v21, 0x7fff, s13
; %bb.1872:                             ;   in Loop: Header=BB4_1790 Depth=3
	s_or_b32 exec_lo, exec_lo, s36
	s_delay_alu instid0(VALU_DEP_1)
	v_mov_b32_e32 v22, v21
.LBB4_1873:                             ;   in Loop: Header=BB4_1790 Depth=3
	s_or_b32 exec_lo, exec_lo, s15
	s_delay_alu instid0(VALU_DEP_1)
	v_mov_b32_e32 v81, v22
.LBB4_1874:                             ;   in Loop: Header=BB4_1790 Depth=3
	v_and_b32_e32 v21, 0x7fff, v18
	s_waitcnt vmcnt(0) lgkmcnt(0)
	v_and_b32_e32 v22, 0x7fff, v19
	s_mov_b32 s15, -1
	s_and_not1_b32 vcc_lo, exec_lo, s34
	v_cmp_lt_u16_e64 s13, 0x7c00, v21
	s_delay_alu instid0(VALU_DEP_2) | instskip(NEXT) | instid1(VALU_DEP_1)
	v_cmp_gt_u16_e64 s14, 0x7c01, v22
                                        ; implicit-def: $vgpr21
	s_and_b32 s36, s13, s14
	s_delay_alu instid0(SALU_CYCLE_1)
	s_xor_b32 s36, s36, -1
	s_cbranch_vccnz .LBB4_1880
; %bb.1875:                             ;   in Loop: Header=BB4_1790 Depth=3
	v_mov_b32_e32 v21, v19
	s_and_saveexec_b32 s37, s36
	s_cbranch_execz .LBB4_1879
; %bb.1876:                             ;   in Loop: Header=BB4_1790 Depth=3
	v_mov_b32_e32 v21, v18
	s_or_b32 s15, s13, s14
	s_delay_alu instid0(SALU_CYCLE_1)
	s_and_saveexec_b32 s38, s15
; %bb.1877:                             ;   in Loop: Header=BB4_1790 Depth=3
	v_cmp_gt_f16_e64 s15, v18, v19
	v_cmp_lt_u16_e32 vcc_lo, 0x7c00, v22
	s_delay_alu instid0(VALU_DEP_2)
	v_cndmask_b32_e64 v21, v19, v18, s15
	s_and_b32 s15, s13, vcc_lo
	s_delay_alu instid0(VALU_DEP_1) | instid1(SALU_CYCLE_1)
	v_cndmask_b32_e64 v21, v21, 0x7fff, s15
; %bb.1878:                             ;   in Loop: Header=BB4_1790 Depth=3
	s_or_b32 exec_lo, exec_lo, s38
.LBB4_1879:                             ;   in Loop: Header=BB4_1790 Depth=3
	s_delay_alu instid0(SALU_CYCLE_1)
	s_or_b32 exec_lo, exec_lo, s37
	s_mov_b32 s15, 0
.LBB4_1880:                             ;   in Loop: Header=BB4_1790 Depth=3
	s_delay_alu instid0(SALU_CYCLE_1)
	s_and_not1_b32 vcc_lo, exec_lo, s15
	s_cbranch_vccnz .LBB4_1789
; %bb.1881:                             ;   in Loop: Header=BB4_1790 Depth=3
	s_and_saveexec_b32 s15, s36
	s_cbranch_execz .LBB4_1788
; %bb.1882:                             ;   in Loop: Header=BB4_1790 Depth=3
	s_or_b32 s14, s13, s14
	s_delay_alu instid0(SALU_CYCLE_1)
	s_and_saveexec_b32 s36, s14
	s_cbranch_execz .LBB4_1787
; %bb.1883:                             ;   in Loop: Header=BB4_1790 Depth=3
	v_cmp_gt_f16_e64 s14, v18, v19
	v_cmp_lt_u16_e32 vcc_lo, 0x7c00, v22
	s_delay_alu instid0(VALU_DEP_2)
	v_cndmask_b32_e64 v18, v18, v19, s14
	s_and_b32 s13, s13, vcc_lo
	s_delay_alu instid0(VALU_DEP_1) | instid1(SALU_CYCLE_1)
	v_cndmask_b32_e64 v18, v18, 0x7fff, s13
	s_branch .LBB4_1787
.LBB4_1884:                             ;   in Loop: Header=BB4_961 Depth=2
	s_or_b32 exec_lo, exec_lo, s35
.LBB4_1885:                             ;   in Loop: Header=BB4_961 Depth=2
	s_delay_alu instid0(SALU_CYCLE_1) | instskip(SKIP_2) | instid1(VALU_DEP_1)
	s_or_b32 exec_lo, exec_lo, s31
	v_lshlrev_b32_e32 v8, 9, v17
	s_mov_b32 s31, exec_lo
	v_cmpx_ne_u32_e64 v2, v8
	s_cbranch_execz .LBB4_1902
; %bb.1886:                             ;   in Loop: Header=BB4_961 Depth=2
	v_ashrrev_i32_e32 v9, 31, v15
	v_lshlrev_b32_e32 v10, 5, v16
	s_delay_alu instid0(VALU_DEP_2) | instskip(NEXT) | instid1(VALU_DEP_1)
	v_lshrrev_b32_e32 v9, 27, v9
	v_add_nc_u32_e32 v9, v15, v9
	s_delay_alu instid0(VALU_DEP_1) | instskip(NEXT) | instid1(VALU_DEP_1)
	v_and_b32_e32 v9, 0xffffffe0, v9
	v_sub_nc_u32_e32 v9, v15, v9
	s_delay_alu instid0(VALU_DEP_1) | instskip(NEXT) | instid1(VALU_DEP_1)
	v_sub_nc_u32_e32 v9, v9, v10
	v_ashrrev_i32_e32 v10, 31, v9
	s_delay_alu instid0(VALU_DEP_1) | instskip(NEXT) | instid1(VALU_DEP_1)
	v_lshrrev_b32_e32 v10, 27, v10
	v_add_nc_u32_e32 v10, v9, v10
	s_delay_alu instid0(VALU_DEP_1) | instskip(SKIP_1) | instid1(VALU_DEP_2)
	v_and_b32_e32 v11, 0x7fffffe0, v10
	v_lshlrev_b32_e32 v10, 1, v10
	v_sub_nc_u32_e32 v9, v9, v11
	s_delay_alu instid0(VALU_DEP_2) | instskip(NEXT) | instid1(VALU_DEP_2)
	v_and_b32_e32 v10, 0xffffffc0, v10
	v_lshlrev_b32_e32 v9, 1, v9
	s_delay_alu instid0(VALU_DEP_1) | instskip(NEXT) | instid1(VALU_DEP_1)
	v_add3_u32 v8, v10, v9, v8
	v_sub_nc_u32_e32 v2, v2, v8
	s_delay_alu instid0(VALU_DEP_1)
	v_cmp_lt_i32_e32 vcc_lo, 1, v2
	s_and_b32 exec_lo, exec_lo, vcc_lo
	s_cbranch_execz .LBB4_1902
; %bb.1887:                             ;   in Loop: Header=BB4_961 Depth=2
	s_cbranch_execnz .LBB4_3028
; %bb.1888:                             ;   in Loop: Header=BB4_961 Depth=2
	ds_load_b128 v[9:12], v0
	ds_load_b64 v[15:16], v0
	v_add_nc_u32_e32 v13, v8, v14
	s_bitcmp1_b32 s30, 0
	s_mov_b32 s30, 0
	s_cselect_b32 s34, -1, 0
	s_delay_alu instid0(VALU_DEP_1) | instskip(SKIP_2) | instid1(VALU_DEP_2)
	v_ashrrev_i32_e32 v14, 31, v13
	s_waitcnt lgkmcnt(1)
	v_add_co_u32 v8, vcc_lo, v9, v13
	v_add_co_ci_u32_e32 v9, vcc_lo, v10, v14, vcc_lo
	v_add_co_u32 v10, vcc_lo, v11, v13
	v_add_co_ci_u32_e32 v11, vcc_lo, v12, v14, vcc_lo
	s_waitcnt lgkmcnt(0)
	v_add_co_u32 v12, vcc_lo, v15, v13
	v_add_co_ci_u32_e32 v13, vcc_lo, v16, v14, vcc_lo
	s_branch .LBB4_1892
.LBB4_1889:                             ;   in Loop: Header=BB4_1892 Depth=3
	s_or_b32 exec_lo, exec_lo, s35
	s_delay_alu instid0(VALU_DEP_1)
	v_mov_b32_e32 v15, v14
.LBB4_1890:                             ;   in Loop: Header=BB4_1892 Depth=3
	s_or_b32 exec_lo, exec_lo, s15
	s_delay_alu instid0(VALU_DEP_1)
	v_mov_b32_e32 v17, v15
.LBB4_1891:                             ;   in Loop: Header=BB4_1892 Depth=3
	v_add_co_u32 v8, vcc_lo, v8, v134
	v_sub_nc_u32_e32 v2, v2, v118
	v_add_co_ci_u32_e32 v9, vcc_lo, v9, v135, vcc_lo
	v_add_co_u32 v10, vcc_lo, v10, v134
	v_add_co_ci_u32_e32 v11, vcc_lo, v11, v135, vcc_lo
	flat_store_b16 v[12:13], v17 glc slc dlc
	v_cmp_gt_i32_e32 vcc_lo, 2, v2
	v_add_co_u32 v12, s13, v12, v134
	s_delay_alu instid0(VALU_DEP_1) | instskip(SKIP_1) | instid1(SALU_CYCLE_1)
	v_add_co_ci_u32_e64 v13, s13, v13, v135, s13
	s_or_b32 s30, vcc_lo, s30
	s_and_not1_b32 exec_lo, exec_lo, s30
	s_cbranch_execz .LBB4_1902
.LBB4_1892:                             ;   Parent Loop BB4_51 Depth=1
                                        ;     Parent Loop BB4_961 Depth=2
                                        ; =>    This Inner Loop Header: Depth=3
	flat_load_u16 v14, v[8:9] slc dlc
	flat_load_u16 v15, v[10:11] slc dlc
	s_mov_b32 s15, -1
	s_and_b32 vcc_lo, exec_lo, s34
	s_waitcnt vmcnt(1) lgkmcnt(1)
	v_and_b32_e32 v17, 0x7fff, v14
	s_waitcnt vmcnt(0) lgkmcnt(0)
	v_and_b32_e32 v16, 0x7fff, v15
	s_delay_alu instid0(VALU_DEP_2) | instskip(NEXT) | instid1(VALU_DEP_2)
	v_cmp_lt_u16_e64 s13, 0x7c00, v17
	v_cmp_gt_u16_e64 s14, 0x7c01, v16
                                        ; implicit-def: $vgpr17
	s_delay_alu instid0(VALU_DEP_1) | instskip(NEXT) | instid1(SALU_CYCLE_1)
	s_and_b32 s35, s13, s14
	s_xor_b32 s35, s35, -1
	s_cbranch_vccz .LBB4_1898
; %bb.1893:                             ;   in Loop: Header=BB4_1892 Depth=3
	v_mov_b32_e32 v17, v15
	s_and_saveexec_b32 s36, s35
	s_cbranch_execz .LBB4_1897
; %bb.1894:                             ;   in Loop: Header=BB4_1892 Depth=3
	v_mov_b32_e32 v17, v14
	s_or_b32 s15, s13, s14
	s_delay_alu instid0(SALU_CYCLE_1)
	s_and_saveexec_b32 s37, s15
; %bb.1895:                             ;   in Loop: Header=BB4_1892 Depth=3
	v_cmp_gt_f16_e64 s15, v14, v15
	v_cmp_lt_u16_e32 vcc_lo, 0x7c00, v16
	s_delay_alu instid0(VALU_DEP_2)
	v_cndmask_b32_e64 v17, v15, v14, s15
	s_and_b32 s15, s13, vcc_lo
	s_delay_alu instid0(VALU_DEP_1) | instid1(SALU_CYCLE_1)
	v_cndmask_b32_e64 v17, v17, 0x7fff, s15
; %bb.1896:                             ;   in Loop: Header=BB4_1892 Depth=3
	s_or_b32 exec_lo, exec_lo, s37
.LBB4_1897:                             ;   in Loop: Header=BB4_1892 Depth=3
	s_delay_alu instid0(SALU_CYCLE_1)
	s_or_b32 exec_lo, exec_lo, s36
	s_mov_b32 s15, 0
.LBB4_1898:                             ;   in Loop: Header=BB4_1892 Depth=3
	s_delay_alu instid0(SALU_CYCLE_1)
	s_and_not1_b32 vcc_lo, exec_lo, s15
	s_cbranch_vccnz .LBB4_1891
; %bb.1899:                             ;   in Loop: Header=BB4_1892 Depth=3
	s_and_saveexec_b32 s15, s35
	s_cbranch_execz .LBB4_1890
; %bb.1900:                             ;   in Loop: Header=BB4_1892 Depth=3
	s_or_b32 s14, s13, s14
	s_delay_alu instid0(SALU_CYCLE_1)
	s_and_saveexec_b32 s35, s14
	s_cbranch_execz .LBB4_1889
; %bb.1901:                             ;   in Loop: Header=BB4_1892 Depth=3
	v_cmp_gt_f16_e64 s14, v14, v15
	v_cmp_lt_u16_e32 vcc_lo, 0x7c00, v16
	s_delay_alu instid0(VALU_DEP_2)
	v_cndmask_b32_e64 v14, v14, v15, s14
	s_and_b32 s13, s13, vcc_lo
	s_delay_alu instid0(VALU_DEP_1) | instid1(SALU_CYCLE_1)
	v_cndmask_b32_e64 v14, v14, 0x7fff, s13
	s_branch .LBB4_1889
.LBB4_1902:                             ;   in Loop: Header=BB4_961 Depth=2
	s_or_b32 exec_lo, exec_lo, s31
.LBB4_1903:                             ;   in Loop: Header=BB4_961 Depth=2
	s_delay_alu instid0(SALU_CYCLE_1)
	s_or_b32 exec_lo, exec_lo, s16
.LBB4_1904:                             ;   in Loop: Header=BB4_961 Depth=2
	s_and_saveexec_b32 s13, s3
	s_cbranch_execz .LBB4_1926
; %bb.1905:                             ;   in Loop: Header=BB4_961 Depth=2
	s_and_saveexec_b32 s14, s4
	s_delay_alu instid0(SALU_CYCLE_1)
	s_xor_b32 s14, exec_lo, s14
	s_cbranch_execz .LBB4_1923
; %bb.1906:                             ;   in Loop: Header=BB4_961 Depth=2
	s_and_saveexec_b32 s15, s1
	s_cbranch_execz .LBB4_1922
; %bb.1907:                             ;   in Loop: Header=BB4_961 Depth=2
	s_mov_b32 s30, exec_lo
	s_mov_b32 s16, exec_lo
	v_mbcnt_lo_u32_b32 v2, s30, 0
	s_waitcnt lgkmcnt(0)
	s_waitcnt_vscnt null, 0x0
	buffer_gl1_inv
	buffer_gl0_inv
	v_cmpx_eq_u32_e32 0, v2
	s_cbranch_execz .LBB4_1909
; %bb.1908:                             ;   in Loop: Header=BB4_961 Depth=2
	s_bcnt1_i32_b32 vcc_lo, s30
	s_delay_alu instid0(SALU_CYCLE_1)
	v_mov_b32_e32 v2, vcc_lo
	ds_add_u64 v0, v[2:3]
	s_cbranch_execnz .LBB4_2928
.LBB4_1909:                             ;   in Loop: Header=BB4_961 Depth=2
	s_or_b32 exec_lo, exec_lo, s16
	s_cbranch_execnz .LBB4_2898
; %bb.1910:                             ;   in Loop: Header=BB4_961 Depth=2
	ds_load_b64 v[8:9], v0
	v_add_co_u32 v48, vcc_lo, v48, v113
	v_add_co_ci_u32_e32 v49, vcc_lo, 0, v49, vcc_lo
	s_mov_b32 s16, exec_lo
	s_waitcnt lgkmcnt(0)
	s_delay_alu instid0(VALU_DEP_1)
	v_cmpx_lt_u64_e64 v[8:9], v[48:49]
	s_cbranch_execz .LBB4_1921
; %bb.1911:                             ;   in Loop: Header=BB4_961 Depth=2
	s_mov_b32 s30, 0
	s_mov_b32 s35, 0
                                        ; implicit-def: $sgpr31
                                        ; implicit-def: $sgpr34
	s_branch .LBB4_1913
.LBB4_1912:                             ;   in Loop: Header=BB4_1913 Depth=3
	s_or_b32 exec_lo, exec_lo, s37
	s_delay_alu instid0(SALU_CYCLE_1) | instskip(NEXT) | instid1(SALU_CYCLE_1)
	s_and_b32 vcc_lo, exec_lo, vcc_lo
	s_or_b32 s30, vcc_lo, s30
	s_and_not1_b32 vcc_lo, s31, exec_lo
	s_and_b32 s31, s34, exec_lo
	s_delay_alu instid0(SALU_CYCLE_1)
	s_or_b32 s31, vcc_lo, s31
	s_and_not1_b32 exec_lo, exec_lo, s30
	s_cbranch_execz .LBB4_1919
.LBB4_1913:                             ;   Parent Loop BB4_51 Depth=1
                                        ;     Parent Loop BB4_961 Depth=2
                                        ; =>    This Inner Loop Header: Depth=3
	s_add_i32 s35, s35, 1
                                        ; implicit-def: $sgpr37
	s_delay_alu instid0(SALU_CYCLE_1) | instskip(SKIP_1) | instid1(SALU_CYCLE_1)
	s_cmpk_lg_i32 s35, 0x2710
	s_cselect_b32 s36, -1, 0
	s_and_b32 vcc_lo, exec_lo, s36
	s_cbranch_vccz .LBB4_1917
.LBB4_1914:                             ;   in Loop: Header=BB4_1913 Depth=3
	s_and_not1_b32 s34, s34, exec_lo
	s_and_b32 s37, s37, exec_lo
	s_mov_b32 vcc_lo, -1
	s_or_b32 s34, s34, s37
	s_and_saveexec_b32 s37, s36
	s_cbranch_execz .LBB4_1912
; %bb.1915:                             ;   in Loop: Header=BB4_1913 Depth=3
	s_sleep 1
	s_cbranch_execnz .LBB4_2982
; %bb.1916:                             ;   in Loop: Header=BB4_1913 Depth=3
	ds_load_b64 v[8:9], v0
	s_and_not1_b32 s34, s34, exec_lo
	s_waitcnt lgkmcnt(0)
	v_cmp_ge_u64_e32 vcc_lo, v[8:9], v[48:49]
	s_or_not1_b32 vcc_lo, vcc_lo, exec_lo
	s_branch .LBB4_1912
.LBB4_1917:                             ;   in Loop: Header=BB4_1913 Depth=3
	s_cbranch_execnz .LBB4_3002
; %bb.1918:                             ;   in Loop: Header=BB4_1913 Depth=3
	ds_load_b64 v[8:9], v0
	s_and_not1_b32 s36, s36, exec_lo
	s_mov_b32 s35, 0
	s_mov_b32 s37, -1
	s_waitcnt lgkmcnt(0)
	flat_load_b32 v2, v[8:9] glc
	s_waitcnt vmcnt(0) lgkmcnt(0)
	buffer_gl1_inv
	buffer_gl0_inv
	v_cmp_eq_u32_e32 vcc_lo, 0, v2
	s_and_b32 vcc_lo, vcc_lo, exec_lo
	s_delay_alu instid0(SALU_CYCLE_1)
	s_or_b32 s36, s36, vcc_lo
	s_branch .LBB4_1914
.LBB4_1919:                             ;   in Loop: Header=BB4_961 Depth=2
	s_or_b32 exec_lo, exec_lo, s30
	s_and_saveexec_b32 vcc_lo, s31
	s_delay_alu instid0(SALU_CYCLE_1)
	s_xor_b32 vcc_lo, exec_lo, vcc_lo
	s_cbranch_execz .LBB4_1921
; %bb.1920:                             ;   in Loop: Header=BB4_961 Depth=2
	ds_store_b32 v0, v148
	s_cbranch_execnz .LBB4_3108
.LBB4_1921:                             ;   in Loop: Header=BB4_961 Depth=2
	s_or_b32 exec_lo, exec_lo, s16
	;;#ASMSTART
	s_wakeup
	;;#ASMEND
.LBB4_1922:                             ;   in Loop: Header=BB4_961 Depth=2
	s_or_b32 exec_lo, exec_lo, s15
.LBB4_1923:                             ;   in Loop: Header=BB4_961 Depth=2
	s_and_not1_saveexec_b32 s14, s14
	s_cbranch_execz .LBB4_1925
; %bb.1924:                             ;   in Loop: Header=BB4_961 Depth=2
	s_waitcnt lgkmcnt(0)
	s_waitcnt_vscnt null, 0x0
	buffer_gl1_inv
	buffer_gl0_inv
	s_barrier
.LBB4_1925:                             ;   in Loop: Header=BB4_961 Depth=2
	s_or_b32 exec_lo, exec_lo, s14
.LBB4_1926:                             ;   in Loop: Header=BB4_961 Depth=2
	s_delay_alu instid0(SALU_CYCLE_1) | instskip(SKIP_1) | instid1(SALU_CYCLE_1)
	s_or_b32 exec_lo, exec_lo, s13
                                        ; implicit-def: $vgpr2
	s_and_saveexec_b32 s13, s7
	s_xor_b32 s14, exec_lo, s13
	s_cbranch_execz .LBB4_1930
; %bb.1927:                             ;   in Loop: Header=BB4_961 Depth=2
	v_and_b32_e32 v2, 16, v30
	v_cmp_lt_i32_e32 vcc_lo, 0, v71
	s_delay_alu instid0(VALU_DEP_2) | instskip(SKIP_1) | instid1(VALU_DEP_2)
	v_cmp_ne_u32_e64 s13, 0, v2
	v_and_b32_e32 v2, 16, v30
	s_and_b32 s15, s13, vcc_lo
	s_delay_alu instid0(SALU_CYCLE_1)
	s_and_saveexec_b32 s13, s15
	s_cbranch_execz .LBB4_1929
; %bb.1928:                             ;   in Loop: Header=BB4_961 Depth=2
	v_mov_b32_e32 v2, 1
	s_waitcnt lgkmcnt(0)
	s_waitcnt_vscnt null, 0x0
	buffer_gl1_inv
	buffer_gl0_inv
.LBB4_1929:                             ;   in Loop: Header=BB4_961 Depth=2
	s_or_b32 exec_lo, exec_lo, s13
.LBB4_1930:                             ;   in Loop: Header=BB4_961 Depth=2
	s_and_not1_saveexec_b32 s13, s14
	s_cbranch_execz .LBB4_1952
; %bb.1931:                             ;   in Loop: Header=BB4_961 Depth=2
	s_and_saveexec_b32 s14, s4
	s_delay_alu instid0(SALU_CYCLE_1)
	s_xor_b32 s14, exec_lo, s14
	s_cbranch_execz .LBB4_1949
; %bb.1932:                             ;   in Loop: Header=BB4_961 Depth=2
	s_and_saveexec_b32 s15, s1
	s_cbranch_execz .LBB4_1948
; %bb.1933:                             ;   in Loop: Header=BB4_961 Depth=2
	s_mov_b32 s30, exec_lo
	s_mov_b32 s16, exec_lo
	v_mbcnt_lo_u32_b32 v2, s30, 0
	;;#ASMSTART
	s_waitcnt lgkmcnt(0) vmcnt(0)
	;;#ASMEND
	s_delay_alu instid0(VALU_DEP_1)
	v_cmpx_eq_u32_e32 0, v2
	s_cbranch_execz .LBB4_1935
; %bb.1934:                             ;   in Loop: Header=BB4_961 Depth=2
	s_bcnt1_i32_b32 vcc_lo, s30
	s_delay_alu instid0(SALU_CYCLE_1)
	v_mov_b32_e32 v2, vcc_lo
	ds_add_u64 v0, v[2:3]
	s_cbranch_execnz .LBB4_2932
.LBB4_1935:                             ;   in Loop: Header=BB4_961 Depth=2
	s_or_b32 exec_lo, exec_lo, s16
	s_cbranch_execnz .LBB4_2908
; %bb.1936:                             ;   in Loop: Header=BB4_961 Depth=2
	ds_load_b64 v[8:9], v0
	v_add_co_u32 v48, vcc_lo, v48, v113
	v_add_co_ci_u32_e32 v49, vcc_lo, 0, v49, vcc_lo
	s_mov_b32 s16, exec_lo
	s_waitcnt lgkmcnt(0)
	s_delay_alu instid0(VALU_DEP_1)
	v_cmpx_lt_u64_e64 v[8:9], v[48:49]
	s_cbranch_execz .LBB4_1947
; %bb.1937:                             ;   in Loop: Header=BB4_961 Depth=2
	s_mov_b32 s30, 0
	s_mov_b32 s35, 0
                                        ; implicit-def: $sgpr31
                                        ; implicit-def: $sgpr34
	s_branch .LBB4_1939
.LBB4_1938:                             ;   in Loop: Header=BB4_1939 Depth=3
	s_or_b32 exec_lo, exec_lo, s37
	s_delay_alu instid0(SALU_CYCLE_1) | instskip(NEXT) | instid1(SALU_CYCLE_1)
	s_and_b32 vcc_lo, exec_lo, vcc_lo
	s_or_b32 s30, vcc_lo, s30
	s_and_not1_b32 vcc_lo, s31, exec_lo
	s_and_b32 s31, s34, exec_lo
	s_delay_alu instid0(SALU_CYCLE_1)
	s_or_b32 s31, vcc_lo, s31
	s_and_not1_b32 exec_lo, exec_lo, s30
	s_cbranch_execz .LBB4_1945
.LBB4_1939:                             ;   Parent Loop BB4_51 Depth=1
                                        ;     Parent Loop BB4_961 Depth=2
                                        ; =>    This Inner Loop Header: Depth=3
	s_add_i32 s35, s35, 1
                                        ; implicit-def: $sgpr37
	s_delay_alu instid0(SALU_CYCLE_1) | instskip(SKIP_1) | instid1(SALU_CYCLE_1)
	s_cmpk_lg_i32 s35, 0x2710
	s_cselect_b32 s36, -1, 0
	s_and_b32 vcc_lo, exec_lo, s36
	s_cbranch_vccz .LBB4_1943
.LBB4_1940:                             ;   in Loop: Header=BB4_1939 Depth=3
	s_and_not1_b32 s34, s34, exec_lo
	s_and_b32 s37, s37, exec_lo
	s_mov_b32 vcc_lo, -1
	s_or_b32 s34, s34, s37
	s_and_saveexec_b32 s37, s36
	s_cbranch_execz .LBB4_1938
; %bb.1941:                             ;   in Loop: Header=BB4_1939 Depth=3
	s_sleep 1
	s_cbranch_execnz .LBB4_2994
; %bb.1942:                             ;   in Loop: Header=BB4_1939 Depth=3
	ds_load_b64 v[8:9], v0
	s_and_not1_b32 s34, s34, exec_lo
	s_waitcnt lgkmcnt(0)
	v_cmp_ge_u64_e32 vcc_lo, v[8:9], v[48:49]
	s_or_not1_b32 vcc_lo, vcc_lo, exec_lo
	s_branch .LBB4_1938
.LBB4_1943:                             ;   in Loop: Header=BB4_1939 Depth=3
	s_cbranch_execnz .LBB4_3010
; %bb.1944:                             ;   in Loop: Header=BB4_1939 Depth=3
	ds_load_b64 v[8:9], v0
	s_and_not1_b32 s36, s36, exec_lo
	s_mov_b32 s35, 0
	s_mov_b32 s37, -1
	s_waitcnt lgkmcnt(0)
	s_waitcnt_vscnt null, 0x0
	flat_load_b32 v2, v[8:9] glc
	s_waitcnt vmcnt(0) lgkmcnt(0)
	buffer_gl1_inv
	buffer_gl0_inv
	v_cmp_eq_u32_e32 vcc_lo, 0, v2
	s_and_b32 vcc_lo, vcc_lo, exec_lo
	s_delay_alu instid0(SALU_CYCLE_1)
	s_or_b32 s36, s36, vcc_lo
	s_branch .LBB4_1940
.LBB4_1945:                             ;   in Loop: Header=BB4_961 Depth=2
	s_or_b32 exec_lo, exec_lo, s30
	s_and_saveexec_b32 vcc_lo, s31
	s_delay_alu instid0(SALU_CYCLE_1)
	s_xor_b32 vcc_lo, exec_lo, vcc_lo
	s_cbranch_execz .LBB4_1947
; %bb.1946:                             ;   in Loop: Header=BB4_961 Depth=2
	ds_store_b32 v0, v148
	s_cbranch_execnz .LBB4_3112
.LBB4_1947:                             ;   in Loop: Header=BB4_961 Depth=2
	s_or_b32 exec_lo, exec_lo, s16
	;;#ASMSTART
	s_wakeup
	;;#ASMEND
.LBB4_1948:                             ;   in Loop: Header=BB4_961 Depth=2
	s_or_b32 exec_lo, exec_lo, s15
.LBB4_1949:                             ;   in Loop: Header=BB4_961 Depth=2
	s_and_not1_saveexec_b32 s14, s14
	s_cbranch_execz .LBB4_1951
; %bb.1950:                             ;   in Loop: Header=BB4_961 Depth=2
	;;#ASMSTART
	s_waitcnt lgkmcnt(0) vmcnt(0)
	;;#ASMEND
	s_waitcnt lgkmcnt(0)
	s_waitcnt_vscnt null, 0x0
	s_barrier
.LBB4_1951:                             ;   in Loop: Header=BB4_961 Depth=2
	s_or_b32 exec_lo, exec_lo, s14
	v_and_b32_e32 v2, 16, v30
.LBB4_1952:                             ;   in Loop: Header=BB4_961 Depth=2
	s_or_b32 exec_lo, exec_lo, s13
	s_delay_alu instid0(VALU_DEP_1) | instskip(SKIP_1) | instid1(SALU_CYCLE_1)
	v_cmp_ne_u32_e32 vcc_lo, 0, v2
	s_xor_b32 s13, s10, -1
	s_and_b32 s14, vcc_lo, s13
	s_delay_alu instid0(SALU_CYCLE_1)
	s_and_saveexec_b32 s13, s14
	s_cbranch_execz .LBB4_1954
; %bb.1953:                             ;   in Loop: Header=BB4_961 Depth=2
	s_waitcnt lgkmcnt(0)
	s_waitcnt_vscnt null, 0x0
	flat_store_b32 v[38:39], v148
.LBB4_1954:                             ;   in Loop: Header=BB4_961 Depth=2
	s_or_b32 exec_lo, exec_lo, s13
	v_and_b32_e32 v2, 48, v30
	s_mov_b32 s13, exec_lo
	s_delay_alu instid0(VALU_DEP_1)
	v_cmpx_ne_u32_e32 0, v2
	s_cbranch_execz .LBB4_1956
; %bb.1955:                             ;   in Loop: Header=BB4_961 Depth=2
	v_add_co_u32 v34, vcc_lo, v34, 2
	v_add_co_ci_u32_e32 v35, vcc_lo, 0, v35, vcc_lo
	s_waitcnt lgkmcnt(0)
	s_waitcnt_vscnt null, 0x0
	flat_store_b64 v[32:33], v[34:35]
.LBB4_1956:                             ;   in Loop: Header=BB4_961 Depth=2
	s_or_b32 exec_lo, exec_lo, s13
	v_add_nc_u32_e32 v80, v70, v80
	v_readlane_b32 s13, v42, 0
	v_readlane_b32 s36, v42, 2
	;; [unrolled: 1-line block ×4, first 2 shown]
	v_cmp_ge_i32_e32 vcc_lo, v80, v149
	s_xor_b32 s13, s13, -1
	v_readlane_b32 s16, v42, 7
	v_readlane_b32 s35, v42, 6
	s_mov_b32 s37, 0
	s_or_b32 s13, s13, vcc_lo
	s_mov_b32 s30, 2
	s_and_b32 s14, exec_lo, s13
	v_readlane_b32 s13, v42, 1
	s_or_b32 s36, s14, s36
	v_readlane_b32 s14, v42, 3
	s_delay_alu instid0(VALU_DEP_2)
	v_mov_b32_e32 v2, s13
	s_and_not1_b32 exec_lo, exec_lo, s36
	s_cbranch_execnz .LBB4_961
; %bb.1957:                             ;   in Loop: Header=BB4_51 Depth=1
	s_or_b32 exec_lo, exec_lo, s36
.LBB4_1958:                             ;   in Loop: Header=BB4_51 Depth=1
	s_delay_alu instid0(SALU_CYCLE_1) | instskip(NEXT) | instid1(SALU_CYCLE_1)
	s_or_b32 exec_lo, exec_lo, s17
	s_mov_b32 s15, exec_lo
	v_cmpx_gt_i32_e32 2, v2
	s_cbranch_execz .LBB4_2042
; %bb.1959:                             ;   in Loop: Header=BB4_51 Depth=1
	v_cmp_eq_u32_e64 s13, 0, v2
	s_mov_b32 s17, 0
.LBB4_1960:                             ;   Parent Loop BB4_51 Depth=1
                                        ; =>  This Loop Header: Depth=2
                                        ;       Child Loop BB4_1966 Depth 3
                                        ;       Child Loop BB4_1996 Depth 3
	;; [unrolled: 1-line block ×3, first 2 shown]
	v_and_b32_e32 v2, 12, v30
	s_mov_b32 s36, -1
	s_mov_b32 s30, exec_lo
	s_delay_alu instid0(VALU_DEP_1)
	v_cmpx_ne_u32_e32 0, v2
	s_cbranch_execz .LBB4_1974
; %bb.1961:                             ;   in Loop: Header=BB4_1960 Depth=2
	v_and_b32_e32 v2, 8, v30
	s_delay_alu instid0(VALU_DEP_1) | instskip(SKIP_3) | instid1(VALU_DEP_1)
	v_add_co_u32 v10, vcc_lo, v50, v2
	v_add_co_ci_u32_e32 v11, vcc_lo, 0, v51, vcc_lo
	v_add_co_u32 v8, vcc_lo, v34, 2
	v_add_co_ci_u32_e32 v9, vcc_lo, 0, v35, vcc_lo
	v_cmp_lt_u64_e32 vcc_lo, v[10:11], v[8:9]
	v_mov_b32_e32 v10, 1
	s_and_saveexec_b32 s36, vcc_lo
	s_cbranch_execz .LBB4_1973
; %bb.1962:                             ;   in Loop: Header=BB4_1960 Depth=2
	v_mov_b32_e32 v10, 0
	s_mov_b32 s37, 0
                                        ; implicit-def: $sgpr38
	s_branch .LBB4_1966
.LBB4_1963:                             ;   in Loop: Header=BB4_1966 Depth=3
	s_or_b32 exec_lo, exec_lo, s42
	v_mov_b32_e32 v11, 0
	s_or_not1_b32 s41, s41, exec_lo
.LBB4_1964:                             ;   in Loop: Header=BB4_1966 Depth=3
	s_or_b32 exec_lo, exec_lo, s40
	s_delay_alu instid0(VALU_DEP_1) | instskip(SKIP_2) | instid1(SALU_CYCLE_1)
	v_mov_b32_e32 v10, v11
	s_and_not1_b32 vcc_lo, s38, exec_lo
	s_and_b32 s38, s41, exec_lo
	s_or_b32 s38, vcc_lo, s38
.LBB4_1965:                             ;   in Loop: Header=BB4_1966 Depth=3
	s_or_b32 exec_lo, exec_lo, s39
	s_waitcnt vmcnt(0) lgkmcnt(0)
	v_add_co_u32 v11, vcc_lo, v50, v2
	v_add_co_ci_u32_e32 v12, vcc_lo, 0, v51, vcc_lo
	s_xor_b32 s39, s38, -1
	s_delay_alu instid0(VALU_DEP_1) | instskip(SKIP_1) | instid1(SALU_CYCLE_1)
	v_cmp_ge_u64_e32 vcc_lo, v[11:12], v[8:9]
	s_or_b32 vcc_lo, s39, vcc_lo
	s_and_b32 vcc_lo, exec_lo, vcc_lo
	s_delay_alu instid0(SALU_CYCLE_1) | instskip(NEXT) | instid1(SALU_CYCLE_1)
	s_or_b32 s37, vcc_lo, s37
	s_and_not1_b32 exec_lo, exec_lo, s37
	s_cbranch_execz .LBB4_1972
.LBB4_1966:                             ;   Parent Loop BB4_51 Depth=1
                                        ;     Parent Loop BB4_1960 Depth=2
                                        ; =>    This Inner Loop Header: Depth=3
	s_sleep 1
	flat_load_b64 v[50:51], v[32:33] glc
	v_and_b32_e32 v11, 64, v30
	s_and_not1_b32 s38, s38, exec_lo
	s_mov_b32 s39, exec_lo
	s_delay_alu instid0(VALU_DEP_1)
	v_cmpx_eq_u32_e32 0, v11
	s_cbranch_execz .LBB4_1965
; %bb.1967:                             ;   in Loop: Header=BB4_1966 Depth=3
	v_add_nc_u32_e32 v11, 1, v10
	s_mov_b32 s41, -1
	s_mov_b32 s40, exec_lo
	v_cmpx_lt_i32_e32 0x270e, v10
	s_cbranch_execz .LBB4_1964
; %bb.1968:                             ;   in Loop: Header=BB4_1966 Depth=3
	s_cbranch_execnz .LBB4_2706
; %bb.1969:                             ;   in Loop: Header=BB4_1966 Depth=3
	ds_load_b64 v[10:11], v0
	s_mov_b32 s42, exec_lo
	s_waitcnt vmcnt(0) lgkmcnt(0)
	s_waitcnt_vscnt null, 0x0
	flat_load_b32 v10, v[10:11] glc
	s_waitcnt vmcnt(0) lgkmcnt(0)
	buffer_gl1_inv
	buffer_gl0_inv
	v_cmpx_ne_u32_e32 0, v10
	s_cbranch_execz .LBB4_1963
; %bb.1970:                             ;   in Loop: Header=BB4_1966 Depth=3
	ds_store_b32 v0, v10
	s_cbranch_execnz .LBB4_2760
; %bb.1971:                             ;   in Loop: Header=BB4_1966 Depth=3
	v_or_b32_e32 v30, 64, v30
	s_xor_b32 s41, exec_lo, -1
	s_branch .LBB4_1963
.LBB4_1972:                             ;   in Loop: Header=BB4_1960 Depth=2
	s_or_b32 exec_lo, exec_lo, s37
	v_and_b32_e32 v10, 12, v30
.LBB4_1973:                             ;   in Loop: Header=BB4_1960 Depth=2
	s_or_b32 exec_lo, exec_lo, s36
	s_delay_alu instid0(VALU_DEP_1)
	v_cmp_eq_u32_e32 vcc_lo, 0, v10
	;;#ASMSTART
	s_wakeup
	;;#ASMEND
	s_or_not1_b32 s36, vcc_lo, exec_lo
.LBB4_1974:                             ;   in Loop: Header=BB4_1960 Depth=2
	s_or_b32 exec_lo, exec_lo, s30
	v_sub_nc_u32_e32 v2, v149, v80
	s_xor_b32 s13, s13, -1
	s_delay_alu instid0(SALU_CYCLE_1) | instskip(NEXT) | instid1(SALU_CYCLE_1)
	s_and_b32 s13, exec_lo, s13
	s_or_b32 s17, s13, s17
	s_delay_alu instid0(VALU_DEP_1) | instskip(SKIP_1) | instid1(SALU_CYCLE_1)
	v_min_i32_e32 v70, v70, v2
	s_xor_b32 s13, s36, -1
	s_and_saveexec_b32 s30, s13
	s_cbranch_execz .LBB4_1987
; %bb.1975:                             ;   in Loop: Header=BB4_1960 Depth=2
	v_and_b32_e32 v2, 0x108, v30
	s_delay_alu instid0(VALU_DEP_1) | instskip(SKIP_2) | instid1(SALU_CYCLE_1)
	v_cmp_ne_u32_e32 vcc_lo, 0x108, v2
	v_and_b32_e32 v2, 7, v34
	s_and_saveexec_b32 s13, vcc_lo
	s_xor_b32 s13, exec_lo, s13
	s_delay_alu instid0(SALU_CYCLE_1)
	s_and_not1_saveexec_b32 s13, s13
	s_cbranch_execz .LBB4_1977
; %bb.1976:                             ;   in Loop: Header=BB4_1960 Depth=2
	v_ashrrev_i32_e32 v71, 31, v70
	v_mad_u64_u32 v[8:9], null, v2, 24, v[6:7]
	s_delay_alu instid0(VALU_DEP_2)
	v_lshlrev_b64 v[10:11], 1, v[70:71]
	flat_store_b64 v[8:9], v[10:11] offset:8
.LBB4_1977:                             ;   in Loop: Header=BB4_1960 Depth=2
	s_or_b32 exec_lo, exec_lo, s13
	v_and_b32_e32 v8, 0x100, v30
	s_mov_b32 s13, -1
	s_delay_alu instid0(VALU_DEP_1)
	v_cmp_ne_u32_e32 vcc_lo, 0, v8
                                        ; implicit-def: $vgpr8_vgpr9
	s_and_saveexec_b32 s36, vcc_lo
	s_cbranch_execnz .LBB4_1980
; %bb.1978:                             ;   in Loop: Header=BB4_1960 Depth=2
	s_or_b32 exec_lo, exec_lo, s36
	s_and_saveexec_b32 vcc_lo, s13
	s_cbranch_execnz .LBB4_1983
.LBB4_1979:                             ;   in Loop: Header=BB4_1960 Depth=2
	s_or_b32 exec_lo, exec_lo, vcc_lo
	s_cbranch_execnz .LBB4_2702
	s_branch .LBB4_1984
.LBB4_1980:                             ;   in Loop: Header=BB4_1960 Depth=2
	v_mad_u64_u32 v[10:11], null, v2, 24, v[6:7]
	s_delay_alu instid0(VALU_DEP_1) | instskip(NEXT) | instid1(VALU_DEP_1)
	v_mov_b32_e32 v8, v11
	v_mad_u64_u32 v[11:12], null, v3, 24, v[8:9]
	flat_load_b32 v8, v[10:11]
	s_waitcnt vmcnt(0) lgkmcnt(0)
	v_cmp_ne_u32_e32 vcc_lo, 1, v8
	v_cmp_eq_u32_e64 s13, 1, v8
                                        ; implicit-def: $vgpr8_vgpr9
	s_delay_alu instid0(VALU_DEP_1)
	s_and_saveexec_b32 s37, s13
	s_cbranch_execz .LBB4_1982
; %bb.1981:                             ;   in Loop: Header=BB4_1960 Depth=2
	flat_load_b32 v8, v[10:11] offset:4 glc
	s_waitcnt vmcnt(0) lgkmcnt(0)
	v_ashrrev_i32_e32 v9, 31, v8
	s_delay_alu instid0(VALU_DEP_1)
	v_lshrrev_b64 v[8:9], 1, v[8:9]
.LBB4_1982:                             ;   in Loop: Header=BB4_1960 Depth=2
	s_or_b32 exec_lo, exec_lo, s37
	s_delay_alu instid0(SALU_CYCLE_1)
	s_or_not1_b32 s13, vcc_lo, exec_lo
	s_or_b32 exec_lo, exec_lo, s36
	s_and_saveexec_b32 vcc_lo, s13
	s_cbranch_execz .LBB4_1979
.LBB4_1983:                             ;   in Loop: Header=BB4_1960 Depth=2
	v_mul_lo_u32 v10, v3, v101
	v_mul_lo_u32 v11, v2, v102
	v_mad_u64_u32 v[8:9], null, v2, v101, 0
	s_delay_alu instid0(VALU_DEP_1)
	v_add3_u32 v9, v9, v11, v10
	s_or_b32 exec_lo, exec_lo, vcc_lo
	s_cbranch_execnz .LBB4_2702
.LBB4_1984:                             ;   in Loop: Header=BB4_1960 Depth=2
	s_delay_alu instid0(VALU_DEP_1) | instskip(SKIP_2) | instid1(VALU_DEP_2)
	v_lshlrev_b64 v[8:9], 1, v[8:9]
	v_and_b32_e32 v2, 0x2000, v30
	s_mov_b32 s13, exec_lo
	v_add_co_u32 v8, vcc_lo, v36, v8
	s_delay_alu instid0(VALU_DEP_3)
	v_add_co_ci_u32_e32 v9, vcc_lo, v37, v9, vcc_lo
	ds_store_b64 v0, v[8:9]
	v_cmpx_ne_u32_e32 0, v2
	s_cbranch_execz .LBB4_1986
; %bb.1985:                             ;   in Loop: Header=BB4_1960 Depth=2
	ds_load_b64 v[8:9], v0 offset:584
	s_waitcnt lgkmcnt(0)
	v_add_co_u32 v8, vcc_lo, v8, 1
	v_add_co_ci_u32_e32 v9, vcc_lo, 0, v9, vcc_lo
	ds_store_b64 v0, v[8:9] offset:584
.LBB4_1986:                             ;   in Loop: Header=BB4_1960 Depth=2
	s_or_b32 exec_lo, exec_lo, s13
	v_add_co_u32 v34, vcc_lo, v34, 2
	v_add_co_ci_u32_e32 v35, vcc_lo, 0, v35, vcc_lo
.LBB4_1987:                             ;   in Loop: Header=BB4_1960 Depth=2
	s_or_b32 exec_lo, exec_lo, s30
	s_and_saveexec_b32 s13, s3
	s_cbranch_execz .LBB4_2009
; %bb.1988:                             ;   in Loop: Header=BB4_1960 Depth=2
	s_and_saveexec_b32 vcc_lo, s4
	s_delay_alu instid0(SALU_CYCLE_1)
	s_xor_b32 s30, exec_lo, vcc_lo
	s_cbranch_execz .LBB4_2006
; %bb.1989:                             ;   in Loop: Header=BB4_1960 Depth=2
	s_and_saveexec_b32 s36, s1
	s_cbranch_execz .LBB4_2005
; %bb.1990:                             ;   in Loop: Header=BB4_1960 Depth=2
	s_mov_b32 s38, exec_lo
	s_mov_b32 s37, exec_lo
	v_mbcnt_lo_u32_b32 v2, s38, 0
	s_waitcnt lgkmcnt(0)
	s_waitcnt_vscnt null, 0x0
	buffer_gl1_inv
	buffer_gl0_inv
	v_cmpx_eq_u32_e32 0, v2
	s_cbranch_execz .LBB4_1992
; %bb.1991:                             ;   in Loop: Header=BB4_1960 Depth=2
	s_bcnt1_i32_b32 vcc_lo, s38
	s_delay_alu instid0(SALU_CYCLE_1)
	v_mov_b32_e32 v2, vcc_lo
	ds_add_u64 v0, v[2:3]
	s_cbranch_execnz .LBB4_2818
.LBB4_1992:                             ;   in Loop: Header=BB4_1960 Depth=2
	s_or_b32 exec_lo, exec_lo, s37
	s_cbranch_execnz .LBB4_2792
; %bb.1993:                             ;   in Loop: Header=BB4_1960 Depth=2
	ds_load_b64 v[8:9], v0
	v_add_co_u32 v48, vcc_lo, v48, v113
	v_add_co_ci_u32_e32 v49, vcc_lo, 0, v49, vcc_lo
	s_mov_b32 s37, exec_lo
	s_waitcnt lgkmcnt(0)
	s_delay_alu instid0(VALU_DEP_1)
	v_cmpx_lt_u64_e64 v[8:9], v[48:49]
	s_cbranch_execz .LBB4_2004
; %bb.1994:                             ;   in Loop: Header=BB4_1960 Depth=2
	s_mov_b32 s38, 0
	s_mov_b32 s41, 0
                                        ; implicit-def: $sgpr39
                                        ; implicit-def: $sgpr40
	s_branch .LBB4_1996
.LBB4_1995:                             ;   in Loop: Header=BB4_1996 Depth=3
	s_or_b32 exec_lo, exec_lo, s43
	s_delay_alu instid0(SALU_CYCLE_1) | instskip(NEXT) | instid1(SALU_CYCLE_1)
	s_and_b32 vcc_lo, exec_lo, vcc_lo
	s_or_b32 s38, vcc_lo, s38
	s_and_not1_b32 vcc_lo, s39, exec_lo
	s_and_b32 s39, s40, exec_lo
	s_delay_alu instid0(SALU_CYCLE_1)
	s_or_b32 s39, vcc_lo, s39
	s_and_not1_b32 exec_lo, exec_lo, s38
	s_cbranch_execz .LBB4_2002
.LBB4_1996:                             ;   Parent Loop BB4_51 Depth=1
                                        ;     Parent Loop BB4_1960 Depth=2
                                        ; =>    This Inner Loop Header: Depth=3
	s_add_i32 s41, s41, 1
                                        ; implicit-def: $sgpr43
	s_delay_alu instid0(SALU_CYCLE_1) | instskip(SKIP_1) | instid1(SALU_CYCLE_1)
	s_cmpk_lg_i32 s41, 0x2710
	s_cselect_b32 s42, -1, 0
	s_and_b32 vcc_lo, exec_lo, s42
	s_cbranch_vccz .LBB4_2000
.LBB4_1997:                             ;   in Loop: Header=BB4_1996 Depth=3
	s_and_not1_b32 s40, s40, exec_lo
	s_and_b32 s43, s43, exec_lo
	s_mov_b32 vcc_lo, -1
	s_or_b32 s40, s40, s43
	s_and_saveexec_b32 s43, s42
	s_cbranch_execz .LBB4_1995
; %bb.1998:                             ;   in Loop: Header=BB4_1996 Depth=3
	s_sleep 1
	s_cbranch_execnz .LBB4_2862
; %bb.1999:                             ;   in Loop: Header=BB4_1996 Depth=3
	ds_load_b64 v[8:9], v0
	s_and_not1_b32 s40, s40, exec_lo
	s_waitcnt lgkmcnt(0)
	v_cmp_ge_u64_e32 vcc_lo, v[8:9], v[48:49]
	s_or_not1_b32 vcc_lo, vcc_lo, exec_lo
	s_branch .LBB4_1995
.LBB4_2000:                             ;   in Loop: Header=BB4_1996 Depth=3
	s_cbranch_execnz .LBB4_2874
; %bb.2001:                             ;   in Loop: Header=BB4_1996 Depth=3
	ds_load_b64 v[8:9], v0
	s_and_not1_b32 s42, s42, exec_lo
	s_mov_b32 s41, 0
	s_mov_b32 s43, -1
	s_waitcnt lgkmcnt(0)
	flat_load_b32 v2, v[8:9] glc
	s_waitcnt vmcnt(0) lgkmcnt(0)
	buffer_gl1_inv
	buffer_gl0_inv
	v_cmp_eq_u32_e32 vcc_lo, 0, v2
	s_and_b32 vcc_lo, vcc_lo, exec_lo
	s_delay_alu instid0(SALU_CYCLE_1)
	s_or_b32 s42, s42, vcc_lo
	s_branch .LBB4_1997
.LBB4_2002:                             ;   in Loop: Header=BB4_1960 Depth=2
	s_or_b32 exec_lo, exec_lo, s38
	s_and_saveexec_b32 vcc_lo, s39
	s_delay_alu instid0(SALU_CYCLE_1)
	s_xor_b32 vcc_lo, exec_lo, vcc_lo
	s_cbranch_execz .LBB4_2004
; %bb.2003:                             ;   in Loop: Header=BB4_1960 Depth=2
	ds_store_b32 v0, v148
	s_cbranch_execnz .LBB4_3072
.LBB4_2004:                             ;   in Loop: Header=BB4_1960 Depth=2
	s_or_b32 exec_lo, exec_lo, s37
	;;#ASMSTART
	s_wakeup
	;;#ASMEND
.LBB4_2005:                             ;   in Loop: Header=BB4_1960 Depth=2
	s_or_b32 exec_lo, exec_lo, s36
.LBB4_2006:                             ;   in Loop: Header=BB4_1960 Depth=2
	s_and_not1_saveexec_b32 vcc_lo, s30
	s_cbranch_execz .LBB4_2008
; %bb.2007:                             ;   in Loop: Header=BB4_1960 Depth=2
	s_waitcnt lgkmcnt(0)
	s_waitcnt_vscnt null, 0x0
	buffer_gl1_inv
	buffer_gl0_inv
	s_barrier
.LBB4_2008:                             ;   in Loop: Header=BB4_1960 Depth=2
	s_or_b32 exec_lo, exec_lo, vcc_lo
.LBB4_2009:                             ;   in Loop: Header=BB4_1960 Depth=2
	s_delay_alu instid0(SALU_CYCLE_1) | instskip(SKIP_1) | instid1(SALU_CYCLE_1)
	s_or_b32 exec_lo, exec_lo, s13
                                        ; implicit-def: $vgpr2
	s_and_saveexec_b32 s13, s7
	s_xor_b32 s30, exec_lo, s13
	s_cbranch_execz .LBB4_2014
; %bb.2010:                             ;   in Loop: Header=BB4_1960 Depth=2
	s_cbranch_execnz .LBB4_2716
; %bb.2011:                             ;   in Loop: Header=BB4_1960 Depth=2
	ds_load_b32 v2, v0
	v_cmp_lt_i32_e32 vcc_lo, 0, v70
	s_waitcnt lgkmcnt(0)
	v_readfirstlane_b32 s13, v2
	v_and_b32_e32 v2, 16, v30
	s_delay_alu instid0(VALU_DEP_2) | instskip(NEXT) | instid1(VALU_DEP_1)
	s_cmp_eq_u32 s13, 0
	v_cmp_ne_u32_e64 s13, 0, v2
	s_cselect_b32 s36, -1, 0
	v_and_b32_e32 v2, 16, v30
	s_and_b32 vcc_lo, vcc_lo, s36
	s_delay_alu instid0(VALU_DEP_2) | instid1(SALU_CYCLE_1)
	s_and_b32 vcc_lo, s13, vcc_lo
	s_delay_alu instid0(SALU_CYCLE_1)
	s_and_saveexec_b32 s13, vcc_lo
	s_cbranch_execz .LBB4_2013
; %bb.2012:                             ;   in Loop: Header=BB4_1960 Depth=2
	v_mov_b32_e32 v2, 1
	s_waitcnt_vscnt null, 0x0
	buffer_gl1_inv
	buffer_gl0_inv
.LBB4_2013:                             ;   in Loop: Header=BB4_1960 Depth=2
	s_or_b32 exec_lo, exec_lo, s13
.LBB4_2014:                             ;   in Loop: Header=BB4_1960 Depth=2
	s_and_not1_saveexec_b32 s13, s30
	s_cbranch_execz .LBB4_2036
; %bb.2015:                             ;   in Loop: Header=BB4_1960 Depth=2
	s_and_saveexec_b32 vcc_lo, s4
	s_delay_alu instid0(SALU_CYCLE_1)
	s_xor_b32 s30, exec_lo, vcc_lo
	s_cbranch_execz .LBB4_2033
; %bb.2016:                             ;   in Loop: Header=BB4_1960 Depth=2
	s_and_saveexec_b32 s36, s1
	s_cbranch_execz .LBB4_2032
; %bb.2017:                             ;   in Loop: Header=BB4_1960 Depth=2
	s_mov_b32 s38, exec_lo
	s_mov_b32 s37, exec_lo
	v_mbcnt_lo_u32_b32 v2, s38, 0
	;;#ASMSTART
	s_waitcnt lgkmcnt(0) vmcnt(0)
	;;#ASMEND
	s_delay_alu instid0(VALU_DEP_1)
	v_cmpx_eq_u32_e32 0, v2
	s_cbranch_execz .LBB4_2019
; %bb.2018:                             ;   in Loop: Header=BB4_1960 Depth=2
	s_bcnt1_i32_b32 vcc_lo, s38
	s_delay_alu instid0(SALU_CYCLE_1)
	v_mov_b32_e32 v2, vcc_lo
	ds_add_u64 v0, v[2:3]
	s_cbranch_execnz .LBB4_2828
.LBB4_2019:                             ;   in Loop: Header=BB4_1960 Depth=2
	s_or_b32 exec_lo, exec_lo, s37
	s_cbranch_execnz .LBB4_2816
; %bb.2020:                             ;   in Loop: Header=BB4_1960 Depth=2
	ds_load_b64 v[8:9], v0
	v_add_co_u32 v48, vcc_lo, v48, v113
	v_add_co_ci_u32_e32 v49, vcc_lo, 0, v49, vcc_lo
	s_mov_b32 s37, exec_lo
	s_waitcnt lgkmcnt(0)
	s_delay_alu instid0(VALU_DEP_1)
	v_cmpx_lt_u64_e64 v[8:9], v[48:49]
	s_cbranch_execz .LBB4_2031
; %bb.2021:                             ;   in Loop: Header=BB4_1960 Depth=2
	s_mov_b32 s38, 0
	s_mov_b32 s41, 0
                                        ; implicit-def: $sgpr39
                                        ; implicit-def: $sgpr40
	s_branch .LBB4_2023
.LBB4_2022:                             ;   in Loop: Header=BB4_2023 Depth=3
	s_or_b32 exec_lo, exec_lo, s43
	s_delay_alu instid0(SALU_CYCLE_1) | instskip(NEXT) | instid1(SALU_CYCLE_1)
	s_and_b32 vcc_lo, exec_lo, vcc_lo
	s_or_b32 s38, vcc_lo, s38
	s_and_not1_b32 vcc_lo, s39, exec_lo
	s_and_b32 s39, s40, exec_lo
	s_delay_alu instid0(SALU_CYCLE_1)
	s_or_b32 s39, vcc_lo, s39
	s_and_not1_b32 exec_lo, exec_lo, s38
	s_cbranch_execz .LBB4_2029
.LBB4_2023:                             ;   Parent Loop BB4_51 Depth=1
                                        ;     Parent Loop BB4_1960 Depth=2
                                        ; =>    This Inner Loop Header: Depth=3
	s_add_i32 s41, s41, 1
                                        ; implicit-def: $sgpr43
	s_delay_alu instid0(SALU_CYCLE_1) | instskip(SKIP_1) | instid1(SALU_CYCLE_1)
	s_cmpk_lg_i32 s41, 0x2710
	s_cselect_b32 s42, -1, 0
	s_and_b32 vcc_lo, exec_lo, s42
	s_cbranch_vccz .LBB4_2027
.LBB4_2024:                             ;   in Loop: Header=BB4_2023 Depth=3
	s_and_not1_b32 s40, s40, exec_lo
	s_and_b32 s43, s43, exec_lo
	s_mov_b32 vcc_lo, -1
	s_or_b32 s40, s40, s43
	s_and_saveexec_b32 s43, s42
	s_cbranch_execz .LBB4_2022
; %bb.2025:                             ;   in Loop: Header=BB4_2023 Depth=3
	s_sleep 1
	s_cbranch_execnz .LBB4_2884
; %bb.2026:                             ;   in Loop: Header=BB4_2023 Depth=3
	ds_load_b64 v[8:9], v0
	s_and_not1_b32 s40, s40, exec_lo
	s_waitcnt lgkmcnt(0)
	v_cmp_ge_u64_e32 vcc_lo, v[8:9], v[48:49]
	s_or_not1_b32 vcc_lo, vcc_lo, exec_lo
	s_branch .LBB4_2022
.LBB4_2027:                             ;   in Loop: Header=BB4_2023 Depth=3
	s_cbranch_execnz .LBB4_2896
; %bb.2028:                             ;   in Loop: Header=BB4_2023 Depth=3
	ds_load_b64 v[8:9], v0
	s_and_not1_b32 s42, s42, exec_lo
	s_mov_b32 s41, 0
	s_mov_b32 s43, -1
	s_waitcnt lgkmcnt(0)
	s_waitcnt_vscnt null, 0x0
	flat_load_b32 v2, v[8:9] glc
	s_waitcnt vmcnt(0) lgkmcnt(0)
	buffer_gl1_inv
	buffer_gl0_inv
	v_cmp_eq_u32_e32 vcc_lo, 0, v2
	s_and_b32 vcc_lo, vcc_lo, exec_lo
	s_delay_alu instid0(SALU_CYCLE_1)
	s_or_b32 s42, s42, vcc_lo
	s_branch .LBB4_2024
.LBB4_2029:                             ;   in Loop: Header=BB4_1960 Depth=2
	s_or_b32 exec_lo, exec_lo, s38
	s_and_saveexec_b32 vcc_lo, s39
	s_delay_alu instid0(SALU_CYCLE_1)
	s_xor_b32 vcc_lo, exec_lo, vcc_lo
	s_cbranch_execz .LBB4_2031
; %bb.2030:                             ;   in Loop: Header=BB4_1960 Depth=2
	ds_store_b32 v0, v148
	s_cbranch_execnz .LBB4_3084
.LBB4_2031:                             ;   in Loop: Header=BB4_1960 Depth=2
	s_or_b32 exec_lo, exec_lo, s37
	;;#ASMSTART
	s_wakeup
	;;#ASMEND
.LBB4_2032:                             ;   in Loop: Header=BB4_1960 Depth=2
	s_or_b32 exec_lo, exec_lo, s36
.LBB4_2033:                             ;   in Loop: Header=BB4_1960 Depth=2
	s_and_not1_saveexec_b32 vcc_lo, s30
	s_cbranch_execz .LBB4_2035
; %bb.2034:                             ;   in Loop: Header=BB4_1960 Depth=2
	;;#ASMSTART
	s_waitcnt lgkmcnt(0) vmcnt(0)
	;;#ASMEND
	s_waitcnt lgkmcnt(0)
	s_waitcnt_vscnt null, 0x0
	s_barrier
.LBB4_2035:                             ;   in Loop: Header=BB4_1960 Depth=2
	s_or_b32 exec_lo, exec_lo, vcc_lo
	v_and_b32_e32 v2, 16, v30
.LBB4_2036:                             ;   in Loop: Header=BB4_1960 Depth=2
	s_or_b32 exec_lo, exec_lo, s13
	s_delay_alu instid0(VALU_DEP_1) | instskip(SKIP_1) | instid1(SALU_CYCLE_1)
	v_cmp_ne_u32_e32 vcc_lo, 0, v2
	s_xor_b32 s13, s10, -1
	s_and_b32 vcc_lo, vcc_lo, s13
	s_delay_alu instid0(SALU_CYCLE_1)
	s_and_saveexec_b32 s13, vcc_lo
	s_cbranch_execz .LBB4_2038
; %bb.2037:                             ;   in Loop: Header=BB4_1960 Depth=2
	s_waitcnt lgkmcnt(0)
	s_waitcnt_vscnt null, 0x0
	flat_store_b32 v[38:39], v148
.LBB4_2038:                             ;   in Loop: Header=BB4_1960 Depth=2
	s_or_b32 exec_lo, exec_lo, s13
	v_and_b32_e32 v2, 48, v30
	s_mov_b32 s13, exec_lo
	s_delay_alu instid0(VALU_DEP_1)
	v_cmpx_ne_u32_e32 0, v2
	s_cbranch_execz .LBB4_2040
; %bb.2039:                             ;   in Loop: Header=BB4_1960 Depth=2
	v_add_co_u32 v34, vcc_lo, v34, 2
	v_add_co_ci_u32_e32 v35, vcc_lo, 0, v35, vcc_lo
	s_waitcnt lgkmcnt(0)
	s_waitcnt_vscnt null, 0x0
	flat_store_b64 v[32:33], v[34:35]
.LBB4_2040:                             ;   in Loop: Header=BB4_1960 Depth=2
	s_or_b32 exec_lo, exec_lo, s13
	v_add_nc_u32_e32 v80, v70, v80
	s_mov_b32 s13, 0
	s_and_not1_b32 exec_lo, exec_lo, s17
	s_cbranch_execnz .LBB4_1960
; %bb.2041:                             ;   in Loop: Header=BB4_51 Depth=1
	s_or_b32 exec_lo, exec_lo, s17
.LBB4_2042:                             ;   in Loop: Header=BB4_51 Depth=1
	v_writelane_b32 v42, s34, 5
	v_writelane_b32 v42, s35, 6
	s_or_b32 exec_lo, exec_lo, s15
	s_mov_b32 s30, s31
	s_mov_b32 s17, s14
	s_and_not1_b32 vcc_lo, exec_lo, s29
	s_cbranch_vccnz .LBB4_2339
; %bb.2043:                             ;   in Loop: Header=BB4_51 Depth=1
	s_mov_b32 s31, 1
.LBB4_2044:                             ;   Parent Loop BB4_51 Depth=1
                                        ; =>  This Loop Header: Depth=2
                                        ;       Child Loop BB4_2046 Depth 3
                                        ;         Child Loop BB4_2055 Depth 4
                                        ;         Child Loop BB4_2085 Depth 4
	;; [unrolled: 1-line block ×5, first 2 shown]
                                        ;           Child Loop BB4_2140 Depth 5
                                        ;         Child Loop BB4_2151 Depth 4
                                        ;         Child Loop BB4_2157 Depth 4
                                        ;           Child Loop BB4_2158 Depth 5
                                        ;         Child Loop BB4_2172 Depth 4
                                        ;         Child Loop BB4_2178 Depth 4
	;; [unrolled: 1-line block ×6, first 2 shown]
                                        ;       Child Loop BB4_2253 Depth 3
                                        ;         Child Loop BB4_2259 Depth 4
                                        ;         Child Loop BB4_2291 Depth 4
	;; [unrolled: 1-line block ×3, first 2 shown]
	s_delay_alu instid0(SALU_CYCLE_1) | instskip(SKIP_4) | instid1(SALU_CYCLE_1)
	s_sub_i32 s13, s25, s31
	v_mov_b32_e32 v14, 0
	s_cmp_le_i32 s19, s13
	s_mov_b32 s35, 0
	s_cselect_b32 s14, s19, 0
	s_sub_i32 s13, s13, s14
	s_delay_alu instid0(SALU_CYCLE_1) | instskip(SKIP_3) | instid1(VALU_DEP_1)
	s_ashr_i32 s14, s13, 31
	v_mul_lo_u32 v2, v65, s13
	v_mad_u64_u32 v[8:9], null, v64, s13, 0
	v_mul_lo_u32 v10, v64, s14
	v_add3_u32 v9, v9, v10, v2
	s_delay_alu instid0(VALU_DEP_3) | instskip(NEXT) | instid1(VALU_DEP_2)
	v_sub_co_u32 v10, vcc_lo, v66, v8
	v_sub_co_ci_u32_e32 v11, vcc_lo, v67, v9, vcc_lo
	s_delay_alu instid0(VALU_DEP_1) | instskip(SKIP_1) | instid1(VALU_DEP_1)
	v_cmp_lt_i64_e32 vcc_lo, v[64:65], v[10:11]
	v_cndmask_b32_e32 v10, v10, v64, vcc_lo
	v_max_i32_e32 v20, 0, v10
	s_delay_alu instid0(VALU_DEP_1) | instskip(NEXT) | instid1(VALU_DEP_1)
	v_add_nc_u32_e32 v2, 31, v20
	v_lshrrev_b32_e32 v2, 1, v2
	s_delay_alu instid0(VALU_DEP_1) | instskip(SKIP_2) | instid1(VALU_DEP_3)
	v_and_b32_e32 v11, 0x3ffffff0, v2
	v_cmp_lt_i32_e32 vcc_lo, 0, v10
	v_mov_b32_e32 v2, 0
	v_max_i32_e32 v12, s28, v11
	s_and_b32 s13, s16, vcc_lo
	s_delay_alu instid0(SALU_CYCLE_1)
	s_and_saveexec_b32 s34, s13
	s_cbranch_execz .LBB4_2251
; %bb.2045:                             ;   in Loop: Header=BB4_2044 Depth=2
	v_add_co_u32 v8, vcc_lo, v8, v68
	v_add_co_ci_u32_e32 v9, vcc_lo, v9, v69, vcc_lo
	v_mov_b32_e32 v14, 0
	s_mov_b32 s37, 1
	s_mov_b32 s36, -1
	s_delay_alu instid0(VALU_DEP_2)
	v_lshlrev_b64 v[16:17], 1, v[8:9]
.LBB4_2046:                             ;   Parent Loop BB4_51 Depth=1
                                        ;     Parent Loop BB4_2044 Depth=2
                                        ; =>    This Loop Header: Depth=3
                                        ;         Child Loop BB4_2055 Depth 4
                                        ;         Child Loop BB4_2085 Depth 4
	;; [unrolled: 1-line block ×5, first 2 shown]
                                        ;           Child Loop BB4_2140 Depth 5
                                        ;         Child Loop BB4_2151 Depth 4
                                        ;         Child Loop BB4_2157 Depth 4
                                        ;           Child Loop BB4_2158 Depth 5
                                        ;         Child Loop BB4_2172 Depth 4
                                        ;         Child Loop BB4_2178 Depth 4
	;; [unrolled: 1-line block ×6, first 2 shown]
	s_and_saveexec_b32 s14, s0
	s_cbranch_execz .LBB4_2049
; %bb.2047:                             ;   in Loop: Header=BB4_2046 Depth=3
	s_cbranch_execnz .LBB4_2740
; %bb.2048:                             ;   in Loop: Header=BB4_2046 Depth=3
	ds_load_b128 v[8:11], v0
	v_ashrrev_i32_e32 v15, 31, v14
	s_delay_alu instid0(VALU_DEP_1)
	v_lshlrev_b64 v[18:19], 1, v[14:15]
	s_waitcnt lgkmcnt(0)
	v_add_co_u32 v2, vcc_lo, v10, v16
	v_add_co_ci_u32_e32 v13, vcc_lo, v11, v17, vcc_lo
	v_add_co_u32 v8, vcc_lo, v8, v16
	v_add_co_ci_u32_e32 v9, vcc_lo, v9, v17, vcc_lo
	s_delay_alu instid0(VALU_DEP_4) | instskip(NEXT) | instid1(VALU_DEP_4)
	v_add_co_u32 v2, vcc_lo, v2, v18
	v_add_co_ci_u32_e32 v13, vcc_lo, v13, v19, vcc_lo
	v_cmp_ne_u64_e32 vcc_lo, 0, v[10:11]
	v_add_co_u32 v8, s13, v8, v18
	s_delay_alu instid0(VALU_DEP_1) | instskip(NEXT) | instid1(VALU_DEP_4)
	v_add_co_ci_u32_e64 v9, s13, v9, v19, s13
	v_dual_cndmask_b32 v11, 0, v13 :: v_dual_cndmask_b32 v10, 0, v2
	ds_store_b64 v0, v[8:9]
	ds_store_b64 v0, v[10:11]
.LBB4_2049:                             ;   in Loop: Header=BB4_2046 Depth=3
	s_or_b32 exec_lo, exec_lo, s14
	v_and_b32_e32 v2, 12, v30
	s_mov_b32 s14, -1
	s_mov_b32 s13, exec_lo
	s_delay_alu instid0(VALU_DEP_1)
	v_cmpx_ne_u32_e32 0, v2
	s_cbranch_execz .LBB4_2063
; %bb.2050:                             ;   in Loop: Header=BB4_2046 Depth=3
	v_and_b32_e32 v2, 8, v30
	s_delay_alu instid0(VALU_DEP_1) | instskip(SKIP_3) | instid1(VALU_DEP_1)
	v_add_co_u32 v10, vcc_lo, v50, v2
	v_add_co_ci_u32_e32 v11, vcc_lo, 0, v51, vcc_lo
	v_add_co_u32 v8, vcc_lo, v34, 2
	v_add_co_ci_u32_e32 v9, vcc_lo, 0, v35, vcc_lo
	v_cmp_lt_u64_e32 vcc_lo, v[10:11], v[8:9]
	v_mov_b32_e32 v10, 1
	s_and_saveexec_b32 s14, vcc_lo
	s_cbranch_execz .LBB4_2062
; %bb.2051:                             ;   in Loop: Header=BB4_2046 Depth=3
	v_mov_b32_e32 v10, 0
	s_mov_b32 s15, 0
                                        ; implicit-def: $sgpr38
	s_branch .LBB4_2055
.LBB4_2052:                             ;   in Loop: Header=BB4_2055 Depth=4
	s_or_b32 exec_lo, exec_lo, s42
	v_mov_b32_e32 v11, 0
	s_or_not1_b32 s41, s41, exec_lo
.LBB4_2053:                             ;   in Loop: Header=BB4_2055 Depth=4
	s_or_b32 exec_lo, exec_lo, s40
	s_delay_alu instid0(VALU_DEP_1) | instskip(SKIP_2) | instid1(SALU_CYCLE_1)
	v_mov_b32_e32 v10, v11
	s_and_not1_b32 vcc_lo, s38, exec_lo
	s_and_b32 s38, s41, exec_lo
	s_or_b32 s38, vcc_lo, s38
.LBB4_2054:                             ;   in Loop: Header=BB4_2055 Depth=4
	s_or_b32 exec_lo, exec_lo, s39
	s_waitcnt vmcnt(0) lgkmcnt(0)
	v_add_co_u32 v18, vcc_lo, v50, v2
	v_add_co_ci_u32_e32 v19, vcc_lo, 0, v51, vcc_lo
	s_xor_b32 s39, s38, -1
	s_delay_alu instid0(VALU_DEP_1) | instskip(SKIP_1) | instid1(SALU_CYCLE_1)
	v_cmp_ge_u64_e32 vcc_lo, v[18:19], v[8:9]
	s_or_b32 vcc_lo, s39, vcc_lo
	s_and_b32 vcc_lo, exec_lo, vcc_lo
	s_delay_alu instid0(SALU_CYCLE_1) | instskip(NEXT) | instid1(SALU_CYCLE_1)
	s_or_b32 s15, vcc_lo, s15
	s_and_not1_b32 exec_lo, exec_lo, s15
	s_cbranch_execz .LBB4_2061
.LBB4_2055:                             ;   Parent Loop BB4_51 Depth=1
                                        ;     Parent Loop BB4_2044 Depth=2
                                        ;       Parent Loop BB4_2046 Depth=3
                                        ; =>      This Inner Loop Header: Depth=4
	s_sleep 1
	flat_load_b64 v[50:51], v[32:33] glc
	v_and_b32_e32 v11, 64, v30
	s_and_not1_b32 s38, s38, exec_lo
	s_mov_b32 s39, exec_lo
	s_delay_alu instid0(VALU_DEP_1)
	v_cmpx_eq_u32_e32 0, v11
	s_cbranch_execz .LBB4_2054
; %bb.2056:                             ;   in Loop: Header=BB4_2055 Depth=4
	v_add_nc_u32_e32 v11, 1, v10
	s_mov_b32 s41, -1
	s_mov_b32 s40, exec_lo
	v_cmpx_lt_i32_e32 0x270e, v10
	s_cbranch_execz .LBB4_2053
; %bb.2057:                             ;   in Loop: Header=BB4_2055 Depth=4
	s_cbranch_execnz .LBB4_2782
; %bb.2058:                             ;   in Loop: Header=BB4_2055 Depth=4
	ds_load_b64 v[10:11], v0
	s_mov_b32 s42, exec_lo
	s_waitcnt vmcnt(0) lgkmcnt(0)
	s_waitcnt_vscnt null, 0x0
	flat_load_b32 v10, v[10:11] glc
	s_waitcnt vmcnt(0) lgkmcnt(0)
	buffer_gl1_inv
	buffer_gl0_inv
	v_cmpx_ne_u32_e32 0, v10
	s_cbranch_execz .LBB4_2052
; %bb.2059:                             ;   in Loop: Header=BB4_2055 Depth=4
	ds_store_b32 v0, v10
	s_cbranch_execnz .LBB4_2860
; %bb.2060:                             ;   in Loop: Header=BB4_2055 Depth=4
	v_or_b32_e32 v30, 64, v30
	s_xor_b32 s41, exec_lo, -1
	s_branch .LBB4_2052
.LBB4_2061:                             ;   in Loop: Header=BB4_2046 Depth=3
	s_or_b32 exec_lo, exec_lo, s15
	v_and_b32_e32 v10, 12, v30
.LBB4_2062:                             ;   in Loop: Header=BB4_2046 Depth=3
	s_or_b32 exec_lo, exec_lo, s14
	s_delay_alu instid0(VALU_DEP_1)
	v_cmp_eq_u32_e32 vcc_lo, 0, v10
	;;#ASMSTART
	s_wakeup
	;;#ASMEND
	s_or_not1_b32 s14, vcc_lo, exec_lo
.LBB4_2063:                             ;   in Loop: Header=BB4_2046 Depth=3
	s_or_b32 exec_lo, exec_lo, s13
	v_sub_nc_u32_e32 v2, v20, v14
	s_xor_b32 s13, s14, -1
	s_delay_alu instid0(VALU_DEP_1)
	v_min_i32_e32 v12, v12, v2
	s_and_saveexec_b32 s14, s13
	s_cbranch_execz .LBB4_2076
; %bb.2064:                             ;   in Loop: Header=BB4_2046 Depth=3
	v_and_b32_e32 v2, 0x108, v30
	s_delay_alu instid0(VALU_DEP_1) | instskip(SKIP_2) | instid1(SALU_CYCLE_1)
	v_cmp_ne_u32_e32 vcc_lo, 0x108, v2
	v_and_b32_e32 v2, 7, v34
	s_and_saveexec_b32 s13, vcc_lo
	s_xor_b32 s13, exec_lo, s13
	s_delay_alu instid0(SALU_CYCLE_1)
	s_and_not1_saveexec_b32 s13, s13
	s_cbranch_execz .LBB4_2066
; %bb.2065:                             ;   in Loop: Header=BB4_2046 Depth=3
	v_ashrrev_i32_e32 v13, 31, v12
	v_mad_u64_u32 v[8:9], null, v2, 24, v[6:7]
	s_delay_alu instid0(VALU_DEP_2)
	v_lshlrev_b64 v[10:11], 1, v[12:13]
	flat_store_b64 v[8:9], v[10:11] offset:8
.LBB4_2066:                             ;   in Loop: Header=BB4_2046 Depth=3
	s_or_b32 exec_lo, exec_lo, s13
	v_and_b32_e32 v8, 0x100, v30
	s_mov_b32 s13, -1
	s_delay_alu instid0(VALU_DEP_1)
	v_cmp_ne_u32_e32 vcc_lo, 0, v8
                                        ; implicit-def: $vgpr8_vgpr9
	s_and_saveexec_b32 s15, vcc_lo
	s_cbranch_execnz .LBB4_2069
; %bb.2067:                             ;   in Loop: Header=BB4_2046 Depth=3
	s_or_b32 exec_lo, exec_lo, s15
	s_and_saveexec_b32 s15, s13
	s_cbranch_execnz .LBB4_2072
.LBB4_2068:                             ;   in Loop: Header=BB4_2046 Depth=3
	s_or_b32 exec_lo, exec_lo, s15
	s_cbranch_execnz .LBB4_2772
	s_branch .LBB4_2073
.LBB4_2069:                             ;   in Loop: Header=BB4_2046 Depth=3
	v_mad_u64_u32 v[10:11], null, v2, 24, v[6:7]
	s_delay_alu instid0(VALU_DEP_1) | instskip(NEXT) | instid1(VALU_DEP_1)
	v_mov_b32_e32 v8, v11
	v_mad_u64_u32 v[18:19], null, v3, 24, v[8:9]
	s_delay_alu instid0(VALU_DEP_1) | instskip(SKIP_4) | instid1(VALU_DEP_1)
	v_mov_b32_e32 v11, v18
	flat_load_b32 v8, v[10:11]
	s_waitcnt vmcnt(0) lgkmcnt(0)
	v_cmp_ne_u32_e32 vcc_lo, 1, v8
	v_cmp_eq_u32_e64 s13, 1, v8
                                        ; implicit-def: $vgpr8_vgpr9
	s_and_saveexec_b32 s38, s13
	s_cbranch_execz .LBB4_2071
; %bb.2070:                             ;   in Loop: Header=BB4_2046 Depth=3
	flat_load_b32 v8, v[10:11] offset:4 glc
	s_waitcnt vmcnt(0) lgkmcnt(0)
	v_ashrrev_i32_e32 v9, 31, v8
	s_delay_alu instid0(VALU_DEP_1)
	v_lshrrev_b64 v[8:9], 1, v[8:9]
.LBB4_2071:                             ;   in Loop: Header=BB4_2046 Depth=3
	s_or_b32 exec_lo, exec_lo, s38
	s_delay_alu instid0(SALU_CYCLE_1)
	s_or_not1_b32 s13, vcc_lo, exec_lo
	s_or_b32 exec_lo, exec_lo, s15
	s_and_saveexec_b32 s15, s13
	s_cbranch_execz .LBB4_2068
.LBB4_2072:                             ;   in Loop: Header=BB4_2046 Depth=3
	v_mul_lo_u32 v10, v3, v101
	v_mul_lo_u32 v11, v2, v102
	v_mad_u64_u32 v[8:9], null, v2, v101, 0
	s_delay_alu instid0(VALU_DEP_1)
	v_add3_u32 v9, v9, v11, v10
	s_or_b32 exec_lo, exec_lo, s15
	s_cbranch_execnz .LBB4_2772
.LBB4_2073:                             ;   in Loop: Header=BB4_2046 Depth=3
	s_delay_alu instid0(VALU_DEP_1) | instskip(SKIP_2) | instid1(VALU_DEP_2)
	v_lshlrev_b64 v[8:9], 1, v[8:9]
	v_and_b32_e32 v2, 0x2000, v30
	s_mov_b32 s13, exec_lo
	v_add_co_u32 v8, vcc_lo, v36, v8
	s_delay_alu instid0(VALU_DEP_3)
	v_add_co_ci_u32_e32 v9, vcc_lo, v37, v9, vcc_lo
	ds_store_b64 v0, v[8:9]
	v_cmpx_ne_u32_e32 0, v2
	s_cbranch_execz .LBB4_2075
; %bb.2074:                             ;   in Loop: Header=BB4_2046 Depth=3
	ds_load_b64 v[8:9], v0 offset:584
	s_waitcnt lgkmcnt(0)
	v_add_co_u32 v8, vcc_lo, v8, 1
	v_add_co_ci_u32_e32 v9, vcc_lo, 0, v9, vcc_lo
	ds_store_b64 v0, v[8:9] offset:584
.LBB4_2075:                             ;   in Loop: Header=BB4_2046 Depth=3
	s_or_b32 exec_lo, exec_lo, s13
	v_add_co_u32 v34, vcc_lo, v34, 2
	v_add_co_ci_u32_e32 v35, vcc_lo, 0, v35, vcc_lo
.LBB4_2076:                             ;   in Loop: Header=BB4_2046 Depth=3
	s_or_b32 exec_lo, exec_lo, s14
	s_and_saveexec_b32 s13, s3
	s_cbranch_execz .LBB4_2098
; %bb.2077:                             ;   in Loop: Header=BB4_2046 Depth=3
	s_and_saveexec_b32 s14, s4
	s_delay_alu instid0(SALU_CYCLE_1)
	s_xor_b32 s14, exec_lo, s14
	s_cbranch_execz .LBB4_2095
; %bb.2078:                             ;   in Loop: Header=BB4_2046 Depth=3
	s_and_saveexec_b32 s15, s1
	s_cbranch_execz .LBB4_2094
; %bb.2079:                             ;   in Loop: Header=BB4_2046 Depth=3
	s_mov_b32 s39, exec_lo
	s_mov_b32 s38, exec_lo
	v_mbcnt_lo_u32_b32 v2, s39, 0
	s_waitcnt lgkmcnt(0)
	s_waitcnt_vscnt null, 0x0
	buffer_gl1_inv
	buffer_gl0_inv
	v_cmpx_eq_u32_e32 0, v2
	s_cbranch_execz .LBB4_2081
; %bb.2080:                             ;   in Loop: Header=BB4_2046 Depth=3
	s_bcnt1_i32_b32 vcc_lo, s39
	s_delay_alu instid0(SALU_CYCLE_1)
	v_mov_b32_e32 v2, vcc_lo
	ds_add_u64 v0, v[2:3]
	s_cbranch_execnz .LBB4_2916
.LBB4_2081:                             ;   in Loop: Header=BB4_2046 Depth=3
	s_or_b32 exec_lo, exec_lo, s38
	s_cbranch_execnz .LBB4_2886
; %bb.2082:                             ;   in Loop: Header=BB4_2046 Depth=3
	ds_load_b64 v[8:9], v0
	v_add_co_u32 v48, vcc_lo, v48, v113
	v_add_co_ci_u32_e32 v49, vcc_lo, 0, v49, vcc_lo
	s_mov_b32 s38, exec_lo
	s_waitcnt lgkmcnt(0)
	s_delay_alu instid0(VALU_DEP_1)
	v_cmpx_lt_u64_e64 v[8:9], v[48:49]
	s_cbranch_execz .LBB4_2093
; %bb.2083:                             ;   in Loop: Header=BB4_2046 Depth=3
	s_mov_b32 s39, 0
	s_mov_b32 s42, 0
                                        ; implicit-def: $sgpr40
                                        ; implicit-def: $sgpr41
	s_branch .LBB4_2085
.LBB4_2084:                             ;   in Loop: Header=BB4_2085 Depth=4
	s_or_b32 exec_lo, exec_lo, s44
	s_delay_alu instid0(SALU_CYCLE_1) | instskip(NEXT) | instid1(SALU_CYCLE_1)
	s_and_b32 vcc_lo, exec_lo, vcc_lo
	s_or_b32 s39, vcc_lo, s39
	s_and_not1_b32 vcc_lo, s40, exec_lo
	s_and_b32 s40, s41, exec_lo
	s_delay_alu instid0(SALU_CYCLE_1)
	s_or_b32 s40, vcc_lo, s40
	s_and_not1_b32 exec_lo, exec_lo, s39
	s_cbranch_execz .LBB4_2091
.LBB4_2085:                             ;   Parent Loop BB4_51 Depth=1
                                        ;     Parent Loop BB4_2044 Depth=2
                                        ;       Parent Loop BB4_2046 Depth=3
                                        ; =>      This Inner Loop Header: Depth=4
	s_add_i32 s42, s42, 1
                                        ; implicit-def: $sgpr44
	s_delay_alu instid0(SALU_CYCLE_1) | instskip(SKIP_1) | instid1(SALU_CYCLE_1)
	s_cmpk_lg_i32 s42, 0x2710
	s_cselect_b32 s43, -1, 0
	s_and_b32 vcc_lo, exec_lo, s43
	s_cbranch_vccz .LBB4_2089
.LBB4_2086:                             ;   in Loop: Header=BB4_2085 Depth=4
	s_and_not1_b32 s41, s41, exec_lo
	s_and_b32 s44, s44, exec_lo
	s_mov_b32 vcc_lo, -1
	s_or_b32 s41, s41, s44
	s_and_saveexec_b32 s44, s43
	s_cbranch_execz .LBB4_2084
; %bb.2087:                             ;   in Loop: Header=BB4_2085 Depth=4
	s_sleep 1
	s_cbranch_execnz .LBB4_2966
; %bb.2088:                             ;   in Loop: Header=BB4_2085 Depth=4
	ds_load_b64 v[8:9], v0
	s_and_not1_b32 s41, s41, exec_lo
	s_waitcnt lgkmcnt(0)
	v_cmp_ge_u64_e32 vcc_lo, v[8:9], v[48:49]
	s_or_not1_b32 vcc_lo, vcc_lo, exec_lo
	s_branch .LBB4_2084
.LBB4_2089:                             ;   in Loop: Header=BB4_2085 Depth=4
	s_cbranch_execnz .LBB4_2988
; %bb.2090:                             ;   in Loop: Header=BB4_2085 Depth=4
	ds_load_b64 v[8:9], v0
	s_and_not1_b32 s43, s43, exec_lo
	s_mov_b32 s42, 0
	s_mov_b32 s44, -1
	s_waitcnt lgkmcnt(0)
	flat_load_b32 v2, v[8:9] glc
	s_waitcnt vmcnt(0) lgkmcnt(0)
	buffer_gl1_inv
	buffer_gl0_inv
	v_cmp_eq_u32_e32 vcc_lo, 0, v2
	s_and_b32 vcc_lo, vcc_lo, exec_lo
	s_delay_alu instid0(SALU_CYCLE_1)
	s_or_b32 s43, s43, vcc_lo
	s_branch .LBB4_2086
.LBB4_2091:                             ;   in Loop: Header=BB4_2046 Depth=3
	s_or_b32 exec_lo, exec_lo, s39
	s_and_saveexec_b32 vcc_lo, s40
	s_delay_alu instid0(SALU_CYCLE_1)
	s_xor_b32 vcc_lo, exec_lo, vcc_lo
	s_cbranch_execz .LBB4_2093
; %bb.2092:                             ;   in Loop: Header=BB4_2046 Depth=3
	ds_store_b32 v0, v148
	s_cbranch_execnz .LBB4_3102
.LBB4_2093:                             ;   in Loop: Header=BB4_2046 Depth=3
	s_or_b32 exec_lo, exec_lo, s38
	;;#ASMSTART
	s_wakeup
	;;#ASMEND
.LBB4_2094:                             ;   in Loop: Header=BB4_2046 Depth=3
	s_or_b32 exec_lo, exec_lo, s15
.LBB4_2095:                             ;   in Loop: Header=BB4_2046 Depth=3
	s_and_not1_saveexec_b32 s14, s14
	s_cbranch_execz .LBB4_2097
; %bb.2096:                             ;   in Loop: Header=BB4_2046 Depth=3
	s_waitcnt lgkmcnt(0)
	s_waitcnt_vscnt null, 0x0
	buffer_gl1_inv
	buffer_gl0_inv
	s_barrier
.LBB4_2097:                             ;   in Loop: Header=BB4_2046 Depth=3
	s_or_b32 exec_lo, exec_lo, s14
.LBB4_2098:                             ;   in Loop: Header=BB4_2046 Depth=3
	s_delay_alu instid0(SALU_CYCLE_1)
	s_or_b32 exec_lo, exec_lo, s13
	s_cbranch_execnz .LBB4_2754
; %bb.2099:                             ;   in Loop: Header=BB4_2046 Depth=3
	ds_load_b32 v8, v0
	v_and_b32_e32 v2, 0x4000, v30
	s_xor_b32 s13, s2, -1
	s_delay_alu instid0(VALU_DEP_1) | instskip(SKIP_1) | instid1(SALU_CYCLE_1)
	v_cmp_ne_u32_e32 vcc_lo, 0, v2
	s_and_b32 s14, s13, vcc_lo
	s_and_saveexec_b32 s13, s14
	s_cbranch_execz .LBB4_2121
; %bb.2100:                             ;   in Loop: Header=BB4_2046 Depth=3
	s_and_saveexec_b32 s14, s4
	s_delay_alu instid0(SALU_CYCLE_1)
	s_xor_b32 s14, exec_lo, s14
	s_cbranch_execz .LBB4_2118
; %bb.2101:                             ;   in Loop: Header=BB4_2046 Depth=3
	s_and_saveexec_b32 s15, s1
	s_cbranch_execz .LBB4_2117
; %bb.2102:                             ;   in Loop: Header=BB4_2046 Depth=3
	s_mov_b32 s39, exec_lo
	s_mov_b32 s38, exec_lo
	v_mbcnt_lo_u32_b32 v2, s39, 0
	s_waitcnt lgkmcnt(0)
	s_waitcnt_vscnt null, 0x0
	buffer_gl1_inv
	buffer_gl0_inv
	v_cmpx_eq_u32_e32 0, v2
	s_cbranch_execz .LBB4_2104
; %bb.2103:                             ;   in Loop: Header=BB4_2046 Depth=3
	s_bcnt1_i32_b32 vcc_lo, s39
	s_delay_alu instid0(SALU_CYCLE_1)
	v_mov_b32_e32 v2, vcc_lo
	ds_add_u64 v0, v[2:3]
	s_cbranch_execnz .LBB4_2954
.LBB4_2104:                             ;   in Loop: Header=BB4_2046 Depth=3
	s_or_b32 exec_lo, exec_lo, s38
	s_cbranch_execnz .LBB4_2936
; %bb.2105:                             ;   in Loop: Header=BB4_2046 Depth=3
	ds_load_b64 v[9:10], v0
	v_add_co_u32 v48, vcc_lo, v48, v113
	v_add_co_ci_u32_e32 v49, vcc_lo, 0, v49, vcc_lo
	s_mov_b32 s38, exec_lo
	s_waitcnt lgkmcnt(0)
	s_delay_alu instid0(VALU_DEP_1)
	v_cmpx_lt_u64_e64 v[9:10], v[48:49]
	s_cbranch_execz .LBB4_2116
; %bb.2106:                             ;   in Loop: Header=BB4_2046 Depth=3
	s_mov_b32 s39, 0
	s_mov_b32 s42, 0
                                        ; implicit-def: $sgpr40
                                        ; implicit-def: $sgpr41
	s_branch .LBB4_2108
.LBB4_2107:                             ;   in Loop: Header=BB4_2108 Depth=4
	s_or_b32 exec_lo, exec_lo, s44
	s_delay_alu instid0(SALU_CYCLE_1) | instskip(NEXT) | instid1(SALU_CYCLE_1)
	s_and_b32 vcc_lo, exec_lo, vcc_lo
	s_or_b32 s39, vcc_lo, s39
	s_and_not1_b32 vcc_lo, s40, exec_lo
	s_and_b32 s40, s41, exec_lo
	s_delay_alu instid0(SALU_CYCLE_1)
	s_or_b32 s40, vcc_lo, s40
	s_and_not1_b32 exec_lo, exec_lo, s39
	s_cbranch_execz .LBB4_2114
.LBB4_2108:                             ;   Parent Loop BB4_51 Depth=1
                                        ;     Parent Loop BB4_2044 Depth=2
                                        ;       Parent Loop BB4_2046 Depth=3
                                        ; =>      This Inner Loop Header: Depth=4
	s_add_i32 s42, s42, 1
                                        ; implicit-def: $sgpr44
	s_delay_alu instid0(SALU_CYCLE_1) | instskip(SKIP_1) | instid1(SALU_CYCLE_1)
	s_cmpk_lg_i32 s42, 0x2710
	s_cselect_b32 s43, -1, 0
	s_and_b32 vcc_lo, exec_lo, s43
	s_cbranch_vccz .LBB4_2112
.LBB4_2109:                             ;   in Loop: Header=BB4_2108 Depth=4
	s_and_not1_b32 s41, s41, exec_lo
	s_and_b32 s44, s44, exec_lo
	s_mov_b32 vcc_lo, -1
	s_or_b32 s41, s41, s44
	s_and_saveexec_b32 s44, s43
	s_cbranch_execz .LBB4_2107
; %bb.2110:                             ;   in Loop: Header=BB4_2108 Depth=4
	s_sleep 1
	s_cbranch_execnz .LBB4_3024
; %bb.2111:                             ;   in Loop: Header=BB4_2108 Depth=4
	ds_load_b64 v[9:10], v0
	s_and_not1_b32 s41, s41, exec_lo
	s_waitcnt lgkmcnt(0)
	v_cmp_ge_u64_e32 vcc_lo, v[9:10], v[48:49]
	s_or_not1_b32 vcc_lo, vcc_lo, exec_lo
	s_branch .LBB4_2107
.LBB4_2112:                             ;   in Loop: Header=BB4_2108 Depth=4
	s_cbranch_execnz .LBB4_3032
; %bb.2113:                             ;   in Loop: Header=BB4_2108 Depth=4
	ds_load_b64 v[9:10], v0
	s_and_not1_b32 s43, s43, exec_lo
	s_mov_b32 s42, 0
	s_mov_b32 s44, -1
	s_waitcnt lgkmcnt(0)
	flat_load_b32 v2, v[9:10] glc
	s_waitcnt vmcnt(0) lgkmcnt(0)
	buffer_gl1_inv
	buffer_gl0_inv
	v_cmp_eq_u32_e32 vcc_lo, 0, v2
	s_and_b32 vcc_lo, vcc_lo, exec_lo
	s_delay_alu instid0(SALU_CYCLE_1)
	s_or_b32 s43, s43, vcc_lo
	s_branch .LBB4_2109
.LBB4_2114:                             ;   in Loop: Header=BB4_2046 Depth=3
	s_or_b32 exec_lo, exec_lo, s39
	s_and_saveexec_b32 vcc_lo, s40
	s_delay_alu instid0(SALU_CYCLE_1)
	s_xor_b32 vcc_lo, exec_lo, vcc_lo
	s_cbranch_execz .LBB4_2116
; %bb.2115:                             ;   in Loop: Header=BB4_2046 Depth=3
	ds_store_b32 v0, v148
	s_cbranch_execnz .LBB4_3118
.LBB4_2116:                             ;   in Loop: Header=BB4_2046 Depth=3
	s_or_b32 exec_lo, exec_lo, s38
	;;#ASMSTART
	s_wakeup
	;;#ASMEND
.LBB4_2117:                             ;   in Loop: Header=BB4_2046 Depth=3
	s_or_b32 exec_lo, exec_lo, s15
.LBB4_2118:                             ;   in Loop: Header=BB4_2046 Depth=3
	s_and_not1_saveexec_b32 s14, s14
	s_cbranch_execz .LBB4_2120
; %bb.2119:                             ;   in Loop: Header=BB4_2046 Depth=3
	s_waitcnt lgkmcnt(0)
	s_waitcnt_vscnt null, 0x0
	buffer_gl1_inv
	buffer_gl0_inv
	s_barrier
.LBB4_2120:                             ;   in Loop: Header=BB4_2046 Depth=3
	s_or_b32 exec_lo, exec_lo, s14
.LBB4_2121:                             ;   in Loop: Header=BB4_2046 Depth=3
	s_delay_alu instid0(SALU_CYCLE_1)
	s_or_b32 exec_lo, exec_lo, s13
	s_cbranch_execnz .LBB4_2812
; %bb.2122:                             ;   in Loop: Header=BB4_2046 Depth=3
	ds_load_b64 v[9:10], v0
	v_mov_b32_e32 v13, 0
	s_waitcnt lgkmcnt(0)
	v_cmp_eq_u64_e32 vcc_lo, 0, v[9:10]
	s_or_b32 s13, vcc_lo, vcc_lo
	s_delay_alu instid0(SALU_CYCLE_1)
	s_and_b32 vcc_lo, exec_lo, s13
	s_cbranch_vccnz .LBB4_2197
; %bb.2123:                             ;   in Loop: Header=BB4_2046 Depth=3
	v_cmp_eq_u32_e32 vcc_lo, 0, v8
	s_cbranch_execnz .LBB4_2878
; %bb.2124:                             ;   in Loop: Header=BB4_2046 Depth=3
	ds_load_b64 v[8:9], v0
	v_cndmask_b32_e32 v13, 0, v12, vcc_lo
	s_mov_b32 s13, -1
	s_delay_alu instid0(VALU_DEP_1)
	v_lshlrev_b32_e32 v2, 1, v13
	s_waitcnt lgkmcnt(0)
	v_cmp_ne_u64_e32 vcc_lo, 0, v[8:9]
	s_cbranch_vccz .LBB4_2162
; %bb.2125:                             ;   in Loop: Header=BB4_2046 Depth=3
	s_and_saveexec_b32 s14, s6
	s_cbranch_execz .LBB4_2127
; %bb.2126:                             ;   in Loop: Header=BB4_2046 Depth=3
	ds_load_b32 v8, v0 offset:720
	s_waitcnt lgkmcnt(0)
	v_and_b32_e32 v8, 15, v8
	s_delay_alu instid0(VALU_DEP_1)
	v_cmp_eq_u32_e32 vcc_lo, 0, v8
	s_or_not1_b32 s13, vcc_lo, exec_lo
.LBB4_2127:                             ;   in Loop: Header=BB4_2046 Depth=3
	s_or_b32 exec_lo, exec_lo, s14
	s_and_saveexec_b32 s14, s12
	s_cbranch_execz .LBB4_2129
; %bb.2128:                             ;   in Loop: Header=BB4_2046 Depth=3
	ds_load_b32 v8, v0 offset:784
	s_waitcnt lgkmcnt(0)
	v_and_b32_e32 v8, 15, v8
	s_delay_alu instid0(VALU_DEP_1) | instskip(SKIP_3) | instid1(SALU_CYCLE_1)
	v_cmp_eq_u32_e32 vcc_lo, 0, v8
	s_and_b32 s15, s13, vcc_lo
	s_and_not1_b32 s13, s13, exec_lo
	s_and_b32 s15, s15, exec_lo
	s_or_b32 s13, s13, s15
.LBB4_2129:                             ;   in Loop: Header=BB4_2046 Depth=3
	s_or_b32 exec_lo, exec_lo, s14
	s_xor_b32 s13, s13, -1
	v_dual_mov_b32 v15, 0 :: v_dual_mov_b32 v22, v0
	v_cndmask_b32_e64 v8, 0, 1, s13
	;;#ASMSTART
	;;#ASMEND
	s_delay_alu instid0(VALU_DEP_1)
	v_cmp_ne_u32_e32 vcc_lo, 0, v8
	v_dual_mov_b32 v21, v2 :: v_dual_mov_b32 v8, v103
	s_mov_b32 s13, -1
	s_cbranch_vccnz .LBB4_2147
; %bb.2130:                             ;   in Loop: Header=BB4_2046 Depth=3
	v_ashrrev_i32_e32 v8, 31, v2
	s_mov_b32 s14, exec_lo
	s_delay_alu instid0(VALU_DEP_1) | instskip(NEXT) | instid1(VALU_DEP_1)
	v_lshrrev_b32_e32 v8, 22, v8
	v_add_nc_u32_e32 v8, v2, v8
	s_delay_alu instid0(VALU_DEP_1) | instskip(NEXT) | instid1(VALU_DEP_1)
	v_ashrrev_i32_e32 v15, 10, v8
	v_sub_nc_u32_e32 v70, v15, v103
	s_delay_alu instid0(VALU_DEP_1)
	v_cmpx_lt_i32_e32 0, v70
	s_cbranch_execz .LBB4_2135
; %bb.2131:                             ;   in Loop: Header=BB4_2046 Depth=3
	s_cbranch_execnz .LBB4_3048
; %bb.2132:                             ;   in Loop: Header=BB4_2046 Depth=3
	ds_load_b64 v[8:9], v0
	ds_load_b128 v[80:83], v0
	s_mov_b32 s15, 0
	s_waitcnt lgkmcnt(1)
	v_add_co_u32 v8, vcc_lo, v8, v144
	v_add_co_ci_u32_e32 v9, vcc_lo, v9, v145, vcc_lo
	s_waitcnt lgkmcnt(0)
	v_add_co_u32 v10, vcc_lo, v80, v144
	v_add_co_ci_u32_e32 v11, vcc_lo, v81, v145, vcc_lo
	v_add_co_u32 v18, vcc_lo, v82, v144
	v_add_co_ci_u32_e32 v19, vcc_lo, v83, v145, vcc_lo
.LBB4_2133:                             ;   Parent Loop BB4_51 Depth=1
                                        ;     Parent Loop BB4_2044 Depth=2
                                        ;       Parent Loop BB4_2046 Depth=3
                                        ; =>      This Inner Loop Header: Depth=4
	s_clause 0x1
	global_load_b128 v[80:83], v[8:9], off slc dlc
	global_load_b128 v[84:87], v[8:9], off offset:512 slc dlc
	v_sub_nc_u32_e32 v70, v70, v113
	v_add_co_u32 v8, vcc_lo, v8, v146
	v_add_co_ci_u32_e32 v9, vcc_lo, v9, v147, vcc_lo
	s_delay_alu instid0(VALU_DEP_3)
	v_cmp_gt_i32_e32 vcc_lo, 1, v70
	s_waitcnt vmcnt(1)
	global_store_b128 v[10:11], v[80:83], off glc slc dlc
	s_waitcnt vmcnt(0)
	global_store_b128 v[10:11], v[84:87], off offset:512 glc slc dlc
	s_clause 0x1
	global_store_b128 v[18:19], v[80:83], off glc slc dlc
	global_store_b128 v[18:19], v[84:87], off offset:512 glc slc dlc
	v_add_co_u32 v10, s13, v10, v146
	s_delay_alu instid0(VALU_DEP_1) | instskip(SKIP_1) | instid1(VALU_DEP_1)
	v_add_co_ci_u32_e64 v11, s13, v11, v147, s13
	v_add_co_u32 v18, s13, v18, v146
	v_add_co_ci_u32_e64 v19, s13, v19, v147, s13
	s_or_b32 s15, vcc_lo, s15
	s_delay_alu instid0(SALU_CYCLE_1)
	s_and_not1_b32 exec_lo, exec_lo, s15
	s_cbranch_execnz .LBB4_2133
; %bb.2134:                             ;   in Loop: Header=BB4_2046 Depth=3
	s_or_b32 exec_lo, exec_lo, s15
.LBB4_2135:                             ;   in Loop: Header=BB4_2046 Depth=3
	s_delay_alu instid0(SALU_CYCLE_1) | instskip(SKIP_4) | instid1(VALU_DEP_2)
	s_or_b32 exec_lo, exec_lo, s14
	v_lshlrev_b32_e32 v23, 10, v15
	v_mov_b32_e32 v15, 0
	s_mov_b32 s13, 0
	s_mov_b32 s38, exec_lo
                                        ; implicit-def: $vgpr21
                                        ; implicit-def: $vgpr22
                                        ; implicit-def: $vgpr8
	v_cmpx_ne_u32_e64 v2, v23
	s_cbranch_execz .LBB4_2146
; %bb.2136:                             ;   in Loop: Header=BB4_2046 Depth=3
	v_lshlrev_b32_e32 v8, 5, v70
	v_sub_nc_u32_e32 v10, v2, v23
	s_mov_b32 s39, exec_lo
	s_delay_alu instid0(VALU_DEP_2) | instskip(NEXT) | instid1(VALU_DEP_2)
	v_sub_nc_u32_e32 v8, v112, v8
	v_ashrrev_i32_e32 v11, 31, v10
	s_delay_alu instid0(VALU_DEP_2) | instskip(NEXT) | instid1(VALU_DEP_2)
	v_ashrrev_i32_e32 v9, 31, v8
	v_lshrrev_b32_e32 v11, 23, v11
	s_delay_alu instid0(VALU_DEP_2) | instskip(NEXT) | instid1(VALU_DEP_2)
	v_lshrrev_b32_e32 v9, 27, v9
	v_add_nc_u32_e32 v11, v10, v11
	s_delay_alu instid0(VALU_DEP_2) | instskip(NEXT) | instid1(VALU_DEP_2)
	v_add_nc_u32_e32 v9, v8, v9
	v_and_b32_e32 v70, 0xfffffe00, v11
	v_ashrrev_i32_e32 v11, 9, v11
	s_delay_alu instid0(VALU_DEP_3) | instskip(NEXT) | instid1(VALU_DEP_3)
	v_and_b32_e32 v15, 0xffffffe0, v9
	v_sub_nc_u32_e32 v80, v10, v70
	v_ashrrev_i32_e32 v9, 5, v9
	s_delay_alu instid0(VALU_DEP_3) | instskip(NEXT) | instid1(VALU_DEP_3)
	v_sub_nc_u32_e32 v71, v8, v15
	v_cmp_lt_i32_e64 s13, 15, v80
	s_delay_alu instid0(VALU_DEP_2) | instskip(NEXT) | instid1(VALU_DEP_2)
	v_lshlrev_b32_e32 v8, 4, v71
	v_add_co_ci_u32_e64 v11, vcc_lo, 0, v11, s13
	s_delay_alu instid0(VALU_DEP_2) | instskip(NEXT) | instid1(VALU_DEP_2)
	v_lshl_add_u32 v8, v9, 9, v8
	v_sub_nc_u32_e32 v81, v11, v9
	s_delay_alu instid0(VALU_DEP_2) | instskip(NEXT) | instid1(VALU_DEP_1)
	v_sub_nc_u32_e32 v15, v10, v8
	v_cmpx_lt_i32_e32 15, v15
	s_cbranch_execz .LBB4_2143
; %bb.2137:                             ;   in Loop: Header=BB4_2046 Depth=3
	s_cbranch_execnz .LBB4_3086
; %bb.2138:                             ;   in Loop: Header=BB4_2046 Depth=3
	ds_load_b64 v[9:10], v0
	ds_load_b128 v[82:85], v0
	v_add_nc_u32_e32 v8, v8, v23
	s_mov_b32 s40, 0
	s_delay_alu instid0(VALU_DEP_1) | instskip(SKIP_2) | instid1(VALU_DEP_2)
	v_ashrrev_i32_e32 v11, 31, v8
	s_waitcnt lgkmcnt(1)
	v_add_co_u32 v18, vcc_lo, v9, v8
	v_add_co_ci_u32_e32 v19, vcc_lo, v10, v11, vcc_lo
	s_waitcnt lgkmcnt(0)
	v_add_co_u32 v21, vcc_lo, v82, v8
	v_add_co_ci_u32_e32 v22, vcc_lo, v83, v11, vcc_lo
	v_add_co_u32 v82, vcc_lo, v84, v8
	v_add_co_ci_u32_e32 v83, vcc_lo, v85, v11, vcc_lo
.LBB4_2139:                             ;   Parent Loop BB4_51 Depth=1
                                        ;     Parent Loop BB4_2044 Depth=2
                                        ;       Parent Loop BB4_2046 Depth=3
                                        ; =>      This Loop Header: Depth=4
                                        ;           Child Loop BB4_2140 Depth 5
	global_load_b128 v[8:11], v[18:19], off slc dlc
	s_mov_b64 s[14:15], 0
	s_mov_b32 s41, -1
.LBB4_2140:                             ;   Parent Loop BB4_51 Depth=1
                                        ;     Parent Loop BB4_2044 Depth=2
                                        ;       Parent Loop BB4_2046 Depth=3
                                        ;         Parent Loop BB4_2139 Depth=4
                                        ; =>        This Inner Loop Header: Depth=5
	s_cmp_eq_u32 s14, 0
	v_cndmask_b32_e64 v86, 0, 1, s41
	s_cselect_b32 vcc_lo, -1, 0
	s_cmp_eq_u32 s14, 1
	s_mov_b32 s41, 0
	s_cselect_b32 s14, -1, 0
	s_delay_alu instid0(SALU_CYCLE_1) | instskip(SKIP_1) | instid1(VALU_DEP_2)
	v_cndmask_b32_e64 v84, v21, v82, s14
	v_cndmask_b32_e64 v85, v22, v83, s14
	v_add_co_u32 v87, s15, 0x200, v84
	s_delay_alu instid0(VALU_DEP_1) | instskip(SKIP_1) | instid1(VALU_DEP_3)
	v_add_co_ci_u32_e64 v96, s15, 0, v85, s15
	v_cmp_ne_u32_e64 s15, 1, v86
	v_cndmask_b32_e64 v82, v82, v87, s14
	v_cndmask_b32_e32 v21, v21, v87, vcc_lo
	s_delay_alu instid0(VALU_DEP_4)
	v_cndmask_b32_e64 v83, v83, v96, s14
	v_cndmask_b32_e32 v22, v22, v96, vcc_lo
	s_and_b32 vcc_lo, exec_lo, s15
	s_mov_b64 s[14:15], 1
	s_waitcnt vmcnt(0)
	global_store_b128 v[84:85], v[8:11], off glc slc dlc
	s_cbranch_vccz .LBB4_2140
; %bb.2141:                             ;   in Loop: Header=BB4_2139 Depth=4
	v_add_co_u32 v21, vcc_lo, v21, v117
	v_sub_nc_u32_e32 v15, v15, v115
	v_add_co_ci_u32_e32 v22, vcc_lo, v22, v129, vcc_lo
	v_add_co_u32 v82, vcc_lo, v82, v117
	v_add_co_ci_u32_e32 v83, vcc_lo, v83, v129, vcc_lo
	s_delay_alu instid0(VALU_DEP_4) | instskip(SKIP_1) | instid1(VALU_DEP_1)
	v_cmp_gt_i32_e32 vcc_lo, 16, v15
	v_add_co_u32 v18, s14, v131, v18
	v_add_co_ci_u32_e64 v19, s14, v132, v19, s14
	v_sub_nc_u32_e32 v81, v81, v113
	s_or_b32 s40, vcc_lo, s40
	s_delay_alu instid0(SALU_CYCLE_1)
	s_and_not1_b32 exec_lo, exec_lo, s40
	s_cbranch_execnz .LBB4_2139
; %bb.2142:                             ;   in Loop: Header=BB4_2046 Depth=3
	s_or_b32 exec_lo, exec_lo, s40
.LBB4_2143:                             ;   in Loop: Header=BB4_2046 Depth=3
	s_delay_alu instid0(SALU_CYCLE_1) | instskip(SKIP_4) | instid1(VALU_DEP_2)
	s_or_b32 exec_lo, exec_lo, s39
	v_and_b32_e32 v9, 14, v2
	v_mov_b32_e32 v15, 0
	s_mov_b32 s14, 0
	s_mov_b32 s15, exec_lo
                                        ; implicit-def: $vgpr22
                                        ; implicit-def: $vgpr8
	v_cndmask_b32_e64 v21, v80, v9, s13
	s_delay_alu instid0(VALU_DEP_1)
	v_cmpx_ne_u32_e32 0, v21
	s_cbranch_execz .LBB4_2145
; %bb.2144:                             ;   in Loop: Header=BB4_2046 Depth=3
	v_cmp_lt_i32_e32 vcc_lo, 0, v81
	v_sub_nc_u32_e32 v9, v80, v9
	s_mov_b32 s14, exec_lo
	v_cndmask_b32_e32 v8, 0, v113, vcc_lo
	s_delay_alu instid0(VALU_DEP_2) | instskip(NEXT) | instid1(VALU_DEP_2)
	v_cndmask_b32_e64 v9, 0, v9, s13
	v_sub_nc_u32_e32 v8, v8, v81
	s_delay_alu instid0(VALU_DEP_2) | instskip(NEXT) | instid1(VALU_DEP_2)
	v_add3_u32 v15, v70, v23, v9
	v_lshl_add_u32 v22, v8, 5, v71
	s_delay_alu instid0(VALU_DEP_1) | instskip(NEXT) | instid1(VALU_DEP_1)
	v_ashrrev_i32_e32 v8, 31, v22
	v_lshrrev_b32_e32 v8, 27, v8
	s_delay_alu instid0(VALU_DEP_1) | instskip(NEXT) | instid1(VALU_DEP_1)
	v_add_nc_u32_e32 v8, v22, v8
	v_ashrrev_i32_e32 v8, 5, v8
.LBB4_2145:                             ;   in Loop: Header=BB4_2046 Depth=3
	s_or_b32 exec_lo, exec_lo, s15
	s_delay_alu instid0(SALU_CYCLE_1)
	s_and_b32 s13, s14, exec_lo
.LBB4_2146:                             ;   in Loop: Header=BB4_2046 Depth=3
	s_or_b32 exec_lo, exec_lo, s38
.LBB4_2147:                             ;   in Loop: Header=BB4_2046 Depth=3
	s_and_saveexec_b32 s38, s13
	s_cbranch_execz .LBB4_2161
; %bb.2148:                             ;   in Loop: Header=BB4_2046 Depth=3
	v_ashrrev_i32_e32 v9, 31, v21
	s_mov_b32 s14, exec_lo
	s_delay_alu instid0(VALU_DEP_1) | instskip(NEXT) | instid1(VALU_DEP_1)
	v_lshrrev_b32_e32 v9, 23, v9
	v_add_nc_u32_e32 v9, v21, v9
	s_delay_alu instid0(VALU_DEP_1) | instskip(NEXT) | instid1(VALU_DEP_1)
	v_ashrrev_i32_e32 v70, 9, v9
	v_sub_nc_u32_e32 v23, v70, v8
	s_delay_alu instid0(VALU_DEP_1)
	v_cmpx_lt_i32_e32 0, v23
	s_cbranch_execz .LBB4_2153
; %bb.2149:                             ;   in Loop: Header=BB4_2046 Depth=3
	s_cbranch_execnz .LBB4_3044
; %bb.2150:                             ;   in Loop: Header=BB4_2046 Depth=3
	v_ashrrev_i32_e32 v9, 31, v22
	v_lshlrev_b32_e32 v8, 9, v8
	s_mov_b32 s15, 0
	ds_load_b128 v[80:83], v0
	v_lshrrev_b32_e32 v9, 27, v9
	s_delay_alu instid0(VALU_DEP_1) | instskip(NEXT) | instid1(VALU_DEP_1)
	v_add_nc_u32_e32 v9, v22, v9
	v_and_b32_e32 v11, 0x7fffffe0, v9
	ds_load_b64 v[9:10], v0
	v_sub_nc_u32_e32 v11, v22, v11
	s_delay_alu instid0(VALU_DEP_1) | instskip(NEXT) | instid1(VALU_DEP_1)
	v_lshlrev_b32_e32 v11, 1, v11
	v_add3_u32 v18, v11, v15, v8
	s_delay_alu instid0(VALU_DEP_1)
	v_ashrrev_i32_e32 v19, 31, v18
	s_waitcnt lgkmcnt(0)
	v_add_co_u32 v71, vcc_lo, 0x1c0, v9
	v_add_co_ci_u32_e32 v84, vcc_lo, 0, v10, vcc_lo
	v_add_co_u32 v8, vcc_lo, v80, v18
	v_add_co_ci_u32_e32 v9, vcc_lo, v81, v19, vcc_lo
	;; [unrolled: 2-line block ×4, first 2 shown]
.LBB4_2151:                             ;   Parent Loop BB4_51 Depth=1
                                        ;     Parent Loop BB4_2044 Depth=2
                                        ;       Parent Loop BB4_2046 Depth=3
                                        ; =>      This Inner Loop Header: Depth=4
	s_delay_alu instid0(VALU_DEP_2) | instskip(NEXT) | instid1(VALU_DEP_2)
	v_add_co_u32 v80, vcc_lo, 0xfffffe40, v18
	v_add_co_ci_u32_e32 v81, vcc_lo, -1, v19, vcc_lo
	v_add_co_u32 v82, vcc_lo, 0xfffffe80, v18
	v_add_co_ci_u32_e32 v83, vcc_lo, -1, v19, vcc_lo
	;; [unrolled: 2-line block ×7, first 2 shown]
	flat_load_u16 v71, v[18:19] slc dlc
	flat_load_u16 v80, v[80:81] slc dlc
	;; [unrolled: 1-line block ×8, first 2 shown]
	v_sub_nc_u32_e32 v23, v23, v113
	v_add_co_u32 v18, vcc_lo, v18, v131
	v_add_co_ci_u32_e32 v19, vcc_lo, v19, v132, vcc_lo
	s_delay_alu instid0(VALU_DEP_3)
	v_cmp_gt_i32_e32 vcc_lo, 1, v23
	s_waitcnt vmcnt(6) lgkmcnt(6)
	flat_store_b16 v[8:9], v80 glc slc dlc
	s_waitcnt vmcnt(5) lgkmcnt(6)
	flat_store_b16 v[8:9], v81 offset:64 glc slc dlc
	s_waitcnt vmcnt(4) lgkmcnt(6)
	flat_store_b16 v[8:9], v82 offset:128 glc slc dlc
	;; [unrolled: 2-line block ×5, first 2 shown]
	s_waitcnt vmcnt(0) lgkmcnt(6)
	s_clause 0x1
	flat_store_b16 v[8:9], v86 offset:384 glc slc dlc
	flat_store_b16 v[8:9], v71 offset:448 glc slc dlc
	s_clause 0x7
	flat_store_b16 v[10:11], v80 glc slc dlc
	flat_store_b16 v[10:11], v81 offset:64 glc slc dlc
	flat_store_b16 v[10:11], v82 offset:128 glc slc dlc
	;; [unrolled: 1-line block ×7, first 2 shown]
	v_add_co_u32 v8, s13, v8, v131
	s_delay_alu instid0(VALU_DEP_1) | instskip(SKIP_1) | instid1(VALU_DEP_1)
	v_add_co_ci_u32_e64 v9, s13, v9, v132, s13
	v_add_co_u32 v10, s13, v10, v131
	v_add_co_ci_u32_e64 v11, s13, v11, v132, s13
	s_or_b32 s15, vcc_lo, s15
	s_delay_alu instid0(SALU_CYCLE_1)
	s_and_not1_b32 exec_lo, exec_lo, s15
	s_cbranch_execnz .LBB4_2151
; %bb.2152:                             ;   in Loop: Header=BB4_2046 Depth=3
	s_or_b32 exec_lo, exec_lo, s15
.LBB4_2153:                             ;   in Loop: Header=BB4_2046 Depth=3
	s_delay_alu instid0(SALU_CYCLE_1) | instskip(SKIP_2) | instid1(VALU_DEP_1)
	s_or_b32 exec_lo, exec_lo, s14
	v_lshlrev_b32_e32 v8, 9, v70
	s_mov_b32 s39, exec_lo
	v_cmpx_ne_u32_e64 v21, v8
	s_cbranch_execz .LBB4_2160
; %bb.2154:                             ;   in Loop: Header=BB4_2046 Depth=3
	v_ashrrev_i32_e32 v9, 31, v22
	v_lshlrev_b32_e32 v10, 5, v23
	s_delay_alu instid0(VALU_DEP_2) | instskip(NEXT) | instid1(VALU_DEP_1)
	v_lshrrev_b32_e32 v9, 27, v9
	v_add_nc_u32_e32 v9, v22, v9
	s_delay_alu instid0(VALU_DEP_1) | instskip(NEXT) | instid1(VALU_DEP_1)
	v_and_b32_e32 v9, 0xffffffe0, v9
	v_sub_nc_u32_e32 v9, v22, v9
	s_delay_alu instid0(VALU_DEP_1) | instskip(NEXT) | instid1(VALU_DEP_1)
	v_sub_nc_u32_e32 v9, v9, v10
	v_ashrrev_i32_e32 v10, 31, v9
	s_delay_alu instid0(VALU_DEP_1) | instskip(NEXT) | instid1(VALU_DEP_1)
	v_lshrrev_b32_e32 v10, 27, v10
	v_add_nc_u32_e32 v10, v9, v10
	s_delay_alu instid0(VALU_DEP_1) | instskip(SKIP_1) | instid1(VALU_DEP_2)
	v_and_b32_e32 v11, 0x7fffffe0, v10
	v_lshlrev_b32_e32 v10, 1, v10
	v_sub_nc_u32_e32 v9, v9, v11
	s_delay_alu instid0(VALU_DEP_2) | instskip(NEXT) | instid1(VALU_DEP_2)
	v_and_b32_e32 v10, 0xffffffc0, v10
	v_lshlrev_b32_e32 v9, 1, v9
	s_delay_alu instid0(VALU_DEP_1) | instskip(NEXT) | instid1(VALU_DEP_1)
	v_add3_u32 v8, v10, v9, v8
	v_sub_nc_u32_e32 v10, v21, v8
	s_delay_alu instid0(VALU_DEP_1)
	v_cmp_lt_i32_e32 vcc_lo, 1, v10
	s_and_b32 exec_lo, exec_lo, vcc_lo
	s_cbranch_execz .LBB4_2160
; %bb.2155:                             ;   in Loop: Header=BB4_2046 Depth=3
	s_cbranch_execnz .LBB4_3080
; %bb.2156:                             ;   in Loop: Header=BB4_2046 Depth=3
	ds_load_b64 v[18:19], v0
	ds_load_b128 v[80:83], v0
	v_add_nc_u32_e32 v21, v8, v15
	s_mov_b32 s40, 0
	s_delay_alu instid0(VALU_DEP_1) | instskip(SKIP_2) | instid1(VALU_DEP_2)
	v_ashrrev_i32_e32 v22, 31, v21
	s_waitcnt lgkmcnt(1)
	v_add_co_u32 v8, vcc_lo, v18, v21
	v_add_co_ci_u32_e32 v9, vcc_lo, v19, v22, vcc_lo
	s_waitcnt lgkmcnt(0)
	v_add_co_u32 v11, vcc_lo, v80, v21
	v_add_co_ci_u32_e32 v15, vcc_lo, v81, v22, vcc_lo
	v_add_co_u32 v18, vcc_lo, v82, v21
	v_add_co_ci_u32_e32 v19, vcc_lo, v83, v22, vcc_lo
	s_set_inst_prefetch_distance 0x1
.LBB4_2157:                             ;   Parent Loop BB4_51 Depth=1
                                        ;     Parent Loop BB4_2044 Depth=2
                                        ;       Parent Loop BB4_2046 Depth=3
                                        ; =>      This Loop Header: Depth=4
                                        ;           Child Loop BB4_2158 Depth 5
	flat_load_u16 v21, v[8:9] slc dlc
	s_mov_b64 s[14:15], 0
	s_mov_b32 s13, -1
.LBB4_2158:                             ;   Parent Loop BB4_51 Depth=1
                                        ;     Parent Loop BB4_2044 Depth=2
                                        ;       Parent Loop BB4_2046 Depth=3
                                        ;         Parent Loop BB4_2157 Depth=4
                                        ; =>        This Inner Loop Header: Depth=5
	s_cmp_eq_u32 s14, 0
	v_cndmask_b32_e64 v70, 0, 1, s13
	s_cselect_b32 vcc_lo, -1, 0
	s_cmp_eq_u32 s14, 1
	s_cselect_b32 s13, -1, 0
	s_delay_alu instid0(SALU_CYCLE_1) | instskip(SKIP_1) | instid1(VALU_DEP_2)
	v_cndmask_b32_e64 v22, v11, v18, s13
	v_cndmask_b32_e64 v23, v15, v19, s13
	v_add_co_u32 v71, s14, v22, 64
	s_delay_alu instid0(VALU_DEP_1) | instskip(SKIP_1) | instid1(VALU_DEP_3)
	v_add_co_ci_u32_e64 v80, s14, 0, v23, s14
	v_cmp_ne_u32_e64 s14, 1, v70
	v_cndmask_b32_e64 v18, v18, v71, s13
	v_cndmask_b32_e32 v11, v11, v71, vcc_lo
	s_delay_alu instid0(VALU_DEP_4)
	v_cndmask_b32_e64 v19, v19, v80, s13
	v_cndmask_b32_e32 v15, v15, v80, vcc_lo
	s_mov_b32 s13, 0
	s_and_b32 vcc_lo, exec_lo, s14
	s_mov_b64 s[14:15], 1
	s_waitcnt vmcnt(0) lgkmcnt(0)
	flat_store_b16 v[22:23], v21 glc slc dlc
	s_cbranch_vccz .LBB4_2158
; %bb.2159:                             ;   in Loop: Header=BB4_2157 Depth=4
	v_add_co_u32 v11, vcc_lo, v11, v130
	v_sub_nc_u32_e32 v10, v10, v118
	v_add_co_ci_u32_e32 v15, vcc_lo, v15, v133, vcc_lo
	v_add_co_u32 v18, vcc_lo, v18, v130
	v_add_co_ci_u32_e32 v19, vcc_lo, v19, v133, vcc_lo
	s_delay_alu instid0(VALU_DEP_4) | instskip(SKIP_1) | instid1(VALU_DEP_1)
	v_cmp_gt_i32_e32 vcc_lo, 2, v10
	v_add_co_u32 v8, s13, v134, v8
	v_add_co_ci_u32_e64 v9, s13, v135, v9, s13
	s_or_b32 s40, vcc_lo, s40
	s_delay_alu instid0(SALU_CYCLE_1)
	s_and_not1_b32 exec_lo, exec_lo, s40
	s_cbranch_execnz .LBB4_2157
.LBB4_2160:                             ;   in Loop: Header=BB4_2046 Depth=3
	s_set_inst_prefetch_distance 0x2
	s_or_b32 exec_lo, exec_lo, s39
.LBB4_2161:                             ;   in Loop: Header=BB4_2046 Depth=3
	s_delay_alu instid0(SALU_CYCLE_1)
	s_or_b32 exec_lo, exec_lo, s38
	s_mov_b32 s13, 0
.LBB4_2162:                             ;   in Loop: Header=BB4_2046 Depth=3
	s_delay_alu instid0(SALU_CYCLE_1)
	s_and_b32 vcc_lo, exec_lo, s13
	s_cbranch_vccz .LBB4_2197
; %bb.2163:                             ;   in Loop: Header=BB4_2046 Depth=3
	s_mov_b32 s13, -1
	s_and_saveexec_b32 s14, s6
	s_cbranch_execz .LBB4_2165
; %bb.2164:                             ;   in Loop: Header=BB4_2046 Depth=3
	ds_load_b32 v8, v0 offset:720
	s_waitcnt lgkmcnt(0)
	v_and_b32_e32 v8, 15, v8
	s_delay_alu instid0(VALU_DEP_1)
	v_cmp_eq_u32_e32 vcc_lo, 0, v8
	s_or_not1_b32 s13, vcc_lo, exec_lo
.LBB4_2165:                             ;   in Loop: Header=BB4_2046 Depth=3
	s_or_b32 exec_lo, exec_lo, s14
	s_and_saveexec_b32 s14, s5
	s_cbranch_execz .LBB4_2167
; %bb.2166:                             ;   in Loop: Header=BB4_2046 Depth=3
	ds_load_b32 v8, v0 offset:784
	s_waitcnt lgkmcnt(0)
	v_and_b32_e32 v8, 15, v8
	s_delay_alu instid0(VALU_DEP_1) | instskip(SKIP_3) | instid1(SALU_CYCLE_1)
	v_cmp_eq_u32_e32 vcc_lo, 0, v8
	s_and_b32 s15, s13, vcc_lo
	s_and_not1_b32 s13, s13, exec_lo
	s_and_b32 s15, s15, exec_lo
	s_or_b32 s13, s13, s15
.LBB4_2167:                             ;   in Loop: Header=BB4_2046 Depth=3
	s_or_b32 exec_lo, exec_lo, s14
	s_xor_b32 s13, s13, -1
	v_mov_b32_e32 v15, 0
	v_cndmask_b32_e64 v8, 0, 1, s13
	;;#ASMSTART
	;;#ASMEND
	s_delay_alu instid0(VALU_DEP_1)
	v_cmp_ne_u32_e32 vcc_lo, 0, v8
	s_mov_b32 s13, -1
	s_cbranch_vccz .LBB4_2169
; %bb.2168:                             ;   in Loop: Header=BB4_2046 Depth=3
	v_mov_b32_e32 v18, v0
	v_mov_b32_e32 v22, v103
	s_branch .LBB4_2184
.LBB4_2169:                             ;   in Loop: Header=BB4_2046 Depth=3
	v_ashrrev_i32_e32 v8, 31, v2
	s_mov_b32 s14, exec_lo
	s_delay_alu instid0(VALU_DEP_1) | instskip(NEXT) | instid1(VALU_DEP_1)
	v_lshrrev_b32_e32 v8, 21, v8
	v_add_nc_u32_e32 v8, v2, v8
	s_delay_alu instid0(VALU_DEP_1) | instskip(NEXT) | instid1(VALU_DEP_1)
	v_ashrrev_i32_e32 v15, 11, v8
	v_sub_nc_u32_e32 v19, v15, v103
	s_delay_alu instid0(VALU_DEP_1)
	v_cmpx_lt_i32_e32 0, v19
	s_cbranch_execz .LBB4_2174
; %bb.2170:                             ;   in Loop: Header=BB4_2046 Depth=3
	s_cbranch_execnz .LBB4_3064
; %bb.2171:                             ;   in Loop: Header=BB4_2046 Depth=3
	ds_load_b64 v[8:9], v0
	s_mov_b32 s15, 0
	s_waitcnt lgkmcnt(0)
	v_dual_mov_b32 v11, v9 :: v_dual_mov_b32 v10, v8
	s_set_inst_prefetch_distance 0x1
.LBB4_2172:                             ;   Parent Loop BB4_51 Depth=1
                                        ;     Parent Loop BB4_2044 Depth=2
                                        ;       Parent Loop BB4_2046 Depth=3
                                        ; =>      This Inner Loop Header: Depth=4
	s_delay_alu instid0(VALU_DEP_1) | instskip(NEXT) | instid1(VALU_DEP_2)
	v_add_co_u32 v21, vcc_lo, v114, v10
	v_add_co_ci_u32_e32 v22, vcc_lo, v116, v11, vcc_lo
	v_sub_nc_u32_e32 v19, v19, v113
	s_clause 0x3
	global_load_b128 v[80:83], v[21:22], off slc dlc
	global_load_b128 v[84:87], v[21:22], off offset:512 slc dlc
	global_load_b128 v[96:99], v[21:22], off offset:1024 slc dlc
	;; [unrolled: 1-line block ×3, first 2 shown]
	v_add_co_u32 v21, vcc_lo, v114, v8
	v_add_co_ci_u32_e32 v22, vcc_lo, v116, v9, vcc_lo
	v_add_co_u32 v10, vcc_lo, v10, v119
	v_add_co_ci_u32_e32 v11, vcc_lo, v11, v128, vcc_lo
	v_add_co_u32 v8, vcc_lo, v8, v119
	v_cmp_gt_i32_e64 s13, 1, v19
	v_add_co_ci_u32_e32 v9, vcc_lo, v9, v128, vcc_lo
	s_waitcnt vmcnt(3)
	global_store_b128 v[21:22], v[80:83], off glc slc dlc
	s_waitcnt vmcnt(2)
	global_store_b128 v[21:22], v[84:87], off offset:512 glc slc dlc
	s_waitcnt vmcnt(1)
	global_store_b128 v[21:22], v[96:99], off offset:1024 glc slc dlc
	;; [unrolled: 2-line block ×3, first 2 shown]
	s_or_b32 s15, s13, s15
	s_delay_alu instid0(SALU_CYCLE_1)
	s_and_not1_b32 exec_lo, exec_lo, s15
	s_cbranch_execnz .LBB4_2172
; %bb.2173:                             ;   in Loop: Header=BB4_2046 Depth=3
	s_set_inst_prefetch_distance 0x2
	s_or_b32 exec_lo, exec_lo, s15
.LBB4_2174:                             ;   in Loop: Header=BB4_2046 Depth=3
	s_delay_alu instid0(SALU_CYCLE_1) | instskip(SKIP_3) | instid1(VALU_DEP_1)
	s_or_b32 exec_lo, exec_lo, s14
	v_dual_mov_b32 v15, 0 :: v_dual_lshlrev_b32 v10, 11, v15
	s_mov_b32 s13, 0
	s_mov_b32 s15, exec_lo
                                        ; implicit-def: $vgpr18
                                        ; implicit-def: $vgpr22
	v_cmpx_ne_u32_e64 v2, v10
	s_cbranch_execz .LBB4_2183
; %bb.2175:                             ;   in Loop: Header=BB4_2046 Depth=3
	v_lshlrev_b32_e32 v8, 5, v19
	v_sub_nc_u32_e32 v15, v2, v10
	s_mov_b32 s38, exec_lo
	s_delay_alu instid0(VALU_DEP_2) | instskip(NEXT) | instid1(VALU_DEP_2)
	v_sub_nc_u32_e32 v8, v112, v8
	v_ashrrev_i32_e32 v11, 31, v15
	s_delay_alu instid0(VALU_DEP_2) | instskip(NEXT) | instid1(VALU_DEP_2)
	v_ashrrev_i32_e32 v9, 31, v8
	v_lshrrev_b32_e32 v11, 23, v11
	s_delay_alu instid0(VALU_DEP_2) | instskip(NEXT) | instid1(VALU_DEP_2)
	v_lshrrev_b32_e32 v9, 27, v9
	v_add_nc_u32_e32 v22, v15, v11
	s_delay_alu instid0(VALU_DEP_2) | instskip(NEXT) | instid1(VALU_DEP_2)
	v_add_nc_u32_e32 v9, v8, v9
	v_and_b32_e32 v11, 0xfffffe00, v22
	v_ashrrev_i32_e32 v22, 9, v22
	s_delay_alu instid0(VALU_DEP_3) | instskip(NEXT) | instid1(VALU_DEP_3)
	v_and_b32_e32 v18, 0xffffffe0, v9
	v_sub_nc_u32_e32 v21, v15, v11
	s_delay_alu instid0(VALU_DEP_2) | instskip(SKIP_1) | instid1(VALU_DEP_3)
	v_sub_nc_u32_e32 v19, v8, v18
	v_ashrrev_i32_e32 v8, 5, v9
	v_cmp_lt_i32_e32 vcc_lo, 15, v21
	s_delay_alu instid0(VALU_DEP_3) | instskip(NEXT) | instid1(VALU_DEP_1)
	v_lshlrev_b32_e32 v9, 4, v19
	v_lshl_add_u32 v18, v8, 9, v9
	v_add_co_ci_u32_e64 v9, s13, 0, v22, vcc_lo
	s_delay_alu instid0(VALU_DEP_2) | instskip(NEXT) | instid1(VALU_DEP_2)
	v_sub_nc_u32_e32 v15, v15, v18
	v_sub_nc_u32_e32 v23, v9, v8
	s_delay_alu instid0(VALU_DEP_2)
	v_cmpx_lt_i32_e32 15, v15
	s_cbranch_execz .LBB4_2180
; %bb.2176:                             ;   in Loop: Header=BB4_2046 Depth=3
	s_cbranch_execnz .LBB4_3094
; %bb.2177:                             ;   in Loop: Header=BB4_2046 Depth=3
	ds_load_b64 v[8:9], v0
	v_add_nc_u32_e32 v18, v18, v10
	s_mov_b32 s39, 0
	s_delay_alu instid0(VALU_DEP_1)
	v_ashrrev_i32_e32 v22, 31, v18
.LBB4_2178:                             ;   Parent Loop BB4_51 Depth=1
                                        ;     Parent Loop BB4_2044 Depth=2
                                        ;       Parent Loop BB4_2046 Depth=3
                                        ; =>      This Inner Loop Header: Depth=4
	s_waitcnt lgkmcnt(0)
	v_add_co_u32 v70, s13, v8, v18
	s_delay_alu instid0(VALU_DEP_1)
	v_add_co_ci_u32_e64 v71, s13, v9, v22, s13
	v_sub_nc_u32_e32 v15, v15, v115
	v_add_co_u32 v18, s14, v18, v131
	global_load_b128 v[80:83], v[70:71], off slc dlc
	v_sub_nc_u32_e32 v23, v23, v113
	v_cmp_gt_i32_e64 s13, 16, v15
	v_add_co_ci_u32_e64 v22, s14, v22, v132, s14
	s_delay_alu instid0(VALU_DEP_2)
	s_or_b32 s39, s13, s39
	s_waitcnt vmcnt(0)
	global_store_b128 v[70:71], v[80:83], off glc slc dlc
	s_and_not1_b32 exec_lo, exec_lo, s39
	s_cbranch_execnz .LBB4_2178
; %bb.2179:                             ;   in Loop: Header=BB4_2046 Depth=3
	s_or_b32 exec_lo, exec_lo, s39
.LBB4_2180:                             ;   in Loop: Header=BB4_2046 Depth=3
	s_delay_alu instid0(SALU_CYCLE_1) | instskip(SKIP_3) | instid1(VALU_DEP_1)
	s_or_b32 exec_lo, exec_lo, s38
	v_dual_mov_b32 v15, 0 :: v_dual_and_b32 v8, 14, v2
	s_mov_b32 s14, 0
	s_mov_b32 s38, exec_lo
                                        ; implicit-def: $vgpr18
                                        ; implicit-def: $vgpr22
	v_cndmask_b32_e32 v2, v21, v8, vcc_lo
	s_delay_alu instid0(VALU_DEP_1)
	v_cmpx_ne_u32_e32 0, v2
; %bb.2181:                             ;   in Loop: Header=BB4_2046 Depth=3
	v_cmp_lt_i32_e64 s13, 0, v23
	v_sub_nc_u32_e32 v8, v21, v8
	s_mov_b32 s14, exec_lo
	s_delay_alu instid0(VALU_DEP_2) | instskip(NEXT) | instid1(VALU_DEP_1)
	v_cndmask_b32_e64 v9, 0, v113, s13
	v_sub_nc_u32_e32 v9, v9, v23
	s_delay_alu instid0(VALU_DEP_1) | instskip(NEXT) | instid1(VALU_DEP_1)
	v_lshl_add_u32 v18, v9, 5, v19
	v_ashrrev_i32_e32 v9, 31, v18
	s_delay_alu instid0(VALU_DEP_1) | instskip(NEXT) | instid1(VALU_DEP_1)
	v_lshrrev_b32_e32 v9, 27, v9
	v_dual_cndmask_b32 v8, 0, v8 :: v_dual_add_nc_u32 v9, v18, v9
	s_delay_alu instid0(VALU_DEP_1) | instskip(NEXT) | instid1(VALU_DEP_2)
	v_add3_u32 v15, v11, v10, v8
	v_ashrrev_i32_e32 v22, 5, v9
; %bb.2182:                             ;   in Loop: Header=BB4_2046 Depth=3
	s_or_b32 exec_lo, exec_lo, s38
	s_delay_alu instid0(SALU_CYCLE_1)
	s_and_b32 s13, s14, exec_lo
.LBB4_2183:                             ;   in Loop: Header=BB4_2046 Depth=3
	s_or_b32 exec_lo, exec_lo, s15
.LBB4_2184:                             ;   in Loop: Header=BB4_2046 Depth=3
	s_and_saveexec_b32 s14, s13
	s_cbranch_execz .LBB4_2196
; %bb.2185:                             ;   in Loop: Header=BB4_2046 Depth=3
	v_ashrrev_i32_e32 v8, 31, v2
	s_mov_b32 s13, exec_lo
	s_delay_alu instid0(VALU_DEP_1) | instskip(NEXT) | instid1(VALU_DEP_1)
	v_lshrrev_b32_e32 v8, 23, v8
	v_add_nc_u32_e32 v8, v2, v8
	s_delay_alu instid0(VALU_DEP_1) | instskip(NEXT) | instid1(VALU_DEP_1)
	v_ashrrev_i32_e32 v21, 9, v8
	v_sub_nc_u32_e32 v19, v21, v22
	s_delay_alu instid0(VALU_DEP_1)
	v_cmpx_lt_i32_e32 0, v19
	s_cbranch_execz .LBB4_2190
; %bb.2186:                             ;   in Loop: Header=BB4_2046 Depth=3
	s_cbranch_execnz .LBB4_3052
; %bb.2187:                             ;   in Loop: Header=BB4_2046 Depth=3
	v_ashrrev_i32_e32 v8, 31, v18
	s_mov_b32 s15, 0
	s_delay_alu instid0(VALU_DEP_1) | instskip(NEXT) | instid1(VALU_DEP_1)
	v_lshrrev_b32_e32 v8, 27, v8
	v_add_nc_u32_e32 v8, v18, v8
	s_delay_alu instid0(VALU_DEP_1) | instskip(SKIP_3) | instid1(VALU_DEP_1)
	v_and_b32_e32 v10, 0x7fffffe0, v8
	ds_load_b64 v[8:9], v0
	v_lshlrev_b32_e32 v11, 9, v22
	v_sub_nc_u32_e32 v10, v18, v10
	v_lshlrev_b32_e32 v10, 1, v10
	s_delay_alu instid0(VALU_DEP_1) | instskip(NEXT) | instid1(VALU_DEP_1)
	v_add3_u32 v22, v10, v15, v11
	v_ashrrev_i32_e32 v23, 31, v22
	s_waitcnt lgkmcnt(0)
	v_dual_mov_b32 v11, v9 :: v_dual_mov_b32 v10, v8
.LBB4_2188:                             ;   Parent Loop BB4_51 Depth=1
                                        ;     Parent Loop BB4_2044 Depth=2
                                        ;       Parent Loop BB4_2046 Depth=3
                                        ; =>      This Inner Loop Header: Depth=4
	s_delay_alu instid0(VALU_DEP_1) | instskip(NEXT) | instid1(VALU_DEP_2)
	v_add_co_u32 v70, vcc_lo, v22, v10
	v_add_co_ci_u32_e32 v71, vcc_lo, v23, v11, vcc_lo
	v_sub_nc_u32_e32 v19, v19, v113
	s_clause 0x7
	flat_load_u16 v80, v[70:71] slc dlc
	flat_load_u16 v81, v[70:71] offset:64 slc dlc
	flat_load_u16 v82, v[70:71] offset:128 slc dlc
	;; [unrolled: 1-line block ×7, first 2 shown]
	v_add_co_u32 v70, vcc_lo, v22, v8
	v_add_co_ci_u32_e32 v71, vcc_lo, v23, v9, vcc_lo
	v_add_co_u32 v10, vcc_lo, v10, v131
	v_add_co_ci_u32_e32 v11, vcc_lo, v11, v132, vcc_lo
	;; [unrolled: 2-line block ×3, first 2 shown]
	v_cmp_gt_i32_e32 vcc_lo, 1, v19
	s_waitcnt vmcnt(7) lgkmcnt(7)
	flat_store_b16 v[70:71], v80 glc slc dlc
	s_waitcnt vmcnt(6) lgkmcnt(7)
	flat_store_b16 v[70:71], v81 offset:64 glc slc dlc
	s_waitcnt vmcnt(5) lgkmcnt(7)
	flat_store_b16 v[70:71], v82 offset:128 glc slc dlc
	;; [unrolled: 2-line block ×7, first 2 shown]
	s_or_b32 s15, vcc_lo, s15
	s_delay_alu instid0(SALU_CYCLE_1)
	s_and_not1_b32 exec_lo, exec_lo, s15
	s_cbranch_execnz .LBB4_2188
; %bb.2189:                             ;   in Loop: Header=BB4_2046 Depth=3
	s_or_b32 exec_lo, exec_lo, s15
.LBB4_2190:                             ;   in Loop: Header=BB4_2046 Depth=3
	s_delay_alu instid0(SALU_CYCLE_1) | instskip(SKIP_2) | instid1(VALU_DEP_1)
	s_or_b32 exec_lo, exec_lo, s13
	v_lshlrev_b32_e32 v8, 9, v21
	s_mov_b32 s15, exec_lo
	v_cmpx_ne_u32_e64 v2, v8
	s_cbranch_execz .LBB4_2195
; %bb.2191:                             ;   in Loop: Header=BB4_2046 Depth=3
	v_ashrrev_i32_e32 v9, 31, v18
	v_lshlrev_b32_e32 v10, 5, v19
	s_delay_alu instid0(VALU_DEP_2) | instskip(NEXT) | instid1(VALU_DEP_1)
	v_lshrrev_b32_e32 v9, 27, v9
	v_add_nc_u32_e32 v9, v18, v9
	s_delay_alu instid0(VALU_DEP_1) | instskip(NEXT) | instid1(VALU_DEP_1)
	v_and_b32_e32 v9, 0xffffffe0, v9
	v_sub_nc_u32_e32 v9, v18, v9
	s_delay_alu instid0(VALU_DEP_1) | instskip(NEXT) | instid1(VALU_DEP_1)
	v_sub_nc_u32_e32 v9, v9, v10
	v_ashrrev_i32_e32 v10, 31, v9
	s_delay_alu instid0(VALU_DEP_1) | instskip(NEXT) | instid1(VALU_DEP_1)
	v_lshrrev_b32_e32 v10, 27, v10
	v_add_nc_u32_e32 v10, v9, v10
	s_delay_alu instid0(VALU_DEP_1) | instskip(SKIP_1) | instid1(VALU_DEP_2)
	v_and_b32_e32 v11, 0x7fffffe0, v10
	v_lshlrev_b32_e32 v10, 1, v10
	v_sub_nc_u32_e32 v9, v9, v11
	s_delay_alu instid0(VALU_DEP_2) | instskip(NEXT) | instid1(VALU_DEP_2)
	v_and_b32_e32 v10, 0xffffffc0, v10
	v_lshlrev_b32_e32 v9, 1, v9
	s_delay_alu instid0(VALU_DEP_1) | instskip(NEXT) | instid1(VALU_DEP_1)
	v_add3_u32 v10, v10, v9, v8
	v_sub_nc_u32_e32 v2, v2, v10
	s_delay_alu instid0(VALU_DEP_1)
	v_cmp_lt_i32_e32 vcc_lo, 1, v2
	s_and_b32 exec_lo, exec_lo, vcc_lo
	s_cbranch_execz .LBB4_2195
; %bb.2192:                             ;   in Loop: Header=BB4_2046 Depth=3
	s_cbranch_execnz .LBB4_3090
; %bb.2193:                             ;   in Loop: Header=BB4_2046 Depth=3
	ds_load_b64 v[8:9], v0
	v_add_nc_u32_e32 v10, v10, v15
	s_mov_b32 s38, 0
	s_delay_alu instid0(VALU_DEP_1)
	v_ashrrev_i32_e32 v11, 31, v10
.LBB4_2194:                             ;   Parent Loop BB4_51 Depth=1
                                        ;     Parent Loop BB4_2044 Depth=2
                                        ;       Parent Loop BB4_2046 Depth=3
                                        ; =>      This Inner Loop Header: Depth=4
	s_waitcnt lgkmcnt(0)
	v_add_co_u32 v18, vcc_lo, v8, v10
	s_delay_alu instid0(VALU_DEP_2)
	v_add_co_ci_u32_e32 v19, vcc_lo, v9, v11, vcc_lo
	v_sub_nc_u32_e32 v2, v2, v118
	v_add_co_u32 v10, s13, v10, v134
	flat_load_u16 v15, v[18:19] slc dlc
	v_add_co_ci_u32_e64 v11, s13, v11, v135, s13
	v_cmp_gt_i32_e32 vcc_lo, 2, v2
	s_or_b32 s38, vcc_lo, s38
	s_waitcnt vmcnt(0) lgkmcnt(0)
	flat_store_b16 v[18:19], v15 glc slc dlc
	s_and_not1_b32 exec_lo, exec_lo, s38
	s_cbranch_execnz .LBB4_2194
.LBB4_2195:                             ;   in Loop: Header=BB4_2046 Depth=3
	s_or_b32 exec_lo, exec_lo, s15
.LBB4_2196:                             ;   in Loop: Header=BB4_2046 Depth=3
	s_delay_alu instid0(SALU_CYCLE_1)
	s_or_b32 exec_lo, exec_lo, s14
.LBB4_2197:                             ;   in Loop: Header=BB4_2046 Depth=3
	s_and_saveexec_b32 s13, s3
	s_cbranch_execz .LBB4_2219
; %bb.2198:                             ;   in Loop: Header=BB4_2046 Depth=3
	s_and_saveexec_b32 s14, s4
	s_delay_alu instid0(SALU_CYCLE_1)
	s_xor_b32 s14, exec_lo, s14
	s_cbranch_execz .LBB4_2216
; %bb.2199:                             ;   in Loop: Header=BB4_2046 Depth=3
	s_and_saveexec_b32 s15, s1
	s_cbranch_execz .LBB4_2215
; %bb.2200:                             ;   in Loop: Header=BB4_2046 Depth=3
	s_mov_b32 s39, exec_lo
	s_mov_b32 s38, exec_lo
	v_mbcnt_lo_u32_b32 v2, s39, 0
	s_waitcnt lgkmcnt(0)
	s_waitcnt_vscnt null, 0x0
	buffer_gl1_inv
	buffer_gl0_inv
	v_cmpx_eq_u32_e32 0, v2
	s_cbranch_execz .LBB4_2202
; %bb.2201:                             ;   in Loop: Header=BB4_2046 Depth=3
	s_bcnt1_i32_b32 vcc_lo, s39
	s_delay_alu instid0(SALU_CYCLE_1)
	v_mov_b32_e32 v2, vcc_lo
	ds_add_u64 v0, v[2:3]
	s_cbranch_execnz .LBB4_3038
.LBB4_2202:                             ;   in Loop: Header=BB4_2046 Depth=3
	s_or_b32 exec_lo, exec_lo, s38
	s_cbranch_execnz .LBB4_3016
; %bb.2203:                             ;   in Loop: Header=BB4_2046 Depth=3
	ds_load_b64 v[8:9], v0
	v_add_co_u32 v48, vcc_lo, v48, v113
	v_add_co_ci_u32_e32 v49, vcc_lo, 0, v49, vcc_lo
	s_mov_b32 s38, exec_lo
	s_waitcnt lgkmcnt(0)
	s_delay_alu instid0(VALU_DEP_1)
	v_cmpx_lt_u64_e64 v[8:9], v[48:49]
	s_cbranch_execz .LBB4_2214
; %bb.2204:                             ;   in Loop: Header=BB4_2046 Depth=3
	s_mov_b32 s39, 0
	s_mov_b32 s42, 0
                                        ; implicit-def: $sgpr40
                                        ; implicit-def: $sgpr41
	s_branch .LBB4_2206
.LBB4_2205:                             ;   in Loop: Header=BB4_2206 Depth=4
	s_or_b32 exec_lo, exec_lo, s44
	s_delay_alu instid0(SALU_CYCLE_1) | instskip(NEXT) | instid1(SALU_CYCLE_1)
	s_and_b32 vcc_lo, exec_lo, vcc_lo
	s_or_b32 s39, vcc_lo, s39
	s_and_not1_b32 vcc_lo, s40, exec_lo
	s_and_b32 s40, s41, exec_lo
	s_delay_alu instid0(SALU_CYCLE_1)
	s_or_b32 s40, vcc_lo, s40
	s_and_not1_b32 exec_lo, exec_lo, s39
	s_cbranch_execz .LBB4_2212
.LBB4_2206:                             ;   Parent Loop BB4_51 Depth=1
                                        ;     Parent Loop BB4_2044 Depth=2
                                        ;       Parent Loop BB4_2046 Depth=3
                                        ; =>      This Inner Loop Header: Depth=4
	s_add_i32 s42, s42, 1
                                        ; implicit-def: $sgpr44
	s_delay_alu instid0(SALU_CYCLE_1) | instskip(SKIP_1) | instid1(SALU_CYCLE_1)
	s_cmpk_lg_i32 s42, 0x2710
	s_cselect_b32 s43, -1, 0
	s_and_b32 vcc_lo, exec_lo, s43
	s_cbranch_vccnz .LBB4_2209
; %bb.2207:                             ;   in Loop: Header=BB4_2206 Depth=4
	s_cbranch_execnz .LBB4_3078
; %bb.2208:                             ;   in Loop: Header=BB4_2206 Depth=4
	ds_load_b64 v[8:9], v0
	s_and_not1_b32 s43, s43, exec_lo
	s_mov_b32 s42, 0
	s_mov_b32 s44, -1
	s_waitcnt lgkmcnt(0)
	flat_load_b32 v2, v[8:9] glc
	s_waitcnt vmcnt(0) lgkmcnt(0)
	buffer_gl1_inv
	buffer_gl0_inv
	v_cmp_eq_u32_e32 vcc_lo, 0, v2
	s_and_b32 vcc_lo, vcc_lo, exec_lo
	s_delay_alu instid0(SALU_CYCLE_1)
	s_or_b32 s43, s43, vcc_lo
.LBB4_2209:                             ;   in Loop: Header=BB4_2206 Depth=4
	s_and_not1_b32 s41, s41, exec_lo
	s_and_b32 s44, s44, exec_lo
	s_mov_b32 vcc_lo, -1
	s_or_b32 s41, s41, s44
	s_and_saveexec_b32 s44, s43
	s_cbranch_execz .LBB4_2205
; %bb.2210:                             ;   in Loop: Header=BB4_2206 Depth=4
	s_sleep 1
	s_cbranch_execnz .LBB4_3070
; %bb.2211:                             ;   in Loop: Header=BB4_2206 Depth=4
	ds_load_b64 v[8:9], v0
	s_and_not1_b32 s41, s41, exec_lo
	s_waitcnt lgkmcnt(0)
	v_cmp_ge_u64_e32 vcc_lo, v[8:9], v[48:49]
	s_or_not1_b32 vcc_lo, vcc_lo, exec_lo
	s_branch .LBB4_2205
.LBB4_2212:                             ;   in Loop: Header=BB4_2046 Depth=3
	s_or_b32 exec_lo, exec_lo, s39
	s_and_saveexec_b32 vcc_lo, s40
	s_delay_alu instid0(SALU_CYCLE_1)
	s_xor_b32 vcc_lo, exec_lo, vcc_lo
	s_cbranch_execz .LBB4_2214
; %bb.2213:                             ;   in Loop: Header=BB4_2046 Depth=3
	ds_store_b32 v0, v148
	s_cbranch_execnz .LBB4_3124
.LBB4_2214:                             ;   in Loop: Header=BB4_2046 Depth=3
	s_or_b32 exec_lo, exec_lo, s38
	;;#ASMSTART
	s_wakeup
	;;#ASMEND
.LBB4_2215:                             ;   in Loop: Header=BB4_2046 Depth=3
	s_or_b32 exec_lo, exec_lo, s15
.LBB4_2216:                             ;   in Loop: Header=BB4_2046 Depth=3
	s_and_not1_saveexec_b32 s14, s14
	s_cbranch_execz .LBB4_2218
; %bb.2217:                             ;   in Loop: Header=BB4_2046 Depth=3
	s_waitcnt lgkmcnt(0)
	s_waitcnt_vscnt null, 0x0
	buffer_gl1_inv
	buffer_gl0_inv
	s_barrier
.LBB4_2218:                             ;   in Loop: Header=BB4_2046 Depth=3
	s_or_b32 exec_lo, exec_lo, s14
.LBB4_2219:                             ;   in Loop: Header=BB4_2046 Depth=3
	s_delay_alu instid0(SALU_CYCLE_1) | instskip(SKIP_1) | instid1(SALU_CYCLE_1)
	s_or_b32 exec_lo, exec_lo, s13
                                        ; implicit-def: $vgpr2
	s_and_saveexec_b32 s13, s7
	s_xor_b32 s14, exec_lo, s13
	s_cbranch_execz .LBB4_2223
; %bb.2220:                             ;   in Loop: Header=BB4_2046 Depth=3
	v_and_b32_e32 v2, 16, v30
	v_cmp_lt_i32_e32 vcc_lo, 0, v13
	s_delay_alu instid0(VALU_DEP_2) | instskip(SKIP_1) | instid1(VALU_DEP_2)
	v_cmp_ne_u32_e64 s13, 0, v2
	v_and_b32_e32 v2, 16, v30
	s_and_b32 s15, s13, vcc_lo
	s_delay_alu instid0(SALU_CYCLE_1)
	s_and_saveexec_b32 s13, s15
	s_cbranch_execz .LBB4_2222
; %bb.2221:                             ;   in Loop: Header=BB4_2046 Depth=3
	v_mov_b32_e32 v2, 1
	s_waitcnt lgkmcnt(0)
	s_waitcnt_vscnt null, 0x0
	buffer_gl1_inv
	buffer_gl0_inv
.LBB4_2222:                             ;   in Loop: Header=BB4_2046 Depth=3
	s_or_b32 exec_lo, exec_lo, s13
.LBB4_2223:                             ;   in Loop: Header=BB4_2046 Depth=3
	s_and_not1_saveexec_b32 s13, s14
	s_cbranch_execz .LBB4_2245
; %bb.2224:                             ;   in Loop: Header=BB4_2046 Depth=3
	s_and_saveexec_b32 s14, s4
	s_delay_alu instid0(SALU_CYCLE_1)
	s_xor_b32 s14, exec_lo, s14
	s_cbranch_execz .LBB4_2242
; %bb.2225:                             ;   in Loop: Header=BB4_2046 Depth=3
	s_and_saveexec_b32 s15, s1
	s_cbranch_execz .LBB4_2241
; %bb.2226:                             ;   in Loop: Header=BB4_2046 Depth=3
	s_mov_b32 s39, exec_lo
	s_mov_b32 s38, exec_lo
	v_mbcnt_lo_u32_b32 v2, s39, 0
	;;#ASMSTART
	s_waitcnt lgkmcnt(0) vmcnt(0)
	;;#ASMEND
	s_delay_alu instid0(VALU_DEP_1)
	v_cmpx_eq_u32_e32 0, v2
	s_cbranch_execz .LBB4_2228
; %bb.2227:                             ;   in Loop: Header=BB4_2046 Depth=3
	s_bcnt1_i32_b32 vcc_lo, s39
	s_delay_alu instid0(SALU_CYCLE_1)
	v_mov_b32_e32 v2, vcc_lo
	ds_add_u64 v0, v[2:3]
	s_cbranch_execnz .LBB4_3040
.LBB4_2228:                             ;   in Loop: Header=BB4_2046 Depth=3
	s_or_b32 exec_lo, exec_lo, s38
	s_cbranch_execnz .LBB4_3020
; %bb.2229:                             ;   in Loop: Header=BB4_2046 Depth=3
	ds_load_b64 v[8:9], v0
	v_add_co_u32 v48, vcc_lo, v48, v113
	v_add_co_ci_u32_e32 v49, vcc_lo, 0, v49, vcc_lo
	s_mov_b32 s38, exec_lo
	s_waitcnt lgkmcnt(0)
	s_delay_alu instid0(VALU_DEP_1)
	v_cmpx_lt_u64_e64 v[8:9], v[48:49]
	s_cbranch_execz .LBB4_2240
; %bb.2230:                             ;   in Loop: Header=BB4_2046 Depth=3
	s_mov_b32 s39, 0
	s_mov_b32 s42, 0
                                        ; implicit-def: $sgpr40
                                        ; implicit-def: $sgpr41
	s_branch .LBB4_2232
.LBB4_2231:                             ;   in Loop: Header=BB4_2232 Depth=4
	s_or_b32 exec_lo, exec_lo, s44
	s_delay_alu instid0(SALU_CYCLE_1) | instskip(NEXT) | instid1(SALU_CYCLE_1)
	s_and_b32 vcc_lo, exec_lo, vcc_lo
	s_or_b32 s39, vcc_lo, s39
	s_and_not1_b32 vcc_lo, s40, exec_lo
	s_and_b32 s40, s41, exec_lo
	s_delay_alu instid0(SALU_CYCLE_1)
	s_or_b32 s40, vcc_lo, s40
	s_and_not1_b32 exec_lo, exec_lo, s39
	s_cbranch_execz .LBB4_2238
.LBB4_2232:                             ;   Parent Loop BB4_51 Depth=1
                                        ;     Parent Loop BB4_2044 Depth=2
                                        ;       Parent Loop BB4_2046 Depth=3
                                        ; =>      This Inner Loop Header: Depth=4
	s_add_i32 s42, s42, 1
                                        ; implicit-def: $sgpr44
	s_delay_alu instid0(SALU_CYCLE_1) | instskip(SKIP_1) | instid1(SALU_CYCLE_1)
	s_cmpk_lg_i32 s42, 0x2710
	s_cselect_b32 s43, -1, 0
	s_and_b32 vcc_lo, exec_lo, s43
	s_cbranch_vccz .LBB4_2236
.LBB4_2233:                             ;   in Loop: Header=BB4_2232 Depth=4
	s_and_not1_b32 s41, s41, exec_lo
	s_and_b32 s44, s44, exec_lo
	s_mov_b32 vcc_lo, -1
	s_or_b32 s41, s41, s44
	s_and_saveexec_b32 s44, s43
	s_cbranch_execz .LBB4_2231
; %bb.2234:                             ;   in Loop: Header=BB4_2232 Depth=4
	s_sleep 1
	s_cbranch_execnz .LBB4_3076
; %bb.2235:                             ;   in Loop: Header=BB4_2232 Depth=4
	ds_load_b64 v[8:9], v0
	s_and_not1_b32 s41, s41, exec_lo
	s_waitcnt lgkmcnt(0)
	v_cmp_ge_u64_e32 vcc_lo, v[8:9], v[48:49]
	s_or_not1_b32 vcc_lo, vcc_lo, exec_lo
	s_branch .LBB4_2231
.LBB4_2236:                             ;   in Loop: Header=BB4_2232 Depth=4
	s_cbranch_execnz .LBB4_3082
; %bb.2237:                             ;   in Loop: Header=BB4_2232 Depth=4
	ds_load_b64 v[8:9], v0
	s_and_not1_b32 s43, s43, exec_lo
	s_mov_b32 s42, 0
	s_mov_b32 s44, -1
	s_waitcnt lgkmcnt(0)
	s_waitcnt_vscnt null, 0x0
	flat_load_b32 v2, v[8:9] glc
	s_waitcnt vmcnt(0) lgkmcnt(0)
	buffer_gl1_inv
	buffer_gl0_inv
	v_cmp_eq_u32_e32 vcc_lo, 0, v2
	s_and_b32 vcc_lo, vcc_lo, exec_lo
	s_delay_alu instid0(SALU_CYCLE_1)
	s_or_b32 s43, s43, vcc_lo
	s_branch .LBB4_2233
.LBB4_2238:                             ;   in Loop: Header=BB4_2046 Depth=3
	s_or_b32 exec_lo, exec_lo, s39
	s_and_saveexec_b32 vcc_lo, s40
	s_delay_alu instid0(SALU_CYCLE_1)
	s_xor_b32 vcc_lo, exec_lo, vcc_lo
	s_cbranch_execz .LBB4_2240
; %bb.2239:                             ;   in Loop: Header=BB4_2046 Depth=3
	ds_store_b32 v0, v148
	s_cbranch_execnz .LBB4_3126
.LBB4_2240:                             ;   in Loop: Header=BB4_2046 Depth=3
	s_or_b32 exec_lo, exec_lo, s38
	;;#ASMSTART
	s_wakeup
	;;#ASMEND
.LBB4_2241:                             ;   in Loop: Header=BB4_2046 Depth=3
	s_or_b32 exec_lo, exec_lo, s15
.LBB4_2242:                             ;   in Loop: Header=BB4_2046 Depth=3
	s_and_not1_saveexec_b32 s14, s14
	s_cbranch_execz .LBB4_2244
; %bb.2243:                             ;   in Loop: Header=BB4_2046 Depth=3
	;;#ASMSTART
	s_waitcnt lgkmcnt(0) vmcnt(0)
	;;#ASMEND
	s_waitcnt lgkmcnt(0)
	s_waitcnt_vscnt null, 0x0
	s_barrier
.LBB4_2244:                             ;   in Loop: Header=BB4_2046 Depth=3
	s_or_b32 exec_lo, exec_lo, s14
	v_and_b32_e32 v2, 16, v30
.LBB4_2245:                             ;   in Loop: Header=BB4_2046 Depth=3
	s_or_b32 exec_lo, exec_lo, s13
	s_delay_alu instid0(VALU_DEP_1) | instskip(SKIP_1) | instid1(SALU_CYCLE_1)
	v_cmp_ne_u32_e32 vcc_lo, 0, v2
	s_xor_b32 s13, s10, -1
	s_and_b32 s14, vcc_lo, s13
	s_delay_alu instid0(SALU_CYCLE_1)
	s_and_saveexec_b32 s13, s14
	s_cbranch_execz .LBB4_2247
; %bb.2246:                             ;   in Loop: Header=BB4_2046 Depth=3
	s_waitcnt lgkmcnt(0)
	s_waitcnt_vscnt null, 0x0
	flat_store_b32 v[38:39], v148
.LBB4_2247:                             ;   in Loop: Header=BB4_2046 Depth=3
	s_or_b32 exec_lo, exec_lo, s13
	v_and_b32_e32 v2, 48, v30
	s_mov_b32 s13, exec_lo
	s_delay_alu instid0(VALU_DEP_1)
	v_cmpx_ne_u32_e32 0, v2
	s_cbranch_execz .LBB4_2249
; %bb.2248:                             ;   in Loop: Header=BB4_2046 Depth=3
	v_add_co_u32 v34, vcc_lo, v34, 2
	v_add_co_ci_u32_e32 v35, vcc_lo, 0, v35, vcc_lo
	s_waitcnt lgkmcnt(0)
	s_waitcnt_vscnt null, 0x0
	flat_store_b64 v[32:33], v[34:35]
.LBB4_2249:                             ;   in Loop: Header=BB4_2046 Depth=3
	s_or_b32 exec_lo, exec_lo, s13
	v_add_nc_u32_e32 v14, v12, v14
	s_xor_b32 s13, s36, -1
	v_mov_b32_e32 v2, s37
	s_mov_b32 s36, 0
	s_mov_b32 s37, 2
	v_cmp_ge_i32_e32 vcc_lo, v14, v20
	s_or_b32 s13, s13, vcc_lo
	s_delay_alu instid0(SALU_CYCLE_1) | instskip(NEXT) | instid1(SALU_CYCLE_1)
	s_and_b32 s13, exec_lo, s13
	s_or_b32 s35, s13, s35
	s_delay_alu instid0(SALU_CYCLE_1)
	s_and_not1_b32 exec_lo, exec_lo, s35
	s_cbranch_execnz .LBB4_2046
; %bb.2250:                             ;   in Loop: Header=BB4_2044 Depth=2
	s_or_b32 exec_lo, exec_lo, s35
.LBB4_2251:                             ;   in Loop: Header=BB4_2044 Depth=2
	s_delay_alu instid0(SALU_CYCLE_1) | instskip(NEXT) | instid1(SALU_CYCLE_1)
	s_or_b32 exec_lo, exec_lo, s34
	s_mov_b32 s14, exec_lo
	v_cmpx_gt_i32_e32 2, v2
	s_cbranch_execz .LBB4_2337
; %bb.2252:                             ;   in Loop: Header=BB4_2044 Depth=2
	v_cmp_eq_u32_e64 s13, 0, v2
	s_mov_b32 s15, 0
.LBB4_2253:                             ;   Parent Loop BB4_51 Depth=1
                                        ;     Parent Loop BB4_2044 Depth=2
                                        ; =>    This Loop Header: Depth=3
                                        ;         Child Loop BB4_2259 Depth 4
                                        ;         Child Loop BB4_2291 Depth 4
	;; [unrolled: 1-line block ×3, first 2 shown]
	v_and_b32_e32 v2, 12, v30
	s_mov_b32 s35, -1
	s_mov_b32 s34, exec_lo
	s_delay_alu instid0(VALU_DEP_1)
	v_cmpx_ne_u32_e32 0, v2
	s_cbranch_execz .LBB4_2267
; %bb.2254:                             ;   in Loop: Header=BB4_2253 Depth=3
	v_and_b32_e32 v2, 8, v30
	s_delay_alu instid0(VALU_DEP_1) | instskip(SKIP_3) | instid1(VALU_DEP_1)
	v_add_co_u32 v10, vcc_lo, v50, v2
	v_add_co_ci_u32_e32 v11, vcc_lo, 0, v51, vcc_lo
	v_add_co_u32 v8, vcc_lo, v34, 2
	v_add_co_ci_u32_e32 v9, vcc_lo, 0, v35, vcc_lo
	v_cmp_lt_u64_e32 vcc_lo, v[10:11], v[8:9]
	v_mov_b32_e32 v10, 1
	s_and_saveexec_b32 s35, vcc_lo
	s_cbranch_execz .LBB4_2266
; %bb.2255:                             ;   in Loop: Header=BB4_2253 Depth=3
	v_mov_b32_e32 v10, 0
	s_mov_b32 s36, 0
                                        ; implicit-def: $sgpr37
	s_branch .LBB4_2259
.LBB4_2256:                             ;   in Loop: Header=BB4_2259 Depth=4
	s_or_b32 exec_lo, exec_lo, s41
	v_mov_b32_e32 v11, 0
	s_or_not1_b32 s40, s40, exec_lo
.LBB4_2257:                             ;   in Loop: Header=BB4_2259 Depth=4
	s_or_b32 exec_lo, exec_lo, s39
	s_delay_alu instid0(VALU_DEP_1) | instskip(SKIP_2) | instid1(SALU_CYCLE_1)
	v_mov_b32_e32 v10, v11
	s_and_not1_b32 vcc_lo, s37, exec_lo
	s_and_b32 s37, s40, exec_lo
	s_or_b32 s37, vcc_lo, s37
.LBB4_2258:                             ;   in Loop: Header=BB4_2259 Depth=4
	s_or_b32 exec_lo, exec_lo, s38
	s_waitcnt vmcnt(0) lgkmcnt(0)
	v_add_co_u32 v15, vcc_lo, v50, v2
	v_add_co_ci_u32_e32 v16, vcc_lo, 0, v51, vcc_lo
	s_xor_b32 s38, s37, -1
	s_delay_alu instid0(VALU_DEP_1) | instskip(SKIP_1) | instid1(SALU_CYCLE_1)
	v_cmp_ge_u64_e32 vcc_lo, v[15:16], v[8:9]
	s_or_b32 vcc_lo, s38, vcc_lo
	s_and_b32 vcc_lo, exec_lo, vcc_lo
	s_delay_alu instid0(SALU_CYCLE_1) | instskip(NEXT) | instid1(SALU_CYCLE_1)
	s_or_b32 s36, vcc_lo, s36
	s_and_not1_b32 exec_lo, exec_lo, s36
	s_cbranch_execz .LBB4_2265
.LBB4_2259:                             ;   Parent Loop BB4_51 Depth=1
                                        ;     Parent Loop BB4_2044 Depth=2
                                        ;       Parent Loop BB4_2253 Depth=3
                                        ; =>      This Inner Loop Header: Depth=4
	s_sleep 1
	flat_load_b64 v[50:51], v[32:33] glc
	v_and_b32_e32 v11, 64, v30
	s_and_not1_b32 s37, s37, exec_lo
	s_mov_b32 s38, exec_lo
	s_delay_alu instid0(VALU_DEP_1)
	v_cmpx_eq_u32_e32 0, v11
	s_cbranch_execz .LBB4_2258
; %bb.2260:                             ;   in Loop: Header=BB4_2259 Depth=4
	v_add_nc_u32_e32 v11, 1, v10
	s_mov_b32 s40, -1
	s_mov_b32 s39, exec_lo
	v_cmpx_lt_i32_e32 0x270e, v10
	s_cbranch_execz .LBB4_2257
; %bb.2261:                             ;   in Loop: Header=BB4_2259 Depth=4
	s_cbranch_execnz .LBB4_2784
; %bb.2262:                             ;   in Loop: Header=BB4_2259 Depth=4
	ds_load_b64 v[10:11], v0
	s_mov_b32 s41, exec_lo
	s_waitcnt vmcnt(0) lgkmcnt(0)
	s_waitcnt_vscnt null, 0x0
	flat_load_b32 v10, v[10:11] glc
	s_waitcnt vmcnt(0) lgkmcnt(0)
	buffer_gl1_inv
	buffer_gl0_inv
	v_cmpx_ne_u32_e32 0, v10
	s_cbranch_execz .LBB4_2256
; %bb.2263:                             ;   in Loop: Header=BB4_2259 Depth=4
	ds_store_b32 v0, v10
	s_cbranch_execnz .LBB4_2864
; %bb.2264:                             ;   in Loop: Header=BB4_2259 Depth=4
	v_or_b32_e32 v30, 64, v30
	s_xor_b32 s40, exec_lo, -1
	s_branch .LBB4_2256
.LBB4_2265:                             ;   in Loop: Header=BB4_2253 Depth=3
	s_or_b32 exec_lo, exec_lo, s36
	v_and_b32_e32 v10, 12, v30
.LBB4_2266:                             ;   in Loop: Header=BB4_2253 Depth=3
	s_or_b32 exec_lo, exec_lo, s35
	s_delay_alu instid0(VALU_DEP_1)
	v_cmp_eq_u32_e32 vcc_lo, 0, v10
	;;#ASMSTART
	s_wakeup
	;;#ASMEND
	s_or_not1_b32 s35, vcc_lo, exec_lo
.LBB4_2267:                             ;   in Loop: Header=BB4_2253 Depth=3
	s_or_b32 exec_lo, exec_lo, s34
	v_sub_nc_u32_e32 v2, v20, v14
	s_xor_b32 s13, s13, -1
	s_delay_alu instid0(SALU_CYCLE_1) | instskip(NEXT) | instid1(SALU_CYCLE_1)
	s_and_b32 s13, exec_lo, s13
	s_or_b32 s15, s13, s15
	s_delay_alu instid0(VALU_DEP_1) | instskip(SKIP_1) | instid1(SALU_CYCLE_1)
	v_min_i32_e32 v12, v12, v2
	s_xor_b32 s13, s35, -1
	s_and_saveexec_b32 s34, s13
	s_cbranch_execz .LBB4_2282
; %bb.2268:                             ;   in Loop: Header=BB4_2253 Depth=3
	v_and_b32_e32 v2, 0x108, v30
	s_mov_b32 s13, exec_lo
	s_delay_alu instid0(VALU_DEP_1)
	v_cmpx_ne_u32_e32 0x108, v2
	s_xor_b32 s13, exec_lo, s13
                                        ; implicit-def: $vgpr8_vgpr9
; %bb.2269:                             ;   in Loop: Header=BB4_2253 Depth=3
	v_and_b32_e32 v8, 7, v34
; %bb.2270:                             ;   in Loop: Header=BB4_2253 Depth=3
	s_and_not1_saveexec_b32 s13, s13
	s_cbranch_execz .LBB4_2272
; %bb.2271:                             ;   in Loop: Header=BB4_2253 Depth=3
	v_and_b32_e32 v8, 7, v34
	v_ashrrev_i32_e32 v13, 31, v12
	s_delay_alu instid0(VALU_DEP_2) | instskip(NEXT) | instid1(VALU_DEP_2)
	v_mad_u64_u32 v[9:10], null, v8, 24, v[6:7]
	v_lshlrev_b64 v[15:16], 1, v[12:13]
	flat_store_b64 v[9:10], v[15:16] offset:8
.LBB4_2272:                             ;   in Loop: Header=BB4_2253 Depth=3
	s_or_b32 exec_lo, exec_lo, s13
	v_and_b32_e32 v2, 0x100, v30
	s_mov_b32 s13, -1
	s_mov_b32 s35, exec_lo
                                        ; implicit-def: $vgpr9_vgpr10
	s_delay_alu instid0(VALU_DEP_1)
	v_cmpx_ne_u32_e32 0, v2
	s_cbranch_execnz .LBB4_2275
; %bb.2273:                             ;   in Loop: Header=BB4_2253 Depth=3
	s_or_b32 exec_lo, exec_lo, s35
	s_and_saveexec_b32 vcc_lo, s13
	s_cbranch_execnz .LBB4_2278
.LBB4_2274:                             ;   in Loop: Header=BB4_2253 Depth=3
	s_or_b32 exec_lo, exec_lo, vcc_lo
	s_cbranch_execnz .LBB4_2774
	s_branch .LBB4_2279
.LBB4_2275:                             ;   in Loop: Header=BB4_2253 Depth=3
	v_mad_u64_u32 v[15:16], null, v8, 24, v[6:7]
	s_mov_b32 s36, exec_lo
	s_delay_alu instid0(VALU_DEP_1) | instskip(NEXT) | instid1(VALU_DEP_1)
	v_mov_b32_e32 v2, v16
	v_mad_u64_u32 v[9:10], null, v3, 24, v[2:3]
	s_delay_alu instid0(VALU_DEP_1)
	v_mov_b32_e32 v16, v9
                                        ; implicit-def: $vgpr9_vgpr10
	flat_load_b32 v2, v[15:16]
	s_waitcnt vmcnt(0) lgkmcnt(0)
	v_cmp_ne_u32_e32 vcc_lo, 1, v2
	v_cmpx_eq_u32_e32 1, v2
	s_cbranch_execz .LBB4_2277
; %bb.2276:                             ;   in Loop: Header=BB4_2253 Depth=3
	flat_load_b32 v9, v[15:16] offset:4 glc
	s_waitcnt vmcnt(0) lgkmcnt(0)
	v_ashrrev_i32_e32 v10, 31, v9
	s_delay_alu instid0(VALU_DEP_1)
	v_lshrrev_b64 v[9:10], 1, v[9:10]
.LBB4_2277:                             ;   in Loop: Header=BB4_2253 Depth=3
	s_or_b32 exec_lo, exec_lo, s36
	s_delay_alu instid0(SALU_CYCLE_1)
	s_or_not1_b32 s13, vcc_lo, exec_lo
	s_or_b32 exec_lo, exec_lo, s35
	s_and_saveexec_b32 vcc_lo, s13
	s_cbranch_execz .LBB4_2274
.LBB4_2278:                             ;   in Loop: Header=BB4_2253 Depth=3
	v_mul_lo_u32 v2, v3, v101
	v_mul_lo_u32 v11, v8, v102
	v_mad_u64_u32 v[9:10], null, v8, v101, 0
	s_delay_alu instid0(VALU_DEP_1)
	v_add3_u32 v10, v10, v11, v2
	s_or_b32 exec_lo, exec_lo, vcc_lo
	s_cbranch_execnz .LBB4_2774
.LBB4_2279:                             ;   in Loop: Header=BB4_2253 Depth=3
	s_delay_alu instid0(VALU_DEP_1) | instskip(SKIP_2) | instid1(VALU_DEP_2)
	v_lshlrev_b64 v[8:9], 1, v[9:10]
	v_and_b32_e32 v2, 0x2000, v30
	s_mov_b32 s13, exec_lo
	v_add_co_u32 v8, vcc_lo, v36, v8
	s_delay_alu instid0(VALU_DEP_3)
	v_add_co_ci_u32_e32 v9, vcc_lo, v37, v9, vcc_lo
	ds_store_b64 v0, v[8:9]
	v_cmpx_ne_u32_e32 0, v2
	s_cbranch_execz .LBB4_2281
; %bb.2280:                             ;   in Loop: Header=BB4_2253 Depth=3
	ds_load_b64 v[8:9], v0 offset:584
	s_waitcnt lgkmcnt(0)
	v_add_co_u32 v8, vcc_lo, v8, 1
	v_add_co_ci_u32_e32 v9, vcc_lo, 0, v9, vcc_lo
	ds_store_b64 v0, v[8:9] offset:584
.LBB4_2281:                             ;   in Loop: Header=BB4_2253 Depth=3
	s_or_b32 exec_lo, exec_lo, s13
	v_add_co_u32 v34, vcc_lo, v34, 2
	v_add_co_ci_u32_e32 v35, vcc_lo, 0, v35, vcc_lo
.LBB4_2282:                             ;   in Loop: Header=BB4_2253 Depth=3
	s_or_b32 exec_lo, exec_lo, s34
	s_and_saveexec_b32 s13, s3
	s_cbranch_execz .LBB4_2304
; %bb.2283:                             ;   in Loop: Header=BB4_2253 Depth=3
	s_and_saveexec_b32 vcc_lo, s4
	s_delay_alu instid0(SALU_CYCLE_1)
	s_xor_b32 s34, exec_lo, vcc_lo
	s_cbranch_execz .LBB4_2301
; %bb.2284:                             ;   in Loop: Header=BB4_2253 Depth=3
	s_and_saveexec_b32 s35, s1
	s_cbranch_execz .LBB4_2300
; %bb.2285:                             ;   in Loop: Header=BB4_2253 Depth=3
	s_mov_b32 s37, exec_lo
	s_mov_b32 s36, exec_lo
	v_mbcnt_lo_u32_b32 v2, s37, 0
	s_waitcnt lgkmcnt(0)
	s_waitcnt_vscnt null, 0x0
	buffer_gl1_inv
	buffer_gl0_inv
	v_cmpx_eq_u32_e32 0, v2
	s_cbranch_execz .LBB4_2287
; %bb.2286:                             ;   in Loop: Header=BB4_2253 Depth=3
	s_bcnt1_i32_b32 vcc_lo, s37
	s_delay_alu instid0(SALU_CYCLE_1)
	v_mov_b32_e32 v2, vcc_lo
	ds_add_u64 v0, v[2:3]
	s_cbranch_execnz .LBB4_2920
.LBB4_2287:                             ;   in Loop: Header=BB4_2253 Depth=3
	s_or_b32 exec_lo, exec_lo, s36
	s_cbranch_execnz .LBB4_2888
; %bb.2288:                             ;   in Loop: Header=BB4_2253 Depth=3
	ds_load_b64 v[8:9], v0
	v_add_co_u32 v48, vcc_lo, v48, v113
	v_add_co_ci_u32_e32 v49, vcc_lo, 0, v49, vcc_lo
	s_mov_b32 s36, exec_lo
	s_waitcnt lgkmcnt(0)
	s_delay_alu instid0(VALU_DEP_1)
	v_cmpx_lt_u64_e64 v[8:9], v[48:49]
	s_cbranch_execz .LBB4_2299
; %bb.2289:                             ;   in Loop: Header=BB4_2253 Depth=3
	s_mov_b32 s37, 0
	s_mov_b32 s40, 0
                                        ; implicit-def: $sgpr38
                                        ; implicit-def: $sgpr39
	s_branch .LBB4_2291
.LBB4_2290:                             ;   in Loop: Header=BB4_2291 Depth=4
	s_or_b32 exec_lo, exec_lo, s42
	s_delay_alu instid0(SALU_CYCLE_1) | instskip(NEXT) | instid1(SALU_CYCLE_1)
	s_and_b32 vcc_lo, exec_lo, vcc_lo
	s_or_b32 s37, vcc_lo, s37
	s_and_not1_b32 vcc_lo, s38, exec_lo
	s_and_b32 s38, s39, exec_lo
	s_delay_alu instid0(SALU_CYCLE_1)
	s_or_b32 s38, vcc_lo, s38
	s_and_not1_b32 exec_lo, exec_lo, s37
	s_cbranch_execz .LBB4_2297
.LBB4_2291:                             ;   Parent Loop BB4_51 Depth=1
                                        ;     Parent Loop BB4_2044 Depth=2
                                        ;       Parent Loop BB4_2253 Depth=3
                                        ; =>      This Inner Loop Header: Depth=4
	s_add_i32 s40, s40, 1
                                        ; implicit-def: $sgpr42
	s_delay_alu instid0(SALU_CYCLE_1) | instskip(SKIP_1) | instid1(SALU_CYCLE_1)
	s_cmpk_lg_i32 s40, 0x2710
	s_cselect_b32 s41, -1, 0
	s_and_b32 vcc_lo, exec_lo, s41
	s_cbranch_vccz .LBB4_2295
.LBB4_2292:                             ;   in Loop: Header=BB4_2291 Depth=4
	s_and_not1_b32 s39, s39, exec_lo
	s_and_b32 s42, s42, exec_lo
	s_mov_b32 vcc_lo, -1
	s_or_b32 s39, s39, s42
	s_and_saveexec_b32 s42, s41
	s_cbranch_execz .LBB4_2290
; %bb.2293:                             ;   in Loop: Header=BB4_2291 Depth=4
	s_sleep 1
	s_cbranch_execnz .LBB4_2968
; %bb.2294:                             ;   in Loop: Header=BB4_2291 Depth=4
	ds_load_b64 v[8:9], v0
	s_and_not1_b32 s39, s39, exec_lo
	s_waitcnt lgkmcnt(0)
	v_cmp_ge_u64_e32 vcc_lo, v[8:9], v[48:49]
	s_or_not1_b32 vcc_lo, vcc_lo, exec_lo
	s_branch .LBB4_2290
.LBB4_2295:                             ;   in Loop: Header=BB4_2291 Depth=4
	s_cbranch_execnz .LBB4_2990
; %bb.2296:                             ;   in Loop: Header=BB4_2291 Depth=4
	ds_load_b64 v[8:9], v0
	s_and_not1_b32 s41, s41, exec_lo
	s_mov_b32 s40, 0
	s_mov_b32 s42, -1
	s_waitcnt lgkmcnt(0)
	flat_load_b32 v2, v[8:9] glc
	s_waitcnt vmcnt(0) lgkmcnt(0)
	buffer_gl1_inv
	buffer_gl0_inv
	v_cmp_eq_u32_e32 vcc_lo, 0, v2
	s_and_b32 vcc_lo, vcc_lo, exec_lo
	s_delay_alu instid0(SALU_CYCLE_1)
	s_or_b32 s41, s41, vcc_lo
	s_branch .LBB4_2292
.LBB4_2297:                             ;   in Loop: Header=BB4_2253 Depth=3
	s_or_b32 exec_lo, exec_lo, s37
	s_and_saveexec_b32 vcc_lo, s38
	s_delay_alu instid0(SALU_CYCLE_1)
	s_xor_b32 vcc_lo, exec_lo, vcc_lo
	s_cbranch_execz .LBB4_2299
; %bb.2298:                             ;   in Loop: Header=BB4_2253 Depth=3
	ds_store_b32 v0, v148
	s_cbranch_execnz .LBB4_3104
.LBB4_2299:                             ;   in Loop: Header=BB4_2253 Depth=3
	s_or_b32 exec_lo, exec_lo, s36
	;;#ASMSTART
	s_wakeup
	;;#ASMEND
.LBB4_2300:                             ;   in Loop: Header=BB4_2253 Depth=3
	s_or_b32 exec_lo, exec_lo, s35
.LBB4_2301:                             ;   in Loop: Header=BB4_2253 Depth=3
	s_and_not1_saveexec_b32 vcc_lo, s34
	s_cbranch_execz .LBB4_2303
; %bb.2302:                             ;   in Loop: Header=BB4_2253 Depth=3
	s_waitcnt lgkmcnt(0)
	s_waitcnt_vscnt null, 0x0
	buffer_gl1_inv
	buffer_gl0_inv
	s_barrier
.LBB4_2303:                             ;   in Loop: Header=BB4_2253 Depth=3
	s_or_b32 exec_lo, exec_lo, vcc_lo
.LBB4_2304:                             ;   in Loop: Header=BB4_2253 Depth=3
	s_delay_alu instid0(SALU_CYCLE_1) | instskip(SKIP_1) | instid1(SALU_CYCLE_1)
	s_or_b32 exec_lo, exec_lo, s13
                                        ; implicit-def: $vgpr2
	s_and_saveexec_b32 s13, s7
	s_xor_b32 s34, exec_lo, s13
	s_cbranch_execz .LBB4_2309
; %bb.2305:                             ;   in Loop: Header=BB4_2253 Depth=3
	s_cbranch_execnz .LBB4_2806
; %bb.2306:                             ;   in Loop: Header=BB4_2253 Depth=3
	ds_load_b32 v2, v0
	v_cmp_lt_i32_e32 vcc_lo, 0, v12
	s_waitcnt lgkmcnt(0)
	v_readfirstlane_b32 s13, v2
	v_and_b32_e32 v2, 16, v30
	s_delay_alu instid0(VALU_DEP_2) | instskip(NEXT) | instid1(VALU_DEP_1)
	s_cmp_eq_u32 s13, 0
	v_cmp_ne_u32_e64 s13, 0, v2
	s_cselect_b32 s35, -1, 0
	v_and_b32_e32 v2, 16, v30
	s_and_b32 vcc_lo, vcc_lo, s35
	s_delay_alu instid0(VALU_DEP_2) | instid1(SALU_CYCLE_1)
	s_and_b32 vcc_lo, s13, vcc_lo
	s_delay_alu instid0(SALU_CYCLE_1)
	s_and_saveexec_b32 s13, vcc_lo
	s_cbranch_execz .LBB4_2308
; %bb.2307:                             ;   in Loop: Header=BB4_2253 Depth=3
	v_mov_b32_e32 v2, 1
	s_waitcnt_vscnt null, 0x0
	buffer_gl1_inv
	buffer_gl0_inv
.LBB4_2308:                             ;   in Loop: Header=BB4_2253 Depth=3
	s_or_b32 exec_lo, exec_lo, s13
.LBB4_2309:                             ;   in Loop: Header=BB4_2253 Depth=3
	s_and_not1_saveexec_b32 s13, s34
	s_cbranch_execz .LBB4_2331
; %bb.2310:                             ;   in Loop: Header=BB4_2253 Depth=3
	s_and_saveexec_b32 vcc_lo, s4
	s_delay_alu instid0(SALU_CYCLE_1)
	s_xor_b32 s34, exec_lo, vcc_lo
	s_cbranch_execz .LBB4_2328
; %bb.2311:                             ;   in Loop: Header=BB4_2253 Depth=3
	s_and_saveexec_b32 s35, s1
	s_cbranch_execz .LBB4_2327
; %bb.2312:                             ;   in Loop: Header=BB4_2253 Depth=3
	s_mov_b32 s37, exec_lo
	s_mov_b32 s36, exec_lo
	v_mbcnt_lo_u32_b32 v2, s37, 0
	;;#ASMSTART
	s_waitcnt lgkmcnt(0) vmcnt(0)
	;;#ASMEND
	s_delay_alu instid0(VALU_DEP_1)
	v_cmpx_eq_u32_e32 0, v2
	s_cbranch_execz .LBB4_2314
; %bb.2313:                             ;   in Loop: Header=BB4_2253 Depth=3
	s_bcnt1_i32_b32 vcc_lo, s37
	s_delay_alu instid0(SALU_CYCLE_1)
	v_mov_b32_e32 v2, vcc_lo
	ds_add_u64 v0, v[2:3]
	s_cbranch_execnz .LBB4_2940
.LBB4_2314:                             ;   in Loop: Header=BB4_2253 Depth=3
	s_or_b32 exec_lo, exec_lo, s36
	s_cbranch_execnz .LBB4_2918
; %bb.2315:                             ;   in Loop: Header=BB4_2253 Depth=3
	ds_load_b64 v[8:9], v0
	v_add_co_u32 v48, vcc_lo, v48, v113
	v_add_co_ci_u32_e32 v49, vcc_lo, 0, v49, vcc_lo
	s_mov_b32 s36, exec_lo
	s_waitcnt lgkmcnt(0)
	s_delay_alu instid0(VALU_DEP_1)
	v_cmpx_lt_u64_e64 v[8:9], v[48:49]
	s_cbranch_execz .LBB4_2326
; %bb.2316:                             ;   in Loop: Header=BB4_2253 Depth=3
	s_mov_b32 s37, 0
	s_mov_b32 s40, 0
                                        ; implicit-def: $sgpr38
                                        ; implicit-def: $sgpr39
	s_branch .LBB4_2318
.LBB4_2317:                             ;   in Loop: Header=BB4_2318 Depth=4
	s_or_b32 exec_lo, exec_lo, s42
	s_delay_alu instid0(SALU_CYCLE_1) | instskip(NEXT) | instid1(SALU_CYCLE_1)
	s_and_b32 vcc_lo, exec_lo, vcc_lo
	s_or_b32 s37, vcc_lo, s37
	s_and_not1_b32 vcc_lo, s38, exec_lo
	s_and_b32 s38, s39, exec_lo
	s_delay_alu instid0(SALU_CYCLE_1)
	s_or_b32 s38, vcc_lo, s38
	s_and_not1_b32 exec_lo, exec_lo, s37
	s_cbranch_execz .LBB4_2324
.LBB4_2318:                             ;   Parent Loop BB4_51 Depth=1
                                        ;     Parent Loop BB4_2044 Depth=2
                                        ;       Parent Loop BB4_2253 Depth=3
                                        ; =>      This Inner Loop Header: Depth=4
	s_add_i32 s40, s40, 1
                                        ; implicit-def: $sgpr42
	s_delay_alu instid0(SALU_CYCLE_1) | instskip(SKIP_1) | instid1(SALU_CYCLE_1)
	s_cmpk_lg_i32 s40, 0x2710
	s_cselect_b32 s41, -1, 0
	s_and_b32 vcc_lo, exec_lo, s41
	s_cbranch_vccz .LBB4_2322
.LBB4_2319:                             ;   in Loop: Header=BB4_2318 Depth=4
	s_and_not1_b32 s39, s39, exec_lo
	s_and_b32 s42, s42, exec_lo
	s_mov_b32 vcc_lo, -1
	s_or_b32 s39, s39, s42
	s_and_saveexec_b32 s42, s41
	s_cbranch_execz .LBB4_2317
; %bb.2320:                             ;   in Loop: Header=BB4_2318 Depth=4
	s_sleep 1
	s_cbranch_execnz .LBB4_3000
; %bb.2321:                             ;   in Loop: Header=BB4_2318 Depth=4
	ds_load_b64 v[8:9], v0
	s_and_not1_b32 s39, s39, exec_lo
	s_waitcnt lgkmcnt(0)
	v_cmp_ge_u64_e32 vcc_lo, v[8:9], v[48:49]
	s_or_not1_b32 vcc_lo, vcc_lo, exec_lo
	s_branch .LBB4_2317
.LBB4_2322:                             ;   in Loop: Header=BB4_2318 Depth=4
	s_cbranch_execnz .LBB4_3014
; %bb.2323:                             ;   in Loop: Header=BB4_2318 Depth=4
	ds_load_b64 v[8:9], v0
	s_and_not1_b32 s41, s41, exec_lo
	s_mov_b32 s40, 0
	s_mov_b32 s42, -1
	s_waitcnt lgkmcnt(0)
	s_waitcnt_vscnt null, 0x0
	flat_load_b32 v2, v[8:9] glc
	s_waitcnt vmcnt(0) lgkmcnt(0)
	buffer_gl1_inv
	buffer_gl0_inv
	v_cmp_eq_u32_e32 vcc_lo, 0, v2
	s_and_b32 vcc_lo, vcc_lo, exec_lo
	s_delay_alu instid0(SALU_CYCLE_1)
	s_or_b32 s41, s41, vcc_lo
	s_branch .LBB4_2319
.LBB4_2324:                             ;   in Loop: Header=BB4_2253 Depth=3
	s_or_b32 exec_lo, exec_lo, s37
	s_and_saveexec_b32 vcc_lo, s38
	s_delay_alu instid0(SALU_CYCLE_1)
	s_xor_b32 vcc_lo, exec_lo, vcc_lo
	s_cbranch_execz .LBB4_2326
; %bb.2325:                             ;   in Loop: Header=BB4_2253 Depth=3
	ds_store_b32 v0, v148
	s_cbranch_execnz .LBB4_3114
.LBB4_2326:                             ;   in Loop: Header=BB4_2253 Depth=3
	s_or_b32 exec_lo, exec_lo, s36
	;;#ASMSTART
	s_wakeup
	;;#ASMEND
.LBB4_2327:                             ;   in Loop: Header=BB4_2253 Depth=3
	s_or_b32 exec_lo, exec_lo, s35
.LBB4_2328:                             ;   in Loop: Header=BB4_2253 Depth=3
	s_and_not1_saveexec_b32 vcc_lo, s34
	s_cbranch_execz .LBB4_2330
; %bb.2329:                             ;   in Loop: Header=BB4_2253 Depth=3
	;;#ASMSTART
	s_waitcnt lgkmcnt(0) vmcnt(0)
	;;#ASMEND
	s_waitcnt lgkmcnt(0)
	s_waitcnt_vscnt null, 0x0
	s_barrier
.LBB4_2330:                             ;   in Loop: Header=BB4_2253 Depth=3
	s_or_b32 exec_lo, exec_lo, vcc_lo
	v_and_b32_e32 v2, 16, v30
.LBB4_2331:                             ;   in Loop: Header=BB4_2253 Depth=3
	s_or_b32 exec_lo, exec_lo, s13
	s_delay_alu instid0(VALU_DEP_1) | instskip(SKIP_1) | instid1(SALU_CYCLE_1)
	v_cmp_ne_u32_e32 vcc_lo, 0, v2
	s_xor_b32 s13, s10, -1
	s_and_b32 vcc_lo, vcc_lo, s13
	s_delay_alu instid0(SALU_CYCLE_1)
	s_and_saveexec_b32 s13, vcc_lo
	s_cbranch_execz .LBB4_2333
; %bb.2332:                             ;   in Loop: Header=BB4_2253 Depth=3
	s_waitcnt lgkmcnt(0)
	s_waitcnt_vscnt null, 0x0
	flat_store_b32 v[38:39], v148
.LBB4_2333:                             ;   in Loop: Header=BB4_2253 Depth=3
	s_or_b32 exec_lo, exec_lo, s13
	v_and_b32_e32 v2, 48, v30
	s_mov_b32 s13, exec_lo
	s_delay_alu instid0(VALU_DEP_1)
	v_cmpx_ne_u32_e32 0, v2
	s_cbranch_execz .LBB4_2335
; %bb.2334:                             ;   in Loop: Header=BB4_2253 Depth=3
	v_add_co_u32 v34, vcc_lo, v34, 2
	v_add_co_ci_u32_e32 v35, vcc_lo, 0, v35, vcc_lo
	s_waitcnt lgkmcnt(0)
	s_waitcnt_vscnt null, 0x0
	flat_store_b64 v[32:33], v[34:35]
.LBB4_2335:                             ;   in Loop: Header=BB4_2253 Depth=3
	s_or_b32 exec_lo, exec_lo, s13
	v_add_nc_u32_e32 v14, v12, v14
	s_mov_b32 s13, 0
	s_and_not1_b32 exec_lo, exec_lo, s15
	s_cbranch_execnz .LBB4_2253
; %bb.2336:                             ;   in Loop: Header=BB4_2044 Depth=2
	s_or_b32 exec_lo, exec_lo, s15
.LBB4_2337:                             ;   in Loop: Header=BB4_2044 Depth=2
	s_delay_alu instid0(SALU_CYCLE_1) | instskip(SKIP_2) | instid1(VALU_DEP_1)
	s_or_b32 exec_lo, exec_lo, s14
	v_readlane_b32 s14, v42, 5
	s_add_i32 s13, s31, 1
	s_cmp_eq_u32 s31, s14
	s_cbranch_scc1 .LBB4_2339
; %bb.2338:                             ;   in Loop: Header=BB4_2044 Depth=2
	s_mov_b32 s31, s13
	s_branch .LBB4_2044
.LBB4_2339:                             ;   in Loop: Header=BB4_51 Depth=1
	s_mov_b32 s13, s17
	v_mul_lo_u32 v8, v64, s30
	v_mul_lo_u32 v2, v65, s13
	v_mad_u64_u32 v[9:10], null, v64, s13, 0
	s_mov_b32 s31, 0
	s_delay_alu instid0(VALU_DEP_1) | instskip(NEXT) | instid1(VALU_DEP_2)
	v_add3_u32 v10, v10, v8, v2
	v_sub_co_u32 v11, vcc_lo, v66, v9
	s_delay_alu instid0(VALU_DEP_2) | instskip(NEXT) | instid1(VALU_DEP_1)
	v_sub_co_ci_u32_e32 v12, vcc_lo, v67, v10, vcc_lo
	v_cmp_lt_i64_e32 vcc_lo, v[64:65], v[11:12]
	v_cndmask_b32_e32 v8, v11, v64, vcc_lo
	s_delay_alu instid0(VALU_DEP_1) | instskip(NEXT) | instid1(VALU_DEP_1)
	v_max_i32_e32 v16, 0, v8
	v_add_nc_u32_e32 v2, 31, v16
	s_delay_alu instid0(VALU_DEP_1) | instskip(NEXT) | instid1(VALU_DEP_1)
	v_lshrrev_b32_e32 v2, 1, v2
	v_and_b32_e32 v11, 0x3ffffff0, v2
	v_cmp_lt_i32_e32 vcc_lo, 0, v8
	v_mov_b32_e32 v2, 0
	v_mov_b32_e32 v8, 0
	s_delay_alu instid0(VALU_DEP_4) | instskip(SKIP_1) | instid1(SALU_CYCLE_1)
	v_max_i32_e32 v17, s28, v11
	s_and_b32 s13, s16, vcc_lo
	s_and_saveexec_b32 s15, s13
	s_cbranch_execz .LBB4_2501
; %bb.2340:                             ;   in Loop: Header=BB4_51 Depth=1
	v_add_co_u32 v8, vcc_lo, v9, v68
	v_add_co_ci_u32_e32 v9, vcc_lo, v10, v69, vcc_lo
	s_mov_b32 s35, 1
	s_mov_b32 s34, -1
	s_delay_alu instid0(VALU_DEP_1)
	v_lshlrev_b64 v[10:11], 1, v[8:9]
	v_mov_b32_e32 v8, 0
.LBB4_2341:                             ;   Parent Loop BB4_51 Depth=1
                                        ; =>  This Loop Header: Depth=2
                                        ;       Child Loop BB4_2350 Depth 3
                                        ;       Child Loop BB4_2377 Depth 3
	;; [unrolled: 1-line block ×9, first 2 shown]
	s_and_saveexec_b32 s14, s0
	s_cbranch_execz .LBB4_2344
; %bb.2342:                             ;   in Loop: Header=BB4_2341 Depth=2
	s_cbranch_execnz .LBB4_2756
; %bb.2343:                             ;   in Loop: Header=BB4_2341 Depth=2
	ds_load_b128 v[12:15], v0
	v_ashrrev_i32_e32 v9, 31, v8
	s_delay_alu instid0(VALU_DEP_1)
	v_lshlrev_b64 v[18:19], 1, v[8:9]
	s_waitcnt lgkmcnt(0)
	v_add_co_u32 v2, vcc_lo, v14, v10
	v_add_co_ci_u32_e32 v9, vcc_lo, v15, v11, vcc_lo
	v_add_co_u32 v12, vcc_lo, v12, v10
	v_add_co_ci_u32_e32 v13, vcc_lo, v13, v11, vcc_lo
	s_delay_alu instid0(VALU_DEP_4) | instskip(NEXT) | instid1(VALU_DEP_4)
	v_add_co_u32 v2, vcc_lo, v2, v18
	v_add_co_ci_u32_e32 v9, vcc_lo, v9, v19, vcc_lo
	v_cmp_ne_u64_e32 vcc_lo, 0, v[14:15]
	v_add_co_u32 v12, s13, v12, v18
	s_delay_alu instid0(VALU_DEP_1) | instskip(NEXT) | instid1(VALU_DEP_4)
	v_add_co_ci_u32_e64 v13, s13, v13, v19, s13
	v_dual_cndmask_b32 v15, 0, v9 :: v_dual_cndmask_b32 v14, 0, v2
	ds_store_b64 v0, v[12:13]
	ds_store_b64 v0, v[14:15]
.LBB4_2344:                             ;   in Loop: Header=BB4_2341 Depth=2
	s_or_b32 exec_lo, exec_lo, s14
	v_and_b32_e32 v2, 4, v30
	s_mov_b32 s14, -1
	s_mov_b32 s13, exec_lo
	s_delay_alu instid0(VALU_DEP_1)
	v_cmpx_ne_u32_e32 0, v2
	s_cbranch_execz .LBB4_2358
; %bb.2345:                             ;   in Loop: Header=BB4_2341 Depth=2
	v_add_co_u32 v12, vcc_lo, v34, 2
	v_add_co_ci_u32_e32 v13, vcc_lo, 0, v35, vcc_lo
	v_mov_b32_e32 v2, 1
	s_mov_b32 s14, exec_lo
	s_delay_alu instid0(VALU_DEP_2)
	v_cmpx_lt_u64_e64 v[50:51], v[12:13]
	s_cbranch_execz .LBB4_2357
; %bb.2346:                             ;   in Loop: Header=BB4_2341 Depth=2
	v_mov_b32_e32 v2, 0
	s_mov_b32 s36, 0
                                        ; implicit-def: $sgpr37
	s_branch .LBB4_2350
.LBB4_2347:                             ;   in Loop: Header=BB4_2350 Depth=3
	s_or_b32 exec_lo, exec_lo, s41
	v_mov_b32_e32 v9, 0
	s_or_not1_b32 s40, s40, exec_lo
.LBB4_2348:                             ;   in Loop: Header=BB4_2350 Depth=3
	s_or_b32 exec_lo, exec_lo, s39
	s_delay_alu instid0(VALU_DEP_1) | instskip(SKIP_2) | instid1(SALU_CYCLE_1)
	v_mov_b32_e32 v2, v9
	s_and_not1_b32 vcc_lo, s37, exec_lo
	s_and_b32 s37, s40, exec_lo
	s_or_b32 s37, vcc_lo, s37
.LBB4_2349:                             ;   in Loop: Header=BB4_2350 Depth=3
	s_or_b32 exec_lo, exec_lo, s38
	s_waitcnt vmcnt(0) lgkmcnt(0)
	v_cmp_ge_u64_e32 vcc_lo, v[50:51], v[12:13]
	s_xor_b32 s38, s37, -1
	s_delay_alu instid0(SALU_CYCLE_1) | instskip(NEXT) | instid1(SALU_CYCLE_1)
	s_or_b32 vcc_lo, s38, vcc_lo
	s_and_b32 vcc_lo, exec_lo, vcc_lo
	s_delay_alu instid0(SALU_CYCLE_1) | instskip(NEXT) | instid1(SALU_CYCLE_1)
	s_or_b32 s36, vcc_lo, s36
	s_and_not1_b32 exec_lo, exec_lo, s36
	s_cbranch_execz .LBB4_2356
.LBB4_2350:                             ;   Parent Loop BB4_51 Depth=1
                                        ;     Parent Loop BB4_2341 Depth=2
                                        ; =>    This Inner Loop Header: Depth=3
	s_sleep 1
	flat_load_b64 v[50:51], v[32:33] glc
	v_and_b32_e32 v9, 64, v30
	s_and_not1_b32 s37, s37, exec_lo
	s_mov_b32 s38, exec_lo
	s_delay_alu instid0(VALU_DEP_1)
	v_cmpx_eq_u32_e32 0, v9
	s_cbranch_execz .LBB4_2349
; %bb.2351:                             ;   in Loop: Header=BB4_2350 Depth=3
	v_add_nc_u32_e32 v9, 1, v2
	s_mov_b32 s40, -1
	s_mov_b32 s39, exec_lo
	v_cmpx_lt_i32_e32 0x270e, v2
	s_cbranch_execz .LBB4_2348
; %bb.2352:                             ;   in Loop: Header=BB4_2350 Depth=3
	s_cbranch_execnz .LBB4_2802
; %bb.2353:                             ;   in Loop: Header=BB4_2350 Depth=3
	ds_load_b64 v[14:15], v0
	s_mov_b32 s41, exec_lo
	s_waitcnt vmcnt(0) lgkmcnt(0)
	s_waitcnt_vscnt null, 0x0
	flat_load_b32 v2, v[14:15] glc
	s_waitcnt vmcnt(0) lgkmcnt(0)
	buffer_gl1_inv
	buffer_gl0_inv
	v_cmpx_ne_u32_e32 0, v2
	s_cbranch_execz .LBB4_2347
; %bb.2354:                             ;   in Loop: Header=BB4_2350 Depth=3
	ds_store_b32 v0, v2
	s_cbranch_execnz .LBB4_2872
; %bb.2355:                             ;   in Loop: Header=BB4_2350 Depth=3
	v_or_b32_e32 v30, 64, v30
	s_xor_b32 s40, exec_lo, -1
	s_branch .LBB4_2347
.LBB4_2356:                             ;   in Loop: Header=BB4_2341 Depth=2
	s_or_b32 exec_lo, exec_lo, s36
	v_and_b32_e32 v2, 4, v30
.LBB4_2357:                             ;   in Loop: Header=BB4_2341 Depth=2
	s_or_b32 exec_lo, exec_lo, s14
	s_delay_alu instid0(VALU_DEP_1)
	v_cmp_eq_u32_e32 vcc_lo, 0, v2
	;;#ASMSTART
	s_wakeup
	;;#ASMEND
	s_or_not1_b32 s14, vcc_lo, exec_lo
.LBB4_2358:                             ;   in Loop: Header=BB4_2341 Depth=2
	s_or_b32 exec_lo, exec_lo, s13
	s_xor_b32 s13, s14, -1
	s_delay_alu instid0(SALU_CYCLE_1)
	s_and_saveexec_b32 s14, s13
	s_cbranch_execz .LBB4_2368
; %bb.2359:                             ;   in Loop: Header=BB4_2341 Depth=2
	v_and_b32_e32 v2, 0x100, v30
	s_mov_b32 s13, -1
                                        ; implicit-def: $vgpr12_vgpr13
	s_delay_alu instid0(VALU_DEP_1)
	v_cmp_ne_u32_e32 vcc_lo, 0, v2
	v_and_b32_e32 v2, 7, v34
	s_and_saveexec_b32 s36, vcc_lo
	s_cbranch_execz .LBB4_2363
; %bb.2360:                             ;   in Loop: Header=BB4_2341 Depth=2
	s_delay_alu instid0(VALU_DEP_1)
	v_mad_u64_u32 v[14:15], null, v2, 24, v[6:7]
	s_mov_b32 s37, exec_lo
                                        ; implicit-def: $vgpr12_vgpr13
	flat_load_b32 v9, v[14:15]
	s_waitcnt vmcnt(0) lgkmcnt(0)
	v_cmp_ne_u32_e32 vcc_lo, 1, v9
	v_cmpx_eq_u32_e32 1, v9
	s_cbranch_execz .LBB4_2362
; %bb.2361:                             ;   in Loop: Header=BB4_2341 Depth=2
	flat_load_b32 v12, v[14:15] offset:4 glc
	s_waitcnt vmcnt(0) lgkmcnt(0)
	v_ashrrev_i32_e32 v13, 31, v12
	s_delay_alu instid0(VALU_DEP_1)
	v_lshrrev_b64 v[12:13], 1, v[12:13]
.LBB4_2362:                             ;   in Loop: Header=BB4_2341 Depth=2
	s_or_b32 exec_lo, exec_lo, s37
	s_delay_alu instid0(SALU_CYCLE_1)
	s_or_not1_b32 s13, vcc_lo, exec_lo
.LBB4_2363:                             ;   in Loop: Header=BB4_2341 Depth=2
	s_or_b32 exec_lo, exec_lo, s36
	s_and_saveexec_b32 vcc_lo, s13
; %bb.2364:                             ;   in Loop: Header=BB4_2341 Depth=2
	v_mad_i64_i32 v[12:13], null, v2, v101, 0
; %bb.2365:                             ;   in Loop: Header=BB4_2341 Depth=2
	s_or_b32 exec_lo, exec_lo, vcc_lo
	s_delay_alu instid0(VALU_DEP_1) | instskip(SKIP_2) | instid1(VALU_DEP_2)
	v_lshlrev_b64 v[12:13], 1, v[12:13]
	v_and_b32_e32 v2, 0x2000, v30
	s_mov_b32 s13, exec_lo
	v_add_co_u32 v12, vcc_lo, v36, v12
	s_delay_alu instid0(VALU_DEP_3)
	v_add_co_ci_u32_e32 v13, vcc_lo, v37, v13, vcc_lo
	ds_store_b64 v0, v[12:13] offset:720
	v_cmpx_ne_u32_e32 0, v2
	s_cbranch_execz .LBB4_2367
; %bb.2366:                             ;   in Loop: Header=BB4_2341 Depth=2
	ds_load_b64 v[12:13], v0 offset:584
	s_waitcnt lgkmcnt(0)
	v_add_co_u32 v12, vcc_lo, v12, 1
	v_add_co_ci_u32_e32 v13, vcc_lo, 0, v13, vcc_lo
	ds_store_b64 v0, v[12:13] offset:584
.LBB4_2367:                             ;   in Loop: Header=BB4_2341 Depth=2
	s_or_b32 exec_lo, exec_lo, s13
	v_add_co_u32 v34, vcc_lo, v34, 2
	v_add_co_ci_u32_e32 v35, vcc_lo, 0, v35, vcc_lo
.LBB4_2368:                             ;   in Loop: Header=BB4_2341 Depth=2
	s_or_b32 exec_lo, exec_lo, s14
	s_and_saveexec_b32 s13, s3
	s_cbranch_execz .LBB4_2390
; %bb.2369:                             ;   in Loop: Header=BB4_2341 Depth=2
	s_and_saveexec_b32 s14, s4
	s_delay_alu instid0(SALU_CYCLE_1)
	s_xor_b32 s14, exec_lo, s14
	s_cbranch_execz .LBB4_2387
; %bb.2370:                             ;   in Loop: Header=BB4_2341 Depth=2
	s_and_saveexec_b32 s36, s1
	s_cbranch_execz .LBB4_2386
; %bb.2371:                             ;   in Loop: Header=BB4_2341 Depth=2
	s_mov_b32 s38, exec_lo
	s_mov_b32 s37, exec_lo
	v_mbcnt_lo_u32_b32 v2, s38, 0
	s_waitcnt lgkmcnt(0)
	s_waitcnt_vscnt null, 0x0
	buffer_gl1_inv
	buffer_gl0_inv
	v_cmpx_eq_u32_e32 0, v2
	s_cbranch_execz .LBB4_2373
; %bb.2372:                             ;   in Loop: Header=BB4_2341 Depth=2
	s_bcnt1_i32_b32 vcc_lo, s38
	s_delay_alu instid0(SALU_CYCLE_1)
	v_mov_b32_e32 v2, vcc_lo
	ds_add_u64 v0, v[2:3]
	s_cbranch_execnz .LBB4_2914
.LBB4_2373:                             ;   in Loop: Header=BB4_2341 Depth=2
	s_or_b32 exec_lo, exec_lo, s37
	s_cbranch_execnz .LBB4_2882
; %bb.2374:                             ;   in Loop: Header=BB4_2341 Depth=2
	ds_load_b64 v[12:13], v0
	v_add_co_u32 v48, vcc_lo, v48, v113
	v_add_co_ci_u32_e32 v49, vcc_lo, 0, v49, vcc_lo
	s_mov_b32 s37, exec_lo
	s_waitcnt lgkmcnt(0)
	s_delay_alu instid0(VALU_DEP_1)
	v_cmpx_lt_u64_e64 v[12:13], v[48:49]
	s_cbranch_execz .LBB4_2385
; %bb.2375:                             ;   in Loop: Header=BB4_2341 Depth=2
	s_mov_b32 s38, 0
	s_mov_b32 s41, 0
                                        ; implicit-def: $sgpr39
                                        ; implicit-def: $sgpr40
	s_branch .LBB4_2377
.LBB4_2376:                             ;   in Loop: Header=BB4_2377 Depth=3
	s_or_b32 exec_lo, exec_lo, s43
	s_delay_alu instid0(SALU_CYCLE_1) | instskip(NEXT) | instid1(SALU_CYCLE_1)
	s_and_b32 vcc_lo, exec_lo, vcc_lo
	s_or_b32 s38, vcc_lo, s38
	s_and_not1_b32 vcc_lo, s39, exec_lo
	s_and_b32 s39, s40, exec_lo
	s_delay_alu instid0(SALU_CYCLE_1)
	s_or_b32 s39, vcc_lo, s39
	s_and_not1_b32 exec_lo, exec_lo, s38
	s_cbranch_execz .LBB4_2383
.LBB4_2377:                             ;   Parent Loop BB4_51 Depth=1
                                        ;     Parent Loop BB4_2341 Depth=2
                                        ; =>    This Inner Loop Header: Depth=3
	s_add_i32 s41, s41, 1
                                        ; implicit-def: $sgpr43
	s_delay_alu instid0(SALU_CYCLE_1) | instskip(SKIP_1) | instid1(SALU_CYCLE_1)
	s_cmpk_lg_i32 s41, 0x2710
	s_cselect_b32 s42, -1, 0
	s_and_b32 vcc_lo, exec_lo, s42
	s_cbranch_vccz .LBB4_2381
.LBB4_2378:                             ;   in Loop: Header=BB4_2377 Depth=3
	s_and_not1_b32 s40, s40, exec_lo
	s_and_b32 s43, s43, exec_lo
	s_mov_b32 vcc_lo, -1
	s_or_b32 s40, s40, s43
	s_and_saveexec_b32 s43, s42
	s_cbranch_execz .LBB4_2376
; %bb.2379:                             ;   in Loop: Header=BB4_2377 Depth=3
	s_sleep 1
	s_cbranch_execnz .LBB4_2964
; %bb.2380:                             ;   in Loop: Header=BB4_2377 Depth=3
	ds_load_b64 v[12:13], v0
	s_and_not1_b32 s40, s40, exec_lo
	s_waitcnt lgkmcnt(0)
	v_cmp_ge_u64_e32 vcc_lo, v[12:13], v[48:49]
	s_or_not1_b32 vcc_lo, vcc_lo, exec_lo
	s_branch .LBB4_2376
.LBB4_2381:                             ;   in Loop: Header=BB4_2377 Depth=3
	s_cbranch_execnz .LBB4_2980
; %bb.2382:                             ;   in Loop: Header=BB4_2377 Depth=3
	ds_load_b64 v[12:13], v0
	s_and_not1_b32 s42, s42, exec_lo
	s_mov_b32 s41, 0
	s_mov_b32 s43, -1
	s_waitcnt lgkmcnt(0)
	flat_load_b32 v2, v[12:13] glc
	s_waitcnt vmcnt(0) lgkmcnt(0)
	buffer_gl1_inv
	buffer_gl0_inv
	v_cmp_eq_u32_e32 vcc_lo, 0, v2
	s_and_b32 vcc_lo, vcc_lo, exec_lo
	s_delay_alu instid0(SALU_CYCLE_1)
	s_or_b32 s42, s42, vcc_lo
	s_branch .LBB4_2378
.LBB4_2383:                             ;   in Loop: Header=BB4_2341 Depth=2
	s_or_b32 exec_lo, exec_lo, s38
	s_and_saveexec_b32 vcc_lo, s39
	s_delay_alu instid0(SALU_CYCLE_1)
	s_xor_b32 vcc_lo, exec_lo, vcc_lo
	s_cbranch_execz .LBB4_2385
; %bb.2384:                             ;   in Loop: Header=BB4_2341 Depth=2
	ds_store_b32 v0, v148
	s_cbranch_execnz .LBB4_3100
.LBB4_2385:                             ;   in Loop: Header=BB4_2341 Depth=2
	s_or_b32 exec_lo, exec_lo, s37
	;;#ASMSTART
	s_wakeup
	;;#ASMEND
.LBB4_2386:                             ;   in Loop: Header=BB4_2341 Depth=2
	s_or_b32 exec_lo, exec_lo, s36
.LBB4_2387:                             ;   in Loop: Header=BB4_2341 Depth=2
	s_and_not1_saveexec_b32 s14, s14
	s_cbranch_execz .LBB4_2389
; %bb.2388:                             ;   in Loop: Header=BB4_2341 Depth=2
	s_waitcnt lgkmcnt(0)
	s_waitcnt_vscnt null, 0x0
	buffer_gl1_inv
	buffer_gl0_inv
	s_barrier
.LBB4_2389:                             ;   in Loop: Header=BB4_2341 Depth=2
	s_or_b32 exec_lo, exec_lo, s14
.LBB4_2390:                             ;   in Loop: Header=BB4_2341 Depth=2
	s_delay_alu instid0(SALU_CYCLE_1)
	s_or_b32 exec_lo, exec_lo, s13
	s_cbranch_execnz .LBB4_2750
; %bb.2391:                             ;   in Loop: Header=BB4_2341 Depth=2
	ds_load_b32 v12, v0
	v_and_b32_e32 v2, 0x4000, v30
	s_xor_b32 s13, s2, -1
	s_delay_alu instid0(VALU_DEP_1) | instskip(SKIP_1) | instid1(SALU_CYCLE_1)
	v_cmp_ne_u32_e32 vcc_lo, 0, v2
	s_and_b32 s14, s13, vcc_lo
	s_and_saveexec_b32 s13, s14
	s_cbranch_execz .LBB4_2413
; %bb.2392:                             ;   in Loop: Header=BB4_2341 Depth=2
	s_and_saveexec_b32 s14, s4
	s_delay_alu instid0(SALU_CYCLE_1)
	s_xor_b32 s14, exec_lo, s14
	s_cbranch_execz .LBB4_2410
; %bb.2393:                             ;   in Loop: Header=BB4_2341 Depth=2
	s_and_saveexec_b32 s36, s1
	s_cbranch_execz .LBB4_2409
; %bb.2394:                             ;   in Loop: Header=BB4_2341 Depth=2
	s_mov_b32 s38, exec_lo
	s_mov_b32 s37, exec_lo
	v_mbcnt_lo_u32_b32 v2, s38, 0
	s_waitcnt lgkmcnt(0)
	s_waitcnt_vscnt null, 0x0
	buffer_gl1_inv
	buffer_gl0_inv
	v_cmpx_eq_u32_e32 0, v2
	s_cbranch_execz .LBB4_2396
; %bb.2395:                             ;   in Loop: Header=BB4_2341 Depth=2
	s_bcnt1_i32_b32 vcc_lo, s38
	s_delay_alu instid0(SALU_CYCLE_1)
	v_mov_b32_e32 v2, vcc_lo
	ds_add_u64 v0, v[2:3]
	s_cbranch_execnz .LBB4_2952
.LBB4_2396:                             ;   in Loop: Header=BB4_2341 Depth=2
	s_or_b32 exec_lo, exec_lo, s37
	s_cbranch_execnz .LBB4_2934
; %bb.2397:                             ;   in Loop: Header=BB4_2341 Depth=2
	ds_load_b64 v[13:14], v0
	v_add_co_u32 v48, vcc_lo, v48, v113
	v_add_co_ci_u32_e32 v49, vcc_lo, 0, v49, vcc_lo
	s_mov_b32 s37, exec_lo
	s_waitcnt lgkmcnt(0)
	s_delay_alu instid0(VALU_DEP_1)
	v_cmpx_lt_u64_e64 v[13:14], v[48:49]
	s_cbranch_execz .LBB4_2408
; %bb.2398:                             ;   in Loop: Header=BB4_2341 Depth=2
	s_mov_b32 s38, 0
	s_mov_b32 s41, 0
                                        ; implicit-def: $sgpr39
                                        ; implicit-def: $sgpr40
	s_branch .LBB4_2400
.LBB4_2399:                             ;   in Loop: Header=BB4_2400 Depth=3
	s_or_b32 exec_lo, exec_lo, s43
	s_delay_alu instid0(SALU_CYCLE_1) | instskip(NEXT) | instid1(SALU_CYCLE_1)
	s_and_b32 vcc_lo, exec_lo, vcc_lo
	s_or_b32 s38, vcc_lo, s38
	s_and_not1_b32 vcc_lo, s39, exec_lo
	s_and_b32 s39, s40, exec_lo
	s_delay_alu instid0(SALU_CYCLE_1)
	s_or_b32 s39, vcc_lo, s39
	s_and_not1_b32 exec_lo, exec_lo, s38
	s_cbranch_execz .LBB4_2406
.LBB4_2400:                             ;   Parent Loop BB4_51 Depth=1
                                        ;     Parent Loop BB4_2341 Depth=2
                                        ; =>    This Inner Loop Header: Depth=3
	s_add_i32 s41, s41, 1
                                        ; implicit-def: $sgpr43
	s_delay_alu instid0(SALU_CYCLE_1) | instskip(SKIP_1) | instid1(SALU_CYCLE_1)
	s_cmpk_lg_i32 s41, 0x2710
	s_cselect_b32 s42, -1, 0
	s_and_b32 vcc_lo, exec_lo, s42
	s_cbranch_vccz .LBB4_2404
.LBB4_2401:                             ;   in Loop: Header=BB4_2400 Depth=3
	s_and_not1_b32 s40, s40, exec_lo
	s_and_b32 s43, s43, exec_lo
	s_mov_b32 vcc_lo, -1
	s_or_b32 s40, s40, s43
	s_and_saveexec_b32 s43, s42
	s_cbranch_execz .LBB4_2399
; %bb.2402:                             ;   in Loop: Header=BB4_2400 Depth=3
	s_sleep 1
	s_cbranch_execnz .LBB4_3018
; %bb.2403:                             ;   in Loop: Header=BB4_2400 Depth=3
	ds_load_b64 v[13:14], v0
	s_and_not1_b32 s40, s40, exec_lo
	s_waitcnt lgkmcnt(0)
	v_cmp_ge_u64_e32 vcc_lo, v[13:14], v[48:49]
	s_or_not1_b32 vcc_lo, vcc_lo, exec_lo
	s_branch .LBB4_2399
.LBB4_2404:                             ;   in Loop: Header=BB4_2400 Depth=3
	s_cbranch_execnz .LBB4_3030
; %bb.2405:                             ;   in Loop: Header=BB4_2400 Depth=3
	ds_load_b64 v[13:14], v0
	s_and_not1_b32 s42, s42, exec_lo
	s_mov_b32 s41, 0
	s_mov_b32 s43, -1
	s_waitcnt lgkmcnt(0)
	flat_load_b32 v2, v[13:14] glc
	s_waitcnt vmcnt(0) lgkmcnt(0)
	buffer_gl1_inv
	buffer_gl0_inv
	v_cmp_eq_u32_e32 vcc_lo, 0, v2
	s_and_b32 vcc_lo, vcc_lo, exec_lo
	s_delay_alu instid0(SALU_CYCLE_1)
	s_or_b32 s42, s42, vcc_lo
	s_branch .LBB4_2401
.LBB4_2406:                             ;   in Loop: Header=BB4_2341 Depth=2
	s_or_b32 exec_lo, exec_lo, s38
	s_and_saveexec_b32 vcc_lo, s39
	s_delay_alu instid0(SALU_CYCLE_1)
	s_xor_b32 vcc_lo, exec_lo, vcc_lo
	s_cbranch_execz .LBB4_2408
; %bb.2407:                             ;   in Loop: Header=BB4_2341 Depth=2
	ds_store_b32 v0, v148
	s_cbranch_execnz .LBB4_3116
.LBB4_2408:                             ;   in Loop: Header=BB4_2341 Depth=2
	s_or_b32 exec_lo, exec_lo, s37
	;;#ASMSTART
	s_wakeup
	;;#ASMEND
.LBB4_2409:                             ;   in Loop: Header=BB4_2341 Depth=2
	s_or_b32 exec_lo, exec_lo, s36
.LBB4_2410:                             ;   in Loop: Header=BB4_2341 Depth=2
	s_and_not1_saveexec_b32 s14, s14
	s_cbranch_execz .LBB4_2412
; %bb.2411:                             ;   in Loop: Header=BB4_2341 Depth=2
	s_waitcnt lgkmcnt(0)
	s_waitcnt_vscnt null, 0x0
	buffer_gl1_inv
	buffer_gl0_inv
	s_barrier
.LBB4_2412:                             ;   in Loop: Header=BB4_2341 Depth=2
	s_or_b32 exec_lo, exec_lo, s14
.LBB4_2413:                             ;   in Loop: Header=BB4_2341 Depth=2
	s_delay_alu instid0(SALU_CYCLE_1)
	s_or_b32 exec_lo, exec_lo, s13
	s_cbranch_execnz .LBB4_2808
; %bb.2414:                             ;   in Loop: Header=BB4_2341 Depth=2
	ds_load_b64 v[13:14], v0
	v_sub_nc_u32_e32 v2, v16, v8
	v_mov_b32_e32 v9, 0
	s_delay_alu instid0(VALU_DEP_2) | instskip(SKIP_3) | instid1(SALU_CYCLE_1)
	v_min_i32_e32 v17, v17, v2
	s_waitcnt lgkmcnt(0)
	v_cmp_eq_u64_e32 vcc_lo, 0, v[13:14]
	s_or_b32 s13, vcc_lo, vcc_lo
	s_and_b32 vcc_lo, exec_lo, s13
	s_cbranch_vccnz .LBB4_2449
; %bb.2415:                             ;   in Loop: Header=BB4_2341 Depth=2
	s_mov_b32 s13, -1
	s_and_saveexec_b32 s14, s6
	s_cbranch_execz .LBB4_2417
; %bb.2416:                             ;   in Loop: Header=BB4_2341 Depth=2
	ds_load_b32 v2, v0 offset:720
	s_waitcnt lgkmcnt(0)
	v_and_b32_e32 v2, 15, v2
	s_delay_alu instid0(VALU_DEP_1)
	v_cmp_eq_u32_e32 vcc_lo, 0, v2
	s_or_not1_b32 s13, vcc_lo, exec_lo
.LBB4_2417:                             ;   in Loop: Header=BB4_2341 Depth=2
	s_or_b32 exec_lo, exec_lo, s14
	s_and_saveexec_b32 s14, s5
	s_cbranch_execz .LBB4_2419
; %bb.2418:                             ;   in Loop: Header=BB4_2341 Depth=2
	ds_load_b32 v2, v0 offset:784
	s_waitcnt lgkmcnt(0)
	v_and_b32_e32 v2, 15, v2
	s_delay_alu instid0(VALU_DEP_1) | instskip(SKIP_3) | instid1(SALU_CYCLE_1)
	v_cmp_eq_u32_e32 vcc_lo, 0, v2
	s_and_b32 vcc_lo, s13, vcc_lo
	s_and_not1_b32 s13, s13, exec_lo
	s_and_b32 vcc_lo, vcc_lo, exec_lo
	s_or_b32 s13, s13, vcc_lo
.LBB4_2419:                             ;   in Loop: Header=BB4_2341 Depth=2
	s_or_b32 exec_lo, exec_lo, s14
	v_cmp_eq_u32_e32 vcc_lo, 0, v12
	s_xor_b32 s13, s13, -1
	v_mov_b32_e32 v18, 0
	v_cndmask_b32_e64 v2, 0, 1, s13
	;;#ASMSTART
	;;#ASMEND
	v_cndmask_b32_e32 v9, 0, v17, vcc_lo
	s_delay_alu instid0(VALU_DEP_2) | instskip(SKIP_1) | instid1(VALU_DEP_2)
	v_cmp_ne_u32_e32 vcc_lo, 0, v2
	s_mov_b32 s13, -1
	v_lshlrev_b32_e32 v2, 1, v9
	s_cbranch_vccz .LBB4_2421
; %bb.2420:                             ;   in Loop: Header=BB4_2341 Depth=2
	v_dual_mov_b32 v19, v0 :: v_dual_mov_b32 v22, v103
	s_branch .LBB4_2436
.LBB4_2421:                             ;   in Loop: Header=BB4_2341 Depth=2
	s_delay_alu instid0(VALU_DEP_1) | instskip(SKIP_1) | instid1(VALU_DEP_1)
	v_ashrrev_i32_e32 v12, 31, v2
	s_mov_b32 s14, exec_lo
	v_lshrrev_b32_e32 v12, 21, v12
	s_delay_alu instid0(VALU_DEP_1) | instskip(NEXT) | instid1(VALU_DEP_1)
	v_add_nc_u32_e32 v12, v2, v12
	v_ashrrev_i32_e32 v18, 11, v12
	s_delay_alu instid0(VALU_DEP_1) | instskip(NEXT) | instid1(VALU_DEP_1)
	v_sub_nc_u32_e32 v20, v18, v103
	v_cmpx_lt_i32_e32 0, v20
	s_cbranch_execz .LBB4_2426
; %bb.2422:                             ;   in Loop: Header=BB4_2341 Depth=2
	s_cbranch_execnz .LBB4_2986
; %bb.2423:                             ;   in Loop: Header=BB4_2341 Depth=2
	ds_load_b64 v[12:13], v0
	s_mov_b32 s36, 0
	s_waitcnt lgkmcnt(0)
	v_dual_mov_b32 v15, v13 :: v_dual_mov_b32 v14, v12
	s_set_inst_prefetch_distance 0x1
.LBB4_2424:                             ;   Parent Loop BB4_51 Depth=1
                                        ;     Parent Loop BB4_2341 Depth=2
                                        ; =>    This Inner Loop Header: Depth=3
	s_delay_alu instid0(VALU_DEP_1) | instskip(NEXT) | instid1(VALU_DEP_2)
	v_add_co_u32 v21, vcc_lo, v114, v14
	v_add_co_ci_u32_e32 v22, vcc_lo, v116, v15, vcc_lo
	v_sub_nc_u32_e32 v20, v20, v113
	s_clause 0x3
	global_load_b128 v[66:69], v[21:22], off slc dlc
	global_load_b128 v[80:83], v[21:22], off offset:512 slc dlc
	global_load_b128 v[84:87], v[21:22], off offset:1024 slc dlc
	;; [unrolled: 1-line block ×3, first 2 shown]
	v_add_co_u32 v21, vcc_lo, v114, v12
	v_add_co_ci_u32_e32 v22, vcc_lo, v116, v13, vcc_lo
	v_add_co_u32 v14, vcc_lo, v14, v119
	v_add_co_ci_u32_e32 v15, vcc_lo, v15, v128, vcc_lo
	v_add_co_u32 v12, vcc_lo, v12, v119
	v_cmp_gt_i32_e64 s13, 1, v20
	v_add_co_ci_u32_e32 v13, vcc_lo, v13, v128, vcc_lo
	s_waitcnt vmcnt(3)
	global_store_b128 v[21:22], v[66:69], off glc slc dlc
	s_waitcnt vmcnt(2)
	global_store_b128 v[21:22], v[80:83], off offset:512 glc slc dlc
	s_waitcnt vmcnt(1)
	global_store_b128 v[21:22], v[84:87], off offset:1024 glc slc dlc
	;; [unrolled: 2-line block ×3, first 2 shown]
	s_or_b32 s36, s13, s36
	s_delay_alu instid0(SALU_CYCLE_1)
	s_and_not1_b32 exec_lo, exec_lo, s36
	s_cbranch_execnz .LBB4_2424
; %bb.2425:                             ;   in Loop: Header=BB4_2341 Depth=2
	s_set_inst_prefetch_distance 0x2
	s_or_b32 exec_lo, exec_lo, s36
.LBB4_2426:                             ;   in Loop: Header=BB4_2341 Depth=2
	s_delay_alu instid0(SALU_CYCLE_1) | instskip(SKIP_4) | instid1(VALU_DEP_2)
	s_or_b32 exec_lo, exec_lo, s14
	v_lshlrev_b32_e32 v14, 11, v18
	v_mov_b32_e32 v18, 0
	s_mov_b32 s13, 0
	s_mov_b32 s36, exec_lo
                                        ; implicit-def: $vgpr19
                                        ; implicit-def: $vgpr22
	v_cmpx_ne_u32_e64 v2, v14
	s_cbranch_execz .LBB4_2435
; %bb.2427:                             ;   in Loop: Header=BB4_2341 Depth=2
	v_lshlrev_b32_e32 v12, 5, v20
	v_sub_nc_u32_e32 v18, v2, v14
	s_mov_b32 s37, exec_lo
	s_delay_alu instid0(VALU_DEP_2) | instskip(NEXT) | instid1(VALU_DEP_2)
	v_sub_nc_u32_e32 v12, v112, v12
	v_ashrrev_i32_e32 v15, 31, v18
	s_delay_alu instid0(VALU_DEP_2) | instskip(NEXT) | instid1(VALU_DEP_2)
	v_ashrrev_i32_e32 v13, 31, v12
	v_lshrrev_b32_e32 v15, 23, v15
	s_delay_alu instid0(VALU_DEP_2) | instskip(NEXT) | instid1(VALU_DEP_2)
	v_lshrrev_b32_e32 v13, 27, v13
	v_add_nc_u32_e32 v22, v18, v15
	s_delay_alu instid0(VALU_DEP_2) | instskip(NEXT) | instid1(VALU_DEP_2)
	v_add_nc_u32_e32 v13, v12, v13
	v_and_b32_e32 v15, 0xfffffe00, v22
	v_ashrrev_i32_e32 v22, 9, v22
	s_delay_alu instid0(VALU_DEP_3) | instskip(NEXT) | instid1(VALU_DEP_3)
	v_and_b32_e32 v19, 0xffffffe0, v13
	v_sub_nc_u32_e32 v21, v18, v15
	s_delay_alu instid0(VALU_DEP_2) | instskip(SKIP_1) | instid1(VALU_DEP_3)
	v_sub_nc_u32_e32 v20, v12, v19
	v_ashrrev_i32_e32 v12, 5, v13
	v_cmp_lt_i32_e32 vcc_lo, 15, v21
	s_delay_alu instid0(VALU_DEP_3) | instskip(NEXT) | instid1(VALU_DEP_1)
	v_lshlrev_b32_e32 v13, 4, v20
	v_lshl_add_u32 v19, v12, 9, v13
	v_add_co_ci_u32_e64 v13, s13, 0, v22, vcc_lo
	s_delay_alu instid0(VALU_DEP_2) | instskip(NEXT) | instid1(VALU_DEP_2)
	v_sub_nc_u32_e32 v18, v18, v19
	v_sub_nc_u32_e32 v23, v13, v12
	s_delay_alu instid0(VALU_DEP_2)
	v_cmpx_lt_i32_e32 15, v18
	s_cbranch_execz .LBB4_2432
; %bb.2428:                             ;   in Loop: Header=BB4_2341 Depth=2
	s_cbranch_execnz .LBB4_3042
; %bb.2429:                             ;   in Loop: Header=BB4_2341 Depth=2
	ds_load_b64 v[12:13], v0
	v_add_nc_u32_e32 v19, v19, v14
	s_mov_b32 s38, 0
	s_delay_alu instid0(VALU_DEP_1)
	v_ashrrev_i32_e32 v22, 31, v19
.LBB4_2430:                             ;   Parent Loop BB4_51 Depth=1
                                        ;     Parent Loop BB4_2341 Depth=2
                                        ; =>    This Inner Loop Header: Depth=3
	s_waitcnt lgkmcnt(0)
	v_add_co_u32 v70, s13, v12, v19
	s_delay_alu instid0(VALU_DEP_1)
	v_add_co_ci_u32_e64 v71, s13, v13, v22, s13
	v_sub_nc_u32_e32 v18, v18, v115
	v_add_co_u32 v19, s14, v19, v131
	global_load_b128 v[66:69], v[70:71], off slc dlc
	v_sub_nc_u32_e32 v23, v23, v113
	v_cmp_gt_i32_e64 s13, 16, v18
	v_add_co_ci_u32_e64 v22, s14, v22, v132, s14
	s_delay_alu instid0(VALU_DEP_2)
	s_or_b32 s38, s13, s38
	s_waitcnt vmcnt(0)
	global_store_b128 v[70:71], v[66:69], off glc slc dlc
	s_and_not1_b32 exec_lo, exec_lo, s38
	s_cbranch_execnz .LBB4_2430
; %bb.2431:                             ;   in Loop: Header=BB4_2341 Depth=2
	s_or_b32 exec_lo, exec_lo, s38
.LBB4_2432:                             ;   in Loop: Header=BB4_2341 Depth=2
	s_delay_alu instid0(SALU_CYCLE_1) | instskip(SKIP_4) | instid1(VALU_DEP_2)
	s_or_b32 exec_lo, exec_lo, s37
	v_and_b32_e32 v12, 14, v2
	v_mov_b32_e32 v18, 0
	s_mov_b32 s14, 0
	s_mov_b32 s37, exec_lo
                                        ; implicit-def: $vgpr19
                                        ; implicit-def: $vgpr22
	v_cndmask_b32_e32 v2, v21, v12, vcc_lo
	s_delay_alu instid0(VALU_DEP_1)
	v_cmpx_ne_u32_e32 0, v2
; %bb.2433:                             ;   in Loop: Header=BB4_2341 Depth=2
	v_cmp_lt_i32_e64 s13, 0, v23
	v_sub_nc_u32_e32 v12, v21, v12
	s_mov_b32 s14, exec_lo
	s_delay_alu instid0(VALU_DEP_2) | instskip(NEXT) | instid1(VALU_DEP_1)
	v_cndmask_b32_e64 v13, 0, v113, s13
	v_sub_nc_u32_e32 v13, v13, v23
	s_delay_alu instid0(VALU_DEP_1) | instskip(NEXT) | instid1(VALU_DEP_1)
	v_lshl_add_u32 v19, v13, 5, v20
	v_ashrrev_i32_e32 v13, 31, v19
	s_delay_alu instid0(VALU_DEP_1) | instskip(NEXT) | instid1(VALU_DEP_1)
	v_lshrrev_b32_e32 v13, 27, v13
	v_dual_cndmask_b32 v12, 0, v12 :: v_dual_add_nc_u32 v13, v19, v13
	s_delay_alu instid0(VALU_DEP_1) | instskip(NEXT) | instid1(VALU_DEP_2)
	v_add3_u32 v18, v15, v14, v12
	v_ashrrev_i32_e32 v22, 5, v13
; %bb.2434:                             ;   in Loop: Header=BB4_2341 Depth=2
	s_or_b32 exec_lo, exec_lo, s37
	s_delay_alu instid0(SALU_CYCLE_1)
	s_and_b32 s13, s14, exec_lo
.LBB4_2435:                             ;   in Loop: Header=BB4_2341 Depth=2
	s_or_b32 exec_lo, exec_lo, s36
.LBB4_2436:                             ;   in Loop: Header=BB4_2341 Depth=2
	s_and_saveexec_b32 s14, s13
	s_cbranch_execz .LBB4_2448
; %bb.2437:                             ;   in Loop: Header=BB4_2341 Depth=2
	v_ashrrev_i32_e32 v12, 31, v2
	s_mov_b32 s13, exec_lo
	s_delay_alu instid0(VALU_DEP_1) | instskip(NEXT) | instid1(VALU_DEP_1)
	v_lshrrev_b32_e32 v12, 23, v12
	v_add_nc_u32_e32 v12, v2, v12
	s_delay_alu instid0(VALU_DEP_1) | instskip(NEXT) | instid1(VALU_DEP_1)
	v_ashrrev_i32_e32 v21, 9, v12
	v_sub_nc_u32_e32 v20, v21, v22
	s_delay_alu instid0(VALU_DEP_1)
	v_cmpx_lt_i32_e32 0, v20
	s_cbranch_execz .LBB4_2442
; %bb.2438:                             ;   in Loop: Header=BB4_2341 Depth=2
	s_cbranch_execnz .LBB4_2976
; %bb.2439:                             ;   in Loop: Header=BB4_2341 Depth=2
	v_ashrrev_i32_e32 v12, 31, v19
	s_mov_b32 s36, 0
	s_delay_alu instid0(VALU_DEP_1) | instskip(NEXT) | instid1(VALU_DEP_1)
	v_lshrrev_b32_e32 v12, 27, v12
	v_add_nc_u32_e32 v12, v19, v12
	s_delay_alu instid0(VALU_DEP_1) | instskip(SKIP_3) | instid1(VALU_DEP_1)
	v_and_b32_e32 v14, 0x7fffffe0, v12
	ds_load_b64 v[12:13], v0
	v_lshlrev_b32_e32 v15, 9, v22
	v_sub_nc_u32_e32 v14, v19, v14
	v_lshlrev_b32_e32 v14, 1, v14
	s_delay_alu instid0(VALU_DEP_1) | instskip(NEXT) | instid1(VALU_DEP_1)
	v_add3_u32 v22, v14, v18, v15
	v_ashrrev_i32_e32 v23, 31, v22
	s_waitcnt lgkmcnt(0)
	v_dual_mov_b32 v15, v13 :: v_dual_mov_b32 v14, v12
.LBB4_2440:                             ;   Parent Loop BB4_51 Depth=1
                                        ;     Parent Loop BB4_2341 Depth=2
                                        ; =>    This Inner Loop Header: Depth=3
	s_delay_alu instid0(VALU_DEP_1) | instskip(NEXT) | instid1(VALU_DEP_2)
	v_add_co_u32 v66, vcc_lo, v22, v14
	v_add_co_ci_u32_e32 v67, vcc_lo, v23, v15, vcc_lo
	v_sub_nc_u32_e32 v20, v20, v113
	s_clause 0x7
	flat_load_u16 v68, v[66:67] slc dlc
	flat_load_u16 v69, v[66:67] offset:64 slc dlc
	flat_load_u16 v70, v[66:67] offset:128 slc dlc
	;; [unrolled: 1-line block ×7, first 2 shown]
	v_add_co_u32 v66, vcc_lo, v22, v12
	v_add_co_ci_u32_e32 v67, vcc_lo, v23, v13, vcc_lo
	v_add_co_u32 v14, vcc_lo, v14, v131
	v_add_co_ci_u32_e32 v15, vcc_lo, v15, v132, vcc_lo
	v_add_co_u32 v12, vcc_lo, v12, v131
	v_add_co_ci_u32_e32 v13, vcc_lo, v13, v132, vcc_lo
	v_cmp_gt_i32_e32 vcc_lo, 1, v20
	s_waitcnt vmcnt(7) lgkmcnt(7)
	flat_store_b16 v[66:67], v68 glc slc dlc
	s_waitcnt vmcnt(6) lgkmcnt(7)
	flat_store_b16 v[66:67], v69 offset:64 glc slc dlc
	s_waitcnt vmcnt(5) lgkmcnt(7)
	flat_store_b16 v[66:67], v70 offset:128 glc slc dlc
	;; [unrolled: 2-line block ×7, first 2 shown]
	s_or_b32 s36, vcc_lo, s36
	s_delay_alu instid0(SALU_CYCLE_1)
	s_and_not1_b32 exec_lo, exec_lo, s36
	s_cbranch_execnz .LBB4_2440
; %bb.2441:                             ;   in Loop: Header=BB4_2341 Depth=2
	s_or_b32 exec_lo, exec_lo, s36
.LBB4_2442:                             ;   in Loop: Header=BB4_2341 Depth=2
	s_delay_alu instid0(SALU_CYCLE_1) | instskip(SKIP_2) | instid1(VALU_DEP_1)
	s_or_b32 exec_lo, exec_lo, s13
	v_lshlrev_b32_e32 v12, 9, v21
	s_mov_b32 s36, exec_lo
	v_cmpx_ne_u32_e64 v2, v12
	s_cbranch_execz .LBB4_2447
; %bb.2443:                             ;   in Loop: Header=BB4_2341 Depth=2
	v_ashrrev_i32_e32 v13, 31, v19
	v_lshlrev_b32_e32 v14, 5, v20
	s_delay_alu instid0(VALU_DEP_2) | instskip(NEXT) | instid1(VALU_DEP_1)
	v_lshrrev_b32_e32 v13, 27, v13
	v_add_nc_u32_e32 v13, v19, v13
	s_delay_alu instid0(VALU_DEP_1) | instskip(NEXT) | instid1(VALU_DEP_1)
	v_and_b32_e32 v13, 0xffffffe0, v13
	v_sub_nc_u32_e32 v13, v19, v13
	s_delay_alu instid0(VALU_DEP_1) | instskip(NEXT) | instid1(VALU_DEP_1)
	v_sub_nc_u32_e32 v13, v13, v14
	v_ashrrev_i32_e32 v14, 31, v13
	s_delay_alu instid0(VALU_DEP_1) | instskip(NEXT) | instid1(VALU_DEP_1)
	v_lshrrev_b32_e32 v14, 27, v14
	v_add_nc_u32_e32 v14, v13, v14
	s_delay_alu instid0(VALU_DEP_1) | instskip(SKIP_1) | instid1(VALU_DEP_2)
	v_and_b32_e32 v15, 0x7fffffe0, v14
	v_lshlrev_b32_e32 v14, 1, v14
	v_sub_nc_u32_e32 v13, v13, v15
	s_delay_alu instid0(VALU_DEP_2) | instskip(NEXT) | instid1(VALU_DEP_2)
	v_and_b32_e32 v14, 0xffffffc0, v14
	v_lshlrev_b32_e32 v13, 1, v13
	s_delay_alu instid0(VALU_DEP_1) | instskip(NEXT) | instid1(VALU_DEP_1)
	v_add3_u32 v14, v14, v13, v12
	v_sub_nc_u32_e32 v2, v2, v14
	s_delay_alu instid0(VALU_DEP_1)
	v_cmp_lt_i32_e32 vcc_lo, 1, v2
	s_and_b32 exec_lo, exec_lo, vcc_lo
	s_cbranch_execz .LBB4_2447
; %bb.2444:                             ;   in Loop: Header=BB4_2341 Depth=2
	s_cbranch_execnz .LBB4_3036
; %bb.2445:                             ;   in Loop: Header=BB4_2341 Depth=2
	ds_load_b64 v[12:13], v0
	v_add_nc_u32_e32 v14, v14, v18
	s_mov_b32 s37, 0
	s_delay_alu instid0(VALU_DEP_1)
	v_ashrrev_i32_e32 v15, 31, v14
.LBB4_2446:                             ;   Parent Loop BB4_51 Depth=1
                                        ;     Parent Loop BB4_2341 Depth=2
                                        ; =>    This Inner Loop Header: Depth=3
	s_waitcnt lgkmcnt(0)
	v_add_co_u32 v18, vcc_lo, v12, v14
	s_delay_alu instid0(VALU_DEP_2)
	v_add_co_ci_u32_e32 v19, vcc_lo, v13, v15, vcc_lo
	v_sub_nc_u32_e32 v2, v2, v118
	v_add_co_u32 v14, s13, v14, v134
	flat_load_u16 v20, v[18:19] slc dlc
	v_add_co_ci_u32_e64 v15, s13, v15, v135, s13
	v_cmp_gt_i32_e32 vcc_lo, 2, v2
	s_or_b32 s37, vcc_lo, s37
	s_waitcnt vmcnt(0) lgkmcnt(0)
	flat_store_b16 v[18:19], v20 glc slc dlc
	s_and_not1_b32 exec_lo, exec_lo, s37
	s_cbranch_execnz .LBB4_2446
.LBB4_2447:                             ;   in Loop: Header=BB4_2341 Depth=2
	s_or_b32 exec_lo, exec_lo, s36
.LBB4_2448:                             ;   in Loop: Header=BB4_2341 Depth=2
	s_delay_alu instid0(SALU_CYCLE_1)
	s_or_b32 exec_lo, exec_lo, s14
.LBB4_2449:                             ;   in Loop: Header=BB4_2341 Depth=2
	s_and_saveexec_b32 s13, s3
	s_cbranch_execz .LBB4_2471
; %bb.2450:                             ;   in Loop: Header=BB4_2341 Depth=2
	s_and_saveexec_b32 s14, s4
	s_delay_alu instid0(SALU_CYCLE_1)
	s_xor_b32 s14, exec_lo, s14
	s_cbranch_execz .LBB4_2468
; %bb.2451:                             ;   in Loop: Header=BB4_2341 Depth=2
	s_and_saveexec_b32 s36, s1
	s_cbranch_execz .LBB4_2467
; %bb.2452:                             ;   in Loop: Header=BB4_2341 Depth=2
	s_mov_b32 s38, exec_lo
	s_mov_b32 s37, exec_lo
	v_mbcnt_lo_u32_b32 v2, s38, 0
	s_waitcnt lgkmcnt(0)
	s_waitcnt_vscnt null, 0x0
	buffer_gl1_inv
	buffer_gl0_inv
	v_cmpx_eq_u32_e32 0, v2
	s_cbranch_execz .LBB4_2454
; %bb.2453:                             ;   in Loop: Header=BB4_2341 Depth=2
	s_bcnt1_i32_b32 vcc_lo, s38
	s_delay_alu instid0(SALU_CYCLE_1)
	v_mov_b32_e32 v2, vcc_lo
	ds_add_u64 v0, v[2:3]
	s_cbranch_execnz .LBB4_3022
.LBB4_2454:                             ;   in Loop: Header=BB4_2341 Depth=2
	s_or_b32 exec_lo, exec_lo, s37
	s_cbranch_execnz .LBB4_2996
; %bb.2455:                             ;   in Loop: Header=BB4_2341 Depth=2
	ds_load_b64 v[12:13], v0
	v_add_co_u32 v48, vcc_lo, v48, v113
	v_add_co_ci_u32_e32 v49, vcc_lo, 0, v49, vcc_lo
	s_mov_b32 s37, exec_lo
	s_waitcnt lgkmcnt(0)
	s_delay_alu instid0(VALU_DEP_1)
	v_cmpx_lt_u64_e64 v[12:13], v[48:49]
	s_cbranch_execz .LBB4_2466
; %bb.2456:                             ;   in Loop: Header=BB4_2341 Depth=2
	s_mov_b32 s38, 0
	s_mov_b32 s41, 0
                                        ; implicit-def: $sgpr39
                                        ; implicit-def: $sgpr40
	s_branch .LBB4_2458
.LBB4_2457:                             ;   in Loop: Header=BB4_2458 Depth=3
	s_or_b32 exec_lo, exec_lo, s43
	s_delay_alu instid0(SALU_CYCLE_1) | instskip(NEXT) | instid1(SALU_CYCLE_1)
	s_and_b32 vcc_lo, exec_lo, vcc_lo
	s_or_b32 s38, vcc_lo, s38
	s_and_not1_b32 vcc_lo, s39, exec_lo
	s_and_b32 s39, s40, exec_lo
	s_delay_alu instid0(SALU_CYCLE_1)
	s_or_b32 s39, vcc_lo, s39
	s_and_not1_b32 exec_lo, exec_lo, s38
	s_cbranch_execz .LBB4_2464
.LBB4_2458:                             ;   Parent Loop BB4_51 Depth=1
                                        ;     Parent Loop BB4_2341 Depth=2
                                        ; =>    This Inner Loop Header: Depth=3
	s_add_i32 s41, s41, 1
                                        ; implicit-def: $sgpr43
	s_delay_alu instid0(SALU_CYCLE_1) | instskip(SKIP_1) | instid1(SALU_CYCLE_1)
	s_cmpk_lg_i32 s41, 0x2710
	s_cselect_b32 s42, -1, 0
	s_and_b32 vcc_lo, exec_lo, s42
	s_cbranch_vccnz .LBB4_2461
; %bb.2459:                             ;   in Loop: Header=BB4_2458 Depth=3
	s_cbranch_execnz .LBB4_3066
; %bb.2460:                             ;   in Loop: Header=BB4_2458 Depth=3
	ds_load_b64 v[12:13], v0
	s_and_not1_b32 s42, s42, exec_lo
	s_mov_b32 s41, 0
	s_mov_b32 s43, -1
	s_waitcnt lgkmcnt(0)
	flat_load_b32 v2, v[12:13] glc
	s_waitcnt vmcnt(0) lgkmcnt(0)
	buffer_gl1_inv
	buffer_gl0_inv
	v_cmp_eq_u32_e32 vcc_lo, 0, v2
	s_and_b32 vcc_lo, vcc_lo, exec_lo
	s_delay_alu instid0(SALU_CYCLE_1)
	s_or_b32 s42, s42, vcc_lo
.LBB4_2461:                             ;   in Loop: Header=BB4_2458 Depth=3
	s_and_not1_b32 s40, s40, exec_lo
	s_and_b32 s43, s43, exec_lo
	s_mov_b32 vcc_lo, -1
	s_or_b32 s40, s40, s43
	s_and_saveexec_b32 s43, s42
	s_cbranch_execz .LBB4_2457
; %bb.2462:                             ;   in Loop: Header=BB4_2458 Depth=3
	s_sleep 1
	s_cbranch_execnz .LBB4_3054
; %bb.2463:                             ;   in Loop: Header=BB4_2458 Depth=3
	ds_load_b64 v[12:13], v0
	s_and_not1_b32 s40, s40, exec_lo
	s_waitcnt lgkmcnt(0)
	v_cmp_ge_u64_e32 vcc_lo, v[12:13], v[48:49]
	s_or_not1_b32 vcc_lo, vcc_lo, exec_lo
	s_branch .LBB4_2457
.LBB4_2464:                             ;   in Loop: Header=BB4_2341 Depth=2
	s_or_b32 exec_lo, exec_lo, s38
	s_and_saveexec_b32 vcc_lo, s39
	s_delay_alu instid0(SALU_CYCLE_1)
	s_xor_b32 vcc_lo, exec_lo, vcc_lo
	s_cbranch_execz .LBB4_2466
; %bb.2465:                             ;   in Loop: Header=BB4_2341 Depth=2
	ds_store_b32 v0, v148
	s_cbranch_execnz .LBB4_3120
.LBB4_2466:                             ;   in Loop: Header=BB4_2341 Depth=2
	s_or_b32 exec_lo, exec_lo, s37
	;;#ASMSTART
	s_wakeup
	;;#ASMEND
.LBB4_2467:                             ;   in Loop: Header=BB4_2341 Depth=2
	s_or_b32 exec_lo, exec_lo, s36
.LBB4_2468:                             ;   in Loop: Header=BB4_2341 Depth=2
	s_and_not1_saveexec_b32 s14, s14
	s_cbranch_execz .LBB4_2470
; %bb.2469:                             ;   in Loop: Header=BB4_2341 Depth=2
	s_waitcnt lgkmcnt(0)
	s_waitcnt_vscnt null, 0x0
	buffer_gl1_inv
	buffer_gl0_inv
	s_barrier
.LBB4_2470:                             ;   in Loop: Header=BB4_2341 Depth=2
	s_or_b32 exec_lo, exec_lo, s14
.LBB4_2471:                             ;   in Loop: Header=BB4_2341 Depth=2
	s_delay_alu instid0(SALU_CYCLE_1) | instskip(SKIP_1) | instid1(SALU_CYCLE_1)
	s_or_b32 exec_lo, exec_lo, s13
	s_and_saveexec_b32 s13, s7
	s_xor_b32 s14, exec_lo, s13
	s_cbranch_execz .LBB4_2475
; %bb.2472:                             ;   in Loop: Header=BB4_2341 Depth=2
	v_and_b32_e32 v2, 16, v30
	v_cmp_lt_i32_e32 vcc_lo, 0, v9
	s_delay_alu instid0(VALU_DEP_2) | instskip(NEXT) | instid1(VALU_DEP_1)
	v_cmp_ne_u32_e64 s13, 0, v2
	s_and_b32 vcc_lo, s13, vcc_lo
	s_delay_alu instid0(SALU_CYCLE_1)
	s_and_saveexec_b32 s13, vcc_lo
	s_cbranch_execz .LBB4_2474
; %bb.2473:                             ;   in Loop: Header=BB4_2341 Depth=2
	s_waitcnt lgkmcnt(0)
	s_waitcnt_vscnt null, 0x0
	buffer_gl1_inv
	buffer_gl0_inv
.LBB4_2474:                             ;   in Loop: Header=BB4_2341 Depth=2
	s_or_b32 exec_lo, exec_lo, s13
.LBB4_2475:                             ;   in Loop: Header=BB4_2341 Depth=2
	s_and_not1_saveexec_b32 s13, s14
	s_cbranch_execz .LBB4_2497
; %bb.2476:                             ;   in Loop: Header=BB4_2341 Depth=2
	s_and_saveexec_b32 s14, s4
	s_delay_alu instid0(SALU_CYCLE_1)
	s_xor_b32 s14, exec_lo, s14
	s_cbranch_execz .LBB4_2494
; %bb.2477:                             ;   in Loop: Header=BB4_2341 Depth=2
	s_and_saveexec_b32 s36, s1
	s_cbranch_execz .LBB4_2493
; %bb.2478:                             ;   in Loop: Header=BB4_2341 Depth=2
	s_mov_b32 s38, exec_lo
	s_mov_b32 s37, exec_lo
	v_mbcnt_lo_u32_b32 v2, s38, 0
	;;#ASMSTART
	s_waitcnt lgkmcnt(0) vmcnt(0)
	;;#ASMEND
	s_delay_alu instid0(VALU_DEP_1)
	v_cmpx_eq_u32_e32 0, v2
	s_cbranch_execz .LBB4_2480
; %bb.2479:                             ;   in Loop: Header=BB4_2341 Depth=2
	s_bcnt1_i32_b32 vcc_lo, s38
	s_delay_alu instid0(SALU_CYCLE_1)
	v_mov_b32_e32 v2, vcc_lo
	ds_add_u64 v0, v[2:3]
	s_cbranch_execnz .LBB4_3026
.LBB4_2480:                             ;   in Loop: Header=BB4_2341 Depth=2
	s_or_b32 exec_lo, exec_lo, s37
	s_cbranch_execnz .LBB4_3006
; %bb.2481:                             ;   in Loop: Header=BB4_2341 Depth=2
	ds_load_b64 v[12:13], v0
	v_add_co_u32 v48, vcc_lo, v48, v113
	v_add_co_ci_u32_e32 v49, vcc_lo, 0, v49, vcc_lo
	s_mov_b32 s37, exec_lo
	s_waitcnt lgkmcnt(0)
	s_delay_alu instid0(VALU_DEP_1)
	v_cmpx_lt_u64_e64 v[12:13], v[48:49]
	s_cbranch_execz .LBB4_2492
; %bb.2482:                             ;   in Loop: Header=BB4_2341 Depth=2
	s_mov_b32 s38, 0
	s_mov_b32 s41, 0
                                        ; implicit-def: $sgpr39
                                        ; implicit-def: $sgpr40
	s_branch .LBB4_2484
.LBB4_2483:                             ;   in Loop: Header=BB4_2484 Depth=3
	s_or_b32 exec_lo, exec_lo, s43
	s_delay_alu instid0(SALU_CYCLE_1) | instskip(NEXT) | instid1(SALU_CYCLE_1)
	s_and_b32 vcc_lo, exec_lo, vcc_lo
	s_or_b32 s38, vcc_lo, s38
	s_and_not1_b32 vcc_lo, s39, exec_lo
	s_and_b32 s39, s40, exec_lo
	s_delay_alu instid0(SALU_CYCLE_1)
	s_or_b32 s39, vcc_lo, s39
	s_and_not1_b32 exec_lo, exec_lo, s38
	s_cbranch_execz .LBB4_2490
.LBB4_2484:                             ;   Parent Loop BB4_51 Depth=1
                                        ;     Parent Loop BB4_2341 Depth=2
                                        ; =>    This Inner Loop Header: Depth=3
	s_add_i32 s41, s41, 1
                                        ; implicit-def: $sgpr43
	s_delay_alu instid0(SALU_CYCLE_1) | instskip(SKIP_1) | instid1(SALU_CYCLE_1)
	s_cmpk_lg_i32 s41, 0x2710
	s_cselect_b32 s42, -1, 0
	s_and_b32 vcc_lo, exec_lo, s42
	s_cbranch_vccz .LBB4_2488
.LBB4_2485:                             ;   in Loop: Header=BB4_2484 Depth=3
	s_and_not1_b32 s40, s40, exec_lo
	s_and_b32 s43, s43, exec_lo
	s_mov_b32 vcc_lo, -1
	s_or_b32 s40, s40, s43
	s_and_saveexec_b32 s43, s42
	s_cbranch_execz .LBB4_2483
; %bb.2486:                             ;   in Loop: Header=BB4_2484 Depth=3
	s_sleep 1
	s_cbranch_execnz .LBB4_3060
; %bb.2487:                             ;   in Loop: Header=BB4_2484 Depth=3
	ds_load_b64 v[12:13], v0
	s_and_not1_b32 s40, s40, exec_lo
	s_waitcnt lgkmcnt(0)
	v_cmp_ge_u64_e32 vcc_lo, v[12:13], v[48:49]
	s_or_not1_b32 vcc_lo, vcc_lo, exec_lo
	s_branch .LBB4_2483
.LBB4_2488:                             ;   in Loop: Header=BB4_2484 Depth=3
	s_cbranch_execnz .LBB4_3074
; %bb.2489:                             ;   in Loop: Header=BB4_2484 Depth=3
	ds_load_b64 v[12:13], v0
	s_and_not1_b32 s42, s42, exec_lo
	s_mov_b32 s41, 0
	s_mov_b32 s43, -1
	s_waitcnt lgkmcnt(0)
	s_waitcnt_vscnt null, 0x0
	flat_load_b32 v2, v[12:13] glc
	s_waitcnt vmcnt(0) lgkmcnt(0)
	buffer_gl1_inv
	buffer_gl0_inv
	v_cmp_eq_u32_e32 vcc_lo, 0, v2
	s_and_b32 vcc_lo, vcc_lo, exec_lo
	s_delay_alu instid0(SALU_CYCLE_1)
	s_or_b32 s42, s42, vcc_lo
	s_branch .LBB4_2485
.LBB4_2490:                             ;   in Loop: Header=BB4_2341 Depth=2
	s_or_b32 exec_lo, exec_lo, s38
	s_and_saveexec_b32 vcc_lo, s39
	s_delay_alu instid0(SALU_CYCLE_1)
	s_xor_b32 vcc_lo, exec_lo, vcc_lo
	s_cbranch_execz .LBB4_2492
; %bb.2491:                             ;   in Loop: Header=BB4_2341 Depth=2
	ds_store_b32 v0, v148
	s_cbranch_execnz .LBB4_3122
.LBB4_2492:                             ;   in Loop: Header=BB4_2341 Depth=2
	s_or_b32 exec_lo, exec_lo, s37
	;;#ASMSTART
	s_wakeup
	;;#ASMEND
.LBB4_2493:                             ;   in Loop: Header=BB4_2341 Depth=2
	s_or_b32 exec_lo, exec_lo, s36
.LBB4_2494:                             ;   in Loop: Header=BB4_2341 Depth=2
	s_and_not1_saveexec_b32 s14, s14
	s_cbranch_execz .LBB4_2496
; %bb.2495:                             ;   in Loop: Header=BB4_2341 Depth=2
	;;#ASMSTART
	s_waitcnt lgkmcnt(0) vmcnt(0)
	;;#ASMEND
	s_waitcnt lgkmcnt(0)
	s_waitcnt_vscnt null, 0x0
	s_barrier
.LBB4_2496:                             ;   in Loop: Header=BB4_2341 Depth=2
	s_or_b32 exec_lo, exec_lo, s14
.LBB4_2497:                             ;   in Loop: Header=BB4_2341 Depth=2
	s_delay_alu instid0(SALU_CYCLE_1) | instskip(SKIP_2) | instid1(VALU_DEP_1)
	s_or_b32 exec_lo, exec_lo, s13
	v_and_b32_e32 v2, 32, v30
	s_mov_b32 s13, exec_lo
	v_cmpx_ne_u32_e32 0, v2
	s_cbranch_execz .LBB4_2499
; %bb.2498:                             ;   in Loop: Header=BB4_2341 Depth=2
	v_add_co_u32 v34, vcc_lo, v34, 2
	v_add_co_ci_u32_e32 v35, vcc_lo, 0, v35, vcc_lo
	s_waitcnt lgkmcnt(0)
	s_waitcnt_vscnt null, 0x0
	flat_store_b64 v[32:33], v[34:35]
.LBB4_2499:                             ;   in Loop: Header=BB4_2341 Depth=2
	s_or_b32 exec_lo, exec_lo, s13
	v_add_nc_u32_e32 v8, v17, v8
	s_xor_b32 s13, s34, -1
	v_mov_b32_e32 v2, s35
	s_mov_b32 s34, 0
	s_mov_b32 s35, 2
	v_cmp_ge_i32_e32 vcc_lo, v8, v16
	s_or_b32 s13, s13, vcc_lo
	s_delay_alu instid0(SALU_CYCLE_1) | instskip(NEXT) | instid1(SALU_CYCLE_1)
	s_and_b32 s13, exec_lo, s13
	s_or_b32 s31, s13, s31
	s_delay_alu instid0(SALU_CYCLE_1)
	s_and_not1_b32 exec_lo, exec_lo, s31
	s_cbranch_execnz .LBB4_2341
; %bb.2500:                             ;   in Loop: Header=BB4_51 Depth=1
	s_or_b32 exec_lo, exec_lo, s31
.LBB4_2501:                             ;   in Loop: Header=BB4_51 Depth=1
	s_delay_alu instid0(SALU_CYCLE_1) | instskip(NEXT) | instid1(SALU_CYCLE_1)
	s_or_b32 exec_lo, exec_lo, s15
	s_mov_b32 s14, exec_lo
	v_cmpx_gt_i32_e32 2, v2
	s_cbranch_execz .LBB4_2580
; %bb.2502:                             ;   in Loop: Header=BB4_51 Depth=1
	v_cmp_eq_u32_e64 s13, 0, v2
	s_mov_b32 s15, 0
.LBB4_2503:                             ;   Parent Loop BB4_51 Depth=1
                                        ; =>  This Loop Header: Depth=2
                                        ;       Child Loop BB4_2509 Depth 3
                                        ;       Child Loop BB4_2536 Depth 3
	;; [unrolled: 1-line block ×3, first 2 shown]
	v_and_b32_e32 v2, 4, v30
	s_mov_b32 s34, -1
	s_mov_b32 s31, exec_lo
	s_delay_alu instid0(VALU_DEP_1)
	v_cmpx_ne_u32_e32 0, v2
	s_cbranch_execz .LBB4_2517
; %bb.2504:                             ;   in Loop: Header=BB4_2503 Depth=2
	v_add_co_u32 v9, vcc_lo, v34, 2
	v_add_co_ci_u32_e32 v10, vcc_lo, 0, v35, vcc_lo
	v_mov_b32_e32 v2, 1
	s_mov_b32 s34, exec_lo
	s_delay_alu instid0(VALU_DEP_2)
	v_cmpx_lt_u64_e64 v[50:51], v[9:10]
	s_cbranch_execz .LBB4_2516
; %bb.2505:                             ;   in Loop: Header=BB4_2503 Depth=2
	v_mov_b32_e32 v2, 0
	s_mov_b32 s35, 0
                                        ; implicit-def: $sgpr36
	s_branch .LBB4_2509
.LBB4_2506:                             ;   in Loop: Header=BB4_2509 Depth=3
	s_or_b32 exec_lo, exec_lo, s40
	v_mov_b32_e32 v11, 0
	s_or_not1_b32 s39, s39, exec_lo
.LBB4_2507:                             ;   in Loop: Header=BB4_2509 Depth=3
	s_or_b32 exec_lo, exec_lo, s38
	s_delay_alu instid0(VALU_DEP_1) | instskip(SKIP_2) | instid1(SALU_CYCLE_1)
	v_mov_b32_e32 v2, v11
	s_and_not1_b32 vcc_lo, s36, exec_lo
	s_and_b32 s36, s39, exec_lo
	s_or_b32 s36, vcc_lo, s36
.LBB4_2508:                             ;   in Loop: Header=BB4_2509 Depth=3
	s_or_b32 exec_lo, exec_lo, s37
	s_waitcnt vmcnt(0) lgkmcnt(0)
	v_cmp_ge_u64_e32 vcc_lo, v[50:51], v[9:10]
	s_xor_b32 s37, s36, -1
	s_delay_alu instid0(SALU_CYCLE_1) | instskip(NEXT) | instid1(SALU_CYCLE_1)
	s_or_b32 vcc_lo, s37, vcc_lo
	s_and_b32 vcc_lo, exec_lo, vcc_lo
	s_delay_alu instid0(SALU_CYCLE_1) | instskip(NEXT) | instid1(SALU_CYCLE_1)
	s_or_b32 s35, vcc_lo, s35
	s_and_not1_b32 exec_lo, exec_lo, s35
	s_cbranch_execz .LBB4_2515
.LBB4_2509:                             ;   Parent Loop BB4_51 Depth=1
                                        ;     Parent Loop BB4_2503 Depth=2
                                        ; =>    This Inner Loop Header: Depth=3
	s_sleep 1
	flat_load_b64 v[50:51], v[32:33] glc
	v_and_b32_e32 v11, 64, v30
	s_and_not1_b32 s36, s36, exec_lo
	s_mov_b32 s37, exec_lo
	s_delay_alu instid0(VALU_DEP_1)
	v_cmpx_eq_u32_e32 0, v11
	s_cbranch_execz .LBB4_2508
; %bb.2510:                             ;   in Loop: Header=BB4_2509 Depth=3
	v_add_nc_u32_e32 v11, 1, v2
	s_mov_b32 s39, -1
	s_mov_b32 s38, exec_lo
	v_cmpx_lt_i32_e32 0x270e, v2
	s_cbranch_execz .LBB4_2507
; %bb.2511:                             ;   in Loop: Header=BB4_2509 Depth=3
	s_cbranch_execnz .LBB4_2794
; %bb.2512:                             ;   in Loop: Header=BB4_2509 Depth=3
	ds_load_b64 v[11:12], v0
	s_mov_b32 s40, exec_lo
	s_waitcnt vmcnt(0) lgkmcnt(0)
	s_waitcnt_vscnt null, 0x0
	flat_load_b32 v2, v[11:12] glc
	s_waitcnt vmcnt(0) lgkmcnt(0)
	buffer_gl1_inv
	buffer_gl0_inv
	v_cmpx_ne_u32_e32 0, v2
	s_cbranch_execz .LBB4_2506
; %bb.2513:                             ;   in Loop: Header=BB4_2509 Depth=3
	ds_store_b32 v0, v2
	s_cbranch_execnz .LBB4_2868
; %bb.2514:                             ;   in Loop: Header=BB4_2509 Depth=3
	v_or_b32_e32 v30, 64, v30
	s_xor_b32 s39, exec_lo, -1
	s_branch .LBB4_2506
.LBB4_2515:                             ;   in Loop: Header=BB4_2503 Depth=2
	s_or_b32 exec_lo, exec_lo, s35
	v_and_b32_e32 v2, 4, v30
.LBB4_2516:                             ;   in Loop: Header=BB4_2503 Depth=2
	s_or_b32 exec_lo, exec_lo, s34
	s_delay_alu instid0(VALU_DEP_1)
	v_cmp_eq_u32_e32 vcc_lo, 0, v2
	;;#ASMSTART
	s_wakeup
	;;#ASMEND
	s_or_not1_b32 s34, vcc_lo, exec_lo
.LBB4_2517:                             ;   in Loop: Header=BB4_2503 Depth=2
	s_or_b32 exec_lo, exec_lo, s31
	s_xor_b32 s13, s13, -1
	s_delay_alu instid0(SALU_CYCLE_1) | instskip(NEXT) | instid1(SALU_CYCLE_1)
	s_and_b32 s13, exec_lo, s13
	s_or_b32 s15, s13, s15
	s_xor_b32 s13, s34, -1
	s_delay_alu instid0(SALU_CYCLE_1)
	s_and_saveexec_b32 s31, s13
	s_cbranch_execz .LBB4_2527
; %bb.2518:                             ;   in Loop: Header=BB4_2503 Depth=2
	v_and_b32_e32 v2, 0x100, v30
	s_mov_b32 s13, -1
                                        ; implicit-def: $vgpr9_vgpr10
	s_delay_alu instid0(VALU_DEP_1)
	v_cmp_ne_u32_e32 vcc_lo, 0, v2
	v_and_b32_e32 v2, 7, v34
	s_and_saveexec_b32 s34, vcc_lo
	s_cbranch_execz .LBB4_2522
; %bb.2519:                             ;   in Loop: Header=BB4_2503 Depth=2
	s_delay_alu instid0(VALU_DEP_1) | instskip(SKIP_4) | instid1(VALU_DEP_1)
	v_mad_u64_u32 v[11:12], null, v2, 24, v[6:7]
	flat_load_b32 v9, v[11:12]
	s_waitcnt vmcnt(0) lgkmcnt(0)
	v_cmp_ne_u32_e32 vcc_lo, 1, v9
	v_cmp_eq_u32_e64 s13, 1, v9
                                        ; implicit-def: $vgpr9_vgpr10
	s_and_saveexec_b32 s35, s13
	s_cbranch_execz .LBB4_2521
; %bb.2520:                             ;   in Loop: Header=BB4_2503 Depth=2
	flat_load_b32 v9, v[11:12] offset:4 glc
	s_waitcnt vmcnt(0) lgkmcnt(0)
	v_ashrrev_i32_e32 v10, 31, v9
	s_delay_alu instid0(VALU_DEP_1)
	v_lshrrev_b64 v[9:10], 1, v[9:10]
.LBB4_2521:                             ;   in Loop: Header=BB4_2503 Depth=2
	s_or_b32 exec_lo, exec_lo, s35
	s_delay_alu instid0(SALU_CYCLE_1)
	s_or_not1_b32 s13, vcc_lo, exec_lo
.LBB4_2522:                             ;   in Loop: Header=BB4_2503 Depth=2
	s_or_b32 exec_lo, exec_lo, s34
	s_and_saveexec_b32 vcc_lo, s13
; %bb.2523:                             ;   in Loop: Header=BB4_2503 Depth=2
	v_mad_i64_i32 v[9:10], null, v2, v101, 0
; %bb.2524:                             ;   in Loop: Header=BB4_2503 Depth=2
	s_or_b32 exec_lo, exec_lo, vcc_lo
	s_delay_alu instid0(VALU_DEP_1) | instskip(SKIP_2) | instid1(VALU_DEP_2)
	v_lshlrev_b64 v[9:10], 1, v[9:10]
	v_and_b32_e32 v2, 0x2000, v30
	s_mov_b32 s13, exec_lo
	v_add_co_u32 v9, vcc_lo, v36, v9
	s_delay_alu instid0(VALU_DEP_3)
	v_add_co_ci_u32_e32 v10, vcc_lo, v37, v10, vcc_lo
	ds_store_b64 v0, v[9:10] offset:720
	v_cmpx_ne_u32_e32 0, v2
	s_cbranch_execz .LBB4_2526
; %bb.2525:                             ;   in Loop: Header=BB4_2503 Depth=2
	ds_load_b64 v[9:10], v0 offset:584
	s_waitcnt lgkmcnt(0)
	v_add_co_u32 v9, vcc_lo, v9, 1
	v_add_co_ci_u32_e32 v10, vcc_lo, 0, v10, vcc_lo
	ds_store_b64 v0, v[9:10] offset:584
.LBB4_2526:                             ;   in Loop: Header=BB4_2503 Depth=2
	s_or_b32 exec_lo, exec_lo, s13
	v_add_co_u32 v34, vcc_lo, v34, 2
	v_add_co_ci_u32_e32 v35, vcc_lo, 0, v35, vcc_lo
.LBB4_2527:                             ;   in Loop: Header=BB4_2503 Depth=2
	s_or_b32 exec_lo, exec_lo, s31
	s_and_saveexec_b32 s13, s3
	s_cbranch_execz .LBB4_2549
; %bb.2528:                             ;   in Loop: Header=BB4_2503 Depth=2
	s_and_saveexec_b32 vcc_lo, s4
	s_delay_alu instid0(SALU_CYCLE_1)
	s_xor_b32 s31, exec_lo, vcc_lo
	s_cbranch_execz .LBB4_2546
; %bb.2529:                             ;   in Loop: Header=BB4_2503 Depth=2
	s_and_saveexec_b32 s34, s1
	s_cbranch_execz .LBB4_2545
; %bb.2530:                             ;   in Loop: Header=BB4_2503 Depth=2
	s_mov_b32 s36, exec_lo
	s_mov_b32 s35, exec_lo
	v_mbcnt_lo_u32_b32 v2, s36, 0
	s_waitcnt lgkmcnt(0)
	s_waitcnt_vscnt null, 0x0
	buffer_gl1_inv
	buffer_gl0_inv
	v_cmpx_eq_u32_e32 0, v2
	s_cbranch_execz .LBB4_2532
; %bb.2531:                             ;   in Loop: Header=BB4_2503 Depth=2
	s_bcnt1_i32_b32 vcc_lo, s36
	s_delay_alu instid0(SALU_CYCLE_1)
	v_mov_b32_e32 v2, vcc_lo
	ds_add_u64 v0, v[2:3]
	s_cbranch_execnz .LBB4_2902
.LBB4_2532:                             ;   in Loop: Header=BB4_2503 Depth=2
	s_or_b32 exec_lo, exec_lo, s35
	s_cbranch_execnz .LBB4_2876
; %bb.2533:                             ;   in Loop: Header=BB4_2503 Depth=2
	ds_load_b64 v[9:10], v0
	v_add_co_u32 v48, vcc_lo, v48, v113
	v_add_co_ci_u32_e32 v49, vcc_lo, 0, v49, vcc_lo
	s_mov_b32 s35, exec_lo
	s_waitcnt lgkmcnt(0)
	s_delay_alu instid0(VALU_DEP_1)
	v_cmpx_lt_u64_e64 v[9:10], v[48:49]
	s_cbranch_execz .LBB4_2544
; %bb.2534:                             ;   in Loop: Header=BB4_2503 Depth=2
	s_mov_b32 s36, 0
	s_mov_b32 s39, 0
                                        ; implicit-def: $sgpr37
                                        ; implicit-def: $sgpr38
	s_branch .LBB4_2536
.LBB4_2535:                             ;   in Loop: Header=BB4_2536 Depth=3
	s_or_b32 exec_lo, exec_lo, s41
	s_delay_alu instid0(SALU_CYCLE_1) | instskip(NEXT) | instid1(SALU_CYCLE_1)
	s_and_b32 vcc_lo, exec_lo, vcc_lo
	s_or_b32 s36, vcc_lo, s36
	s_and_not1_b32 vcc_lo, s37, exec_lo
	s_and_b32 s37, s38, exec_lo
	s_delay_alu instid0(SALU_CYCLE_1)
	s_or_b32 s37, vcc_lo, s37
	s_and_not1_b32 exec_lo, exec_lo, s36
	s_cbranch_execz .LBB4_2542
.LBB4_2536:                             ;   Parent Loop BB4_51 Depth=1
                                        ;     Parent Loop BB4_2503 Depth=2
                                        ; =>    This Inner Loop Header: Depth=3
	s_add_i32 s39, s39, 1
                                        ; implicit-def: $sgpr41
	s_delay_alu instid0(SALU_CYCLE_1) | instskip(SKIP_1) | instid1(SALU_CYCLE_1)
	s_cmpk_lg_i32 s39, 0x2710
	s_cselect_b32 s40, -1, 0
	s_and_b32 vcc_lo, exec_lo, s40
	s_cbranch_vccz .LBB4_2540
.LBB4_2537:                             ;   in Loop: Header=BB4_2536 Depth=3
	s_and_not1_b32 s38, s38, exec_lo
	s_and_b32 s41, s41, exec_lo
	s_mov_b32 vcc_lo, -1
	s_or_b32 s38, s38, s41
	s_and_saveexec_b32 s41, s40
	s_cbranch_execz .LBB4_2535
; %bb.2538:                             ;   in Loop: Header=BB4_2536 Depth=3
	s_sleep 1
	s_cbranch_execnz .LBB4_2950
; %bb.2539:                             ;   in Loop: Header=BB4_2536 Depth=3
	ds_load_b64 v[9:10], v0
	s_and_not1_b32 s38, s38, exec_lo
	s_waitcnt lgkmcnt(0)
	v_cmp_ge_u64_e32 vcc_lo, v[9:10], v[48:49]
	s_or_not1_b32 vcc_lo, vcc_lo, exec_lo
	s_branch .LBB4_2535
.LBB4_2540:                             ;   in Loop: Header=BB4_2536 Depth=3
	s_cbranch_execnz .LBB4_2972
; %bb.2541:                             ;   in Loop: Header=BB4_2536 Depth=3
	ds_load_b64 v[9:10], v0
	s_and_not1_b32 s40, s40, exec_lo
	s_mov_b32 s39, 0
	s_mov_b32 s41, -1
	s_waitcnt lgkmcnt(0)
	flat_load_b32 v2, v[9:10] glc
	s_waitcnt vmcnt(0) lgkmcnt(0)
	buffer_gl1_inv
	buffer_gl0_inv
	v_cmp_eq_u32_e32 vcc_lo, 0, v2
	s_and_b32 vcc_lo, vcc_lo, exec_lo
	s_delay_alu instid0(SALU_CYCLE_1)
	s_or_b32 s40, s40, vcc_lo
	s_branch .LBB4_2537
.LBB4_2542:                             ;   in Loop: Header=BB4_2503 Depth=2
	s_or_b32 exec_lo, exec_lo, s36
	s_and_saveexec_b32 vcc_lo, s37
	s_delay_alu instid0(SALU_CYCLE_1)
	s_xor_b32 vcc_lo, exec_lo, vcc_lo
	s_cbranch_execz .LBB4_2544
; %bb.2543:                             ;   in Loop: Header=BB4_2503 Depth=2
	ds_store_b32 v0, v148
	s_cbranch_execnz .LBB4_3096
.LBB4_2544:                             ;   in Loop: Header=BB4_2503 Depth=2
	s_or_b32 exec_lo, exec_lo, s35
	;;#ASMSTART
	s_wakeup
	;;#ASMEND
.LBB4_2545:                             ;   in Loop: Header=BB4_2503 Depth=2
	s_or_b32 exec_lo, exec_lo, s34
.LBB4_2546:                             ;   in Loop: Header=BB4_2503 Depth=2
	s_and_not1_saveexec_b32 vcc_lo, s31
	s_cbranch_execz .LBB4_2548
; %bb.2547:                             ;   in Loop: Header=BB4_2503 Depth=2
	s_waitcnt lgkmcnt(0)
	s_waitcnt_vscnt null, 0x0
	buffer_gl1_inv
	buffer_gl0_inv
	s_barrier
.LBB4_2548:                             ;   in Loop: Header=BB4_2503 Depth=2
	s_or_b32 exec_lo, exec_lo, vcc_lo
.LBB4_2549:                             ;   in Loop: Header=BB4_2503 Depth=2
	s_delay_alu instid0(SALU_CYCLE_1) | instskip(SKIP_1) | instid1(VALU_DEP_1)
	s_or_b32 exec_lo, exec_lo, s13
	v_sub_nc_u32_e32 v2, v16, v8
	v_min_i32_e32 v17, v17, v2
	s_and_saveexec_b32 s13, s7
	s_delay_alu instid0(SALU_CYCLE_1)
	s_xor_b32 s31, exec_lo, s13
	s_cbranch_execz .LBB4_2554
; %bb.2550:                             ;   in Loop: Header=BB4_2503 Depth=2
	s_cbranch_execnz .LBB4_2790
; %bb.2551:                             ;   in Loop: Header=BB4_2503 Depth=2
	ds_load_b32 v2, v0
	v_cmp_lt_i32_e32 vcc_lo, 0, v17
	s_waitcnt lgkmcnt(0)
	v_readfirstlane_b32 s13, v2
	v_and_b32_e32 v2, 16, v30
	s_delay_alu instid0(VALU_DEP_2) | instskip(NEXT) | instid1(VALU_DEP_1)
	s_cmp_eq_u32 s13, 0
	v_cmp_ne_u32_e64 s13, 0, v2
	s_cselect_b32 s34, -1, 0
	s_delay_alu instid0(SALU_CYCLE_1)
	s_and_b32 vcc_lo, vcc_lo, s34
	s_delay_alu instid0(VALU_DEP_1) | instid1(SALU_CYCLE_1)
	s_and_b32 vcc_lo, s13, vcc_lo
	s_delay_alu instid0(SALU_CYCLE_1)
	s_and_saveexec_b32 s13, vcc_lo
	s_cbranch_execz .LBB4_2553
; %bb.2552:                             ;   in Loop: Header=BB4_2503 Depth=2
	s_waitcnt_vscnt null, 0x0
	buffer_gl1_inv
	buffer_gl0_inv
.LBB4_2553:                             ;   in Loop: Header=BB4_2503 Depth=2
	s_or_b32 exec_lo, exec_lo, s13
.LBB4_2554:                             ;   in Loop: Header=BB4_2503 Depth=2
	s_and_not1_saveexec_b32 s13, s31
	s_cbranch_execz .LBB4_2576
; %bb.2555:                             ;   in Loop: Header=BB4_2503 Depth=2
	s_and_saveexec_b32 vcc_lo, s4
	s_delay_alu instid0(SALU_CYCLE_1)
	s_xor_b32 s31, exec_lo, vcc_lo
	s_cbranch_execz .LBB4_2573
; %bb.2556:                             ;   in Loop: Header=BB4_2503 Depth=2
	s_and_saveexec_b32 s34, s1
	s_cbranch_execz .LBB4_2572
; %bb.2557:                             ;   in Loop: Header=BB4_2503 Depth=2
	s_mov_b32 s36, exec_lo
	s_mov_b32 s35, exec_lo
	v_mbcnt_lo_u32_b32 v2, s36, 0
	;;#ASMSTART
	s_waitcnt lgkmcnt(0) vmcnt(0)
	;;#ASMEND
	s_delay_alu instid0(VALU_DEP_1)
	v_cmpx_eq_u32_e32 0, v2
	s_cbranch_execz .LBB4_2559
; %bb.2558:                             ;   in Loop: Header=BB4_2503 Depth=2
	s_bcnt1_i32_b32 vcc_lo, s36
	s_delay_alu instid0(SALU_CYCLE_1)
	v_mov_b32_e32 v2, vcc_lo
	ds_add_u64 v0, v[2:3]
	s_cbranch_execnz .LBB4_2930
.LBB4_2559:                             ;   in Loop: Header=BB4_2503 Depth=2
	s_or_b32 exec_lo, exec_lo, s35
	s_cbranch_execnz .LBB4_2900
; %bb.2560:                             ;   in Loop: Header=BB4_2503 Depth=2
	ds_load_b64 v[9:10], v0
	v_add_co_u32 v48, vcc_lo, v48, v113
	v_add_co_ci_u32_e32 v49, vcc_lo, 0, v49, vcc_lo
	s_mov_b32 s35, exec_lo
	s_waitcnt lgkmcnt(0)
	s_delay_alu instid0(VALU_DEP_1)
	v_cmpx_lt_u64_e64 v[9:10], v[48:49]
	s_cbranch_execz .LBB4_2571
; %bb.2561:                             ;   in Loop: Header=BB4_2503 Depth=2
	s_mov_b32 s36, 0
	s_mov_b32 s39, 0
                                        ; implicit-def: $sgpr37
                                        ; implicit-def: $sgpr38
	s_branch .LBB4_2563
.LBB4_2562:                             ;   in Loop: Header=BB4_2563 Depth=3
	s_or_b32 exec_lo, exec_lo, s41
	s_delay_alu instid0(SALU_CYCLE_1) | instskip(NEXT) | instid1(SALU_CYCLE_1)
	s_and_b32 vcc_lo, exec_lo, vcc_lo
	s_or_b32 s36, vcc_lo, s36
	s_and_not1_b32 vcc_lo, s37, exec_lo
	s_and_b32 s37, s38, exec_lo
	s_delay_alu instid0(SALU_CYCLE_1)
	s_or_b32 s37, vcc_lo, s37
	s_and_not1_b32 exec_lo, exec_lo, s36
	s_cbranch_execz .LBB4_2569
.LBB4_2563:                             ;   Parent Loop BB4_51 Depth=1
                                        ;     Parent Loop BB4_2503 Depth=2
                                        ; =>    This Inner Loop Header: Depth=3
	s_add_i32 s39, s39, 1
                                        ; implicit-def: $sgpr41
	s_delay_alu instid0(SALU_CYCLE_1) | instskip(SKIP_1) | instid1(SALU_CYCLE_1)
	s_cmpk_lg_i32 s39, 0x2710
	s_cselect_b32 s40, -1, 0
	s_and_b32 vcc_lo, exec_lo, s40
	s_cbranch_vccz .LBB4_2567
.LBB4_2564:                             ;   in Loop: Header=BB4_2563 Depth=3
	s_and_not1_b32 s38, s38, exec_lo
	s_and_b32 s41, s41, exec_lo
	s_mov_b32 vcc_lo, -1
	s_or_b32 s38, s38, s41
	s_and_saveexec_b32 s41, s40
	s_cbranch_execz .LBB4_2562
; %bb.2565:                             ;   in Loop: Header=BB4_2563 Depth=3
	s_sleep 1
	s_cbranch_execnz .LBB4_2984
; %bb.2566:                             ;   in Loop: Header=BB4_2563 Depth=3
	ds_load_b64 v[9:10], v0
	s_and_not1_b32 s38, s38, exec_lo
	s_waitcnt lgkmcnt(0)
	v_cmp_ge_u64_e32 vcc_lo, v[9:10], v[48:49]
	s_or_not1_b32 vcc_lo, vcc_lo, exec_lo
	s_branch .LBB4_2562
.LBB4_2567:                             ;   in Loop: Header=BB4_2563 Depth=3
	s_cbranch_execnz .LBB4_3004
; %bb.2568:                             ;   in Loop: Header=BB4_2563 Depth=3
	ds_load_b64 v[9:10], v0
	s_and_not1_b32 s40, s40, exec_lo
	s_mov_b32 s39, 0
	s_mov_b32 s41, -1
	s_waitcnt lgkmcnt(0)
	s_waitcnt_vscnt null, 0x0
	flat_load_b32 v2, v[9:10] glc
	s_waitcnt vmcnt(0) lgkmcnt(0)
	buffer_gl1_inv
	buffer_gl0_inv
	v_cmp_eq_u32_e32 vcc_lo, 0, v2
	s_and_b32 vcc_lo, vcc_lo, exec_lo
	s_delay_alu instid0(SALU_CYCLE_1)
	s_or_b32 s40, s40, vcc_lo
	s_branch .LBB4_2564
.LBB4_2569:                             ;   in Loop: Header=BB4_2503 Depth=2
	s_or_b32 exec_lo, exec_lo, s36
	s_and_saveexec_b32 vcc_lo, s37
	s_delay_alu instid0(SALU_CYCLE_1)
	s_xor_b32 vcc_lo, exec_lo, vcc_lo
	s_cbranch_execz .LBB4_2571
; %bb.2570:                             ;   in Loop: Header=BB4_2503 Depth=2
	ds_store_b32 v0, v148
	s_cbranch_execnz .LBB4_3110
.LBB4_2571:                             ;   in Loop: Header=BB4_2503 Depth=2
	s_or_b32 exec_lo, exec_lo, s35
	;;#ASMSTART
	s_wakeup
	;;#ASMEND
.LBB4_2572:                             ;   in Loop: Header=BB4_2503 Depth=2
	s_or_b32 exec_lo, exec_lo, s34
.LBB4_2573:                             ;   in Loop: Header=BB4_2503 Depth=2
	s_and_not1_saveexec_b32 vcc_lo, s31
	s_cbranch_execz .LBB4_2575
; %bb.2574:                             ;   in Loop: Header=BB4_2503 Depth=2
	;;#ASMSTART
	s_waitcnt lgkmcnt(0) vmcnt(0)
	;;#ASMEND
	s_waitcnt lgkmcnt(0)
	s_waitcnt_vscnt null, 0x0
	s_barrier
.LBB4_2575:                             ;   in Loop: Header=BB4_2503 Depth=2
	s_or_b32 exec_lo, exec_lo, vcc_lo
.LBB4_2576:                             ;   in Loop: Header=BB4_2503 Depth=2
	s_delay_alu instid0(SALU_CYCLE_1) | instskip(SKIP_2) | instid1(VALU_DEP_1)
	s_or_b32 exec_lo, exec_lo, s13
	v_and_b32_e32 v2, 32, v30
	s_mov_b32 s13, exec_lo
	v_cmpx_ne_u32_e32 0, v2
	s_cbranch_execz .LBB4_2578
; %bb.2577:                             ;   in Loop: Header=BB4_2503 Depth=2
	v_add_co_u32 v34, vcc_lo, v34, 2
	v_add_co_ci_u32_e32 v35, vcc_lo, 0, v35, vcc_lo
	s_waitcnt lgkmcnt(0)
	s_waitcnt_vscnt null, 0x0
	flat_store_b64 v[32:33], v[34:35]
.LBB4_2578:                             ;   in Loop: Header=BB4_2503 Depth=2
	s_or_b32 exec_lo, exec_lo, s13
	v_add_nc_u32_e32 v8, v17, v8
	s_mov_b32 s13, 0
	s_and_not1_b32 exec_lo, exec_lo, s15
	s_cbranch_execnz .LBB4_2503
; %bb.2579:                             ;   in Loop: Header=BB4_51 Depth=1
	s_or_b32 exec_lo, exec_lo, s15
.LBB4_2580:                             ;   in Loop: Header=BB4_51 Depth=1
	s_delay_alu instid0(SALU_CYCLE_1)
	s_or_b32 exec_lo, exec_lo, s14
	v_add_co_u32 v54, vcc_lo, v54, v52
	v_add_co_ci_u32_e32 v55, vcc_lo, v55, v53, vcc_lo
	v_readlane_b32 s34, v42, 5
	v_readlane_b32 s35, v42, 6
	s_mov_b32 s14, s17
	s_delay_alu instid0(VALU_DEP_3) | instskip(SKIP_2) | instid1(SALU_CYCLE_1)
	v_cmp_ge_i64_e32 vcc_lo, v[54:55], v[4:5]
	s_mov_b32 s31, s30
	s_or_b32 s24, vcc_lo, s24
	s_and_not1_b32 exec_lo, exec_lo, s24
	s_cbranch_execnz .LBB4_51
; %bb.2581:
	s_or_b32 exec_lo, exec_lo, s24
.LBB4_2582:
	s_delay_alu instid0(SALU_CYCLE_1)
	s_or_b32 exec_lo, exec_lo, s20
; %bb.2583:
	v_and_b32_e32 v0, 0x800, v30
	s_mov_b32 s0, exec_lo
	s_delay_alu instid0(VALU_DEP_1)
	v_cmpx_eq_u32_e32 0, v0
	s_cbranch_execz .LBB4_2840
; %bb.2584:
	v_and_b32_e32 v0, 48, v30
	s_mov_b32 s1, exec_lo
	s_delay_alu instid0(VALU_DEP_1)
	v_cmpx_ne_u32_e32 0, v0
	s_cbranch_execz .LBB4_2586
; %bb.2585:
	flat_store_b64 v[28:29], v[34:35] offset:104
.LBB4_2586:
	s_or_b32 exec_lo, exec_lo, s1
	v_and_b32_e32 v0, 0x88, v30
	s_mov_b32 s1, exec_lo
	s_delay_alu instid0(VALU_DEP_1)
	v_cmpx_eq_u32_e32 0x88, v0
	s_cbranch_execz .LBB4_2636
; %bb.2587:
	v_add_nc_u32_e32 v0, 6, v34
	s_mov_b32 s2, 0
                                        ; implicit-def: $sgpr3
	s_delay_alu instid0(VALU_DEP_1) | instskip(NEXT) | instid1(VALU_DEP_1)
	v_and_b32_e32 v0, 7, v0
	v_mad_u64_u32 v[2:3], null, v0, 24, v[6:7]
	v_mov_b32_e32 v0, 0
	s_delay_alu instid0(VALU_DEP_2) | instskip(NEXT) | instid1(VALU_DEP_3)
	v_add_co_u32 v2, vcc_lo, v2, 8
	v_add_co_ci_u32_e32 v3, vcc_lo, 0, v3, vcc_lo
	s_branch .LBB4_2622
.LBB4_2588:
	s_trap 2
	s_sendmsg_rtn_b32 s0, sendmsg(MSG_RTN_GET_DOORBELL)
	s_mov_b32 ttmp2, m0
	s_waitcnt lgkmcnt(0)
	s_and_b32 s0, s0, 0x3ff
	s_delay_alu instid0(SALU_CYCLE_1) | instskip(NEXT) | instid1(SALU_CYCLE_1)
	s_bitset1_b32 s0, 10
	s_mov_b32 m0, s0
	s_sendmsg sendmsg(MSG_INTERRUPT)
	s_mov_b32 m0, ttmp2
.LBB4_2589:                             ; =>This Inner Loop Header: Depth=1
	s_sethalt 5
	s_branch .LBB4_2589
.LBB4_2590:
	v_bfe_u32 v9, v7, 8, 8
	v_not_b32_e32 v8, v8
	s_mov_b32 s1, exec_lo
                                        ; implicit-def: $vgpr14_vgpr15
                                        ; implicit-def: $vgpr24_vgpr25
                                        ; implicit-def: $vgpr4_vgpr5
	s_delay_alu instid0(VALU_DEP_2)
	v_cmpx_ne_u32_e64 v9, v6
	s_xor_b32 s1, exec_lo, s1
	s_cbranch_execz .LBB4_2592
; %bb.2591:
	s_clause 0x1
	flat_load_b128 v[9:12], v[2:3] offset:72
	flat_load_b64 v[4:5], v[2:3] offset:96
	v_add_nc_u32_e32 v6, v6, v8
                                        ; implicit-def: $vgpr8
	s_waitcnt vmcnt(0) lgkmcnt(0)
	v_lshrrev_b64 v[14:15], 13, v[4:5]
	v_dual_mov_b32 v4, v11 :: v_dual_mov_b32 v5, v12
	s_delay_alu instid0(VALU_DEP_3) | instskip(SKIP_2) | instid1(VALU_DEP_3)
	v_ashrrev_i32_e32 v7, 31, v6
	v_mad_u64_u32 v[24:25], null, v11, v6, v[9:10]
	v_mul_lo_u32 v6, v12, v6
                                        ; implicit-def: $vgpr9
	v_mul_lo_u32 v7, v11, v7
	s_delay_alu instid0(VALU_DEP_1)
	v_add3_u32 v25, v6, v25, v7
.LBB4_2592:
	s_and_not1_saveexec_b32 s1, s1
	s_cbranch_execz .LBB4_2594
; %bb.2593:
	s_clause 0x1
	flat_load_b128 v[10:13], v[2:3] offset:72
	flat_load_b128 v[4:7], v[2:3] offset:88
	s_waitcnt vmcnt(0) lgkmcnt(0)
	v_add_nc_u32_e32 v6, v9, v8
	s_delay_alu instid0(VALU_DEP_1) | instskip(NEXT) | instid1(VALU_DEP_1)
	v_ashrrev_i32_e32 v8, 31, v6
	v_mul_lo_u32 v8, v12, v8
	v_mad_u64_u32 v[24:25], null, v12, v6, v[10:11]
	v_mul_lo_u32 v6, v13, v6
	v_lshrrev_b32_e32 v14, 2, v7
	s_delay_alu instid0(VALU_DEP_2)
	v_add3_u32 v25, v6, v25, v8
.LBB4_2594:
	s_or_b32 exec_lo, exec_lo, s1
	s_and_not1_saveexec_b32 s0, s0
	s_cbranch_execz .LBB4_3
.LBB4_2595:
	s_clause 0x1
	flat_load_b64 v[6:7], v[2:3] offset:96
	flat_load_b64 v[4:5], v[2:3] offset:72
	v_mov_b32_e32 v24, 0
	v_mov_b32_e32 v25, 0
	s_waitcnt vmcnt(1) lgkmcnt(1)
	v_lshlrev_b64 v[14:15], 8, v[6:7]
	s_or_b32 exec_lo, exec_lo, s0
	s_cbranch_execz .LBB4_4
.LBB4_2596:
	s_trap 2
	s_sendmsg_rtn_b32 s0, sendmsg(MSG_RTN_GET_DOORBELL)
	s_mov_b32 ttmp2, m0
	s_waitcnt lgkmcnt(0)
	s_and_b32 s0, s0, 0x3ff
	s_delay_alu instid0(SALU_CYCLE_1) | instskip(NEXT) | instid1(SALU_CYCLE_1)
	s_bitset1_b32 s0, 10
	s_mov_b32 m0, s0
	s_sendmsg sendmsg(MSG_INTERRUPT)
	s_mov_b32 m0, ttmp2
.LBB4_2597:                             ; =>This Inner Loop Header: Depth=1
	s_sethalt 5
	s_branch .LBB4_2597
.LBB4_2598:
	s_trap 2
	s_sendmsg_rtn_b32 s0, sendmsg(MSG_RTN_GET_DOORBELL)
	s_mov_b32 ttmp2, m0
	s_waitcnt lgkmcnt(0)
	s_and_b32 s0, s0, 0x3ff
	s_delay_alu instid0(SALU_CYCLE_1) | instskip(NEXT) | instid1(SALU_CYCLE_1)
	s_bitset1_b32 s0, 10
	s_mov_b32 m0, s0
	s_sendmsg sendmsg(MSG_INTERRUPT)
	s_mov_b32 m0, ttmp2
.LBB4_2599:                             ; =>This Inner Loop Header: Depth=1
	s_sethalt 5
	s_branch .LBB4_2599
.LBB4_2600:
	s_trap 2
	s_sendmsg_rtn_b32 s0, sendmsg(MSG_RTN_GET_DOORBELL)
	s_mov_b32 ttmp2, m0
	s_waitcnt lgkmcnt(0)
	s_and_b32 s0, s0, 0x3ff
	s_delay_alu instid0(SALU_CYCLE_1) | instskip(NEXT) | instid1(SALU_CYCLE_1)
	s_bitset1_b32 s0, 10
	s_mov_b32 m0, s0
	s_sendmsg sendmsg(MSG_INTERRUPT)
	s_mov_b32 m0, ttmp2
.LBB4_2601:                             ; =>This Inner Loop Header: Depth=1
	s_sethalt 5
	s_branch .LBB4_2601
.LBB4_2602:
	s_trap 2
	s_sendmsg_rtn_b32 s0, sendmsg(MSG_RTN_GET_DOORBELL)
	s_mov_b32 ttmp2, m0
	s_waitcnt lgkmcnt(0)
	s_and_b32 s0, s0, 0x3ff
	s_delay_alu instid0(SALU_CYCLE_1) | instskip(NEXT) | instid1(SALU_CYCLE_1)
	s_bitset1_b32 s0, 10
	s_mov_b32 m0, s0
	s_sendmsg sendmsg(MSG_INTERRUPT)
	s_mov_b32 m0, ttmp2
.LBB4_2603:                             ; =>This Inner Loop Header: Depth=1
	s_sethalt 5
	s_branch .LBB4_2603
.LBB4_2604:
	s_trap 2
	s_sendmsg_rtn_b32 s0, sendmsg(MSG_RTN_GET_DOORBELL)
	s_mov_b32 ttmp2, m0
	s_waitcnt lgkmcnt(0)
	s_and_b32 s0, s0, 0x3ff
	s_delay_alu instid0(SALU_CYCLE_1) | instskip(NEXT) | instid1(SALU_CYCLE_1)
	s_bitset1_b32 s0, 10
	s_mov_b32 m0, s0
	s_sendmsg sendmsg(MSG_INTERRUPT)
	s_mov_b32 m0, ttmp2
.LBB4_2605:                             ; =>This Inner Loop Header: Depth=1
	s_sethalt 5
	s_branch .LBB4_2605
.LBB4_2606:
	s_trap 2
	s_sendmsg_rtn_b32 s0, sendmsg(MSG_RTN_GET_DOORBELL)
	s_mov_b32 ttmp2, m0
	s_waitcnt lgkmcnt(0)
	s_and_b32 s0, s0, 0x3ff
	s_delay_alu instid0(SALU_CYCLE_1) | instskip(NEXT) | instid1(SALU_CYCLE_1)
	s_bitset1_b32 s0, 10
	s_mov_b32 m0, s0
	s_sendmsg sendmsg(MSG_INTERRUPT)
	s_mov_b32 m0, ttmp2
.LBB4_2607:                             ; =>This Inner Loop Header: Depth=1
	s_sethalt 5
	s_branch .LBB4_2607
.LBB4_2608:
	s_trap 2
	s_sendmsg_rtn_b32 s0, sendmsg(MSG_RTN_GET_DOORBELL)
	s_mov_b32 ttmp2, m0
	s_waitcnt lgkmcnt(0)
	s_and_b32 s0, s0, 0x3ff
	s_delay_alu instid0(SALU_CYCLE_1) | instskip(NEXT) | instid1(SALU_CYCLE_1)
	s_bitset1_b32 s0, 10
	s_mov_b32 m0, s0
	s_sendmsg sendmsg(MSG_INTERRUPT)
	s_mov_b32 m0, ttmp2
.LBB4_2609:                             ; =>This Inner Loop Header: Depth=1
	s_sethalt 5
	s_branch .LBB4_2609
.LBB4_2610:
	s_trap 2
	s_sendmsg_rtn_b32 s0, sendmsg(MSG_RTN_GET_DOORBELL)
	s_mov_b32 ttmp2, m0
	s_waitcnt lgkmcnt(0)
	s_and_b32 s0, s0, 0x3ff
	s_delay_alu instid0(SALU_CYCLE_1) | instskip(NEXT) | instid1(SALU_CYCLE_1)
	s_bitset1_b32 s0, 10
	s_mov_b32 m0, s0
	s_sendmsg sendmsg(MSG_INTERRUPT)
	s_mov_b32 m0, ttmp2
.LBB4_2611:                             ; =>This Inner Loop Header: Depth=1
	s_sethalt 5
	s_branch .LBB4_2611
.LBB4_2612:
	s_trap 2
	s_sendmsg_rtn_b32 s0, sendmsg(MSG_RTN_GET_DOORBELL)
	s_mov_b32 ttmp2, m0
	s_waitcnt lgkmcnt(0)
	s_and_b32 s0, s0, 0x3ff
	s_delay_alu instid0(SALU_CYCLE_1) | instskip(NEXT) | instid1(SALU_CYCLE_1)
	s_bitset1_b32 s0, 10
	s_mov_b32 m0, s0
	s_sendmsg sendmsg(MSG_INTERRUPT)
	s_mov_b32 m0, ttmp2
.LBB4_2613:                             ; =>This Inner Loop Header: Depth=1
	s_sethalt 5
	s_branch .LBB4_2613
.LBB4_2614:
	s_trap 2
	s_sendmsg_rtn_b32 s0, sendmsg(MSG_RTN_GET_DOORBELL)
	s_mov_b32 ttmp2, m0
	s_waitcnt lgkmcnt(0)
	s_and_b32 s0, s0, 0x3ff
	s_delay_alu instid0(SALU_CYCLE_1) | instskip(NEXT) | instid1(SALU_CYCLE_1)
	s_bitset1_b32 s0, 10
	s_mov_b32 m0, s0
	s_sendmsg sendmsg(MSG_INTERRUPT)
	s_mov_b32 m0, ttmp2
.LBB4_2615:                             ; =>This Inner Loop Header: Depth=1
	s_sethalt 5
	s_branch .LBB4_2615
.LBB4_2616:
	s_trap 2
	s_sendmsg_rtn_b32 s0, sendmsg(MSG_RTN_GET_DOORBELL)
	s_mov_b32 ttmp2, m0
	s_waitcnt lgkmcnt(0)
	s_and_b32 s0, s0, 0x3ff
	s_delay_alu instid0(SALU_CYCLE_1) | instskip(NEXT) | instid1(SALU_CYCLE_1)
	s_bitset1_b32 s0, 10
	s_mov_b32 m0, s0
	s_sendmsg sendmsg(MSG_INTERRUPT)
	s_mov_b32 m0, ttmp2
.LBB4_2617:                             ; =>This Inner Loop Header: Depth=1
	s_sethalt 5
	s_branch .LBB4_2617
.LBB4_2618:                             ;   in Loop: Header=BB4_2622 Depth=1
	s_or_b32 exec_lo, exec_lo, s10
	v_mov_b32_e32 v4, 0
	s_or_not1_b32 s7, s7, exec_lo
.LBB4_2619:                             ;   in Loop: Header=BB4_2622 Depth=1
	s_or_b32 exec_lo, exec_lo, s6
	s_delay_alu instid0(VALU_DEP_1)
	v_mov_b32_e32 v0, v4
	s_and_b32 s6, s7, exec_lo
.LBB4_2620:                             ;   in Loop: Header=BB4_2622 Depth=1
	s_or_b32 exec_lo, exec_lo, s5
	s_xor_b32 s5, s6, -1
	s_and_not1_b32 s3, s3, exec_lo
	s_and_b32 s5, s5, exec_lo
	s_delay_alu instid0(SALU_CYCLE_1)
	s_or_b32 s3, s3, s5
.LBB4_2621:                             ;   in Loop: Header=BB4_2622 Depth=1
	s_or_b32 exec_lo, exec_lo, s4
	s_delay_alu instid0(SALU_CYCLE_1) | instskip(NEXT) | instid1(SALU_CYCLE_1)
	s_and_b32 s4, exec_lo, s3
	s_or_b32 s2, s4, s2
	s_delay_alu instid0(SALU_CYCLE_1)
	s_and_not1_b32 exec_lo, exec_lo, s2
	s_cbranch_execz .LBB4_2635
.LBB4_2622:                             ; =>This Inner Loop Header: Depth=1
	flat_load_b64 v[4:5], v[2:3] glc dlc
	s_waitcnt vmcnt(0)
	s_or_b32 s3, s3, exec_lo
	s_mov_b32 s4, exec_lo
	s_waitcnt lgkmcnt(0)
	v_cmpx_ne_u64_e32 -1, v[4:5]
	s_cbranch_execz .LBB4_2621
; %bb.2623:                             ;   in Loop: Header=BB4_2622 Depth=1
	v_and_b32_e32 v4, 64, v30
	s_mov_b32 s6, 0
	s_mov_b32 s5, exec_lo
	s_delay_alu instid0(VALU_DEP_1)
	v_cmpx_eq_u32_e32 0, v4
	s_cbranch_execz .LBB4_2620
; %bb.2624:                             ;   in Loop: Header=BB4_2622 Depth=1
	v_add_nc_u32_e32 v4, 1, v0
	s_mov_b32 s7, -1
	s_mov_b32 s6, exec_lo
	v_cmpx_lt_i32_e32 0x270e, v0
	s_cbranch_execz .LBB4_2619
; %bb.2625:                             ;   in Loop: Header=BB4_2622 Depth=1
	s_cbranch_execnz .LBB4_2629
; %bb.2626:                             ;   in Loop: Header=BB4_2622 Depth=1
	ds_load_b64 v[4:5], v0
	s_mov_b32 s10, exec_lo
	s_waitcnt lgkmcnt(0)
	s_waitcnt_vscnt null, 0x0
	flat_load_b32 v0, v[4:5] glc
	s_waitcnt vmcnt(0) lgkmcnt(0)
	buffer_gl1_inv
	buffer_gl0_inv
	v_cmpx_ne_u32_e32 0, v0
	s_cbranch_execz .LBB4_2618
; %bb.2627:                             ;   in Loop: Header=BB4_2622 Depth=1
	ds_store_b32 v0, v0
	s_cbranch_execnz .LBB4_2653
; %bb.2628:                             ;   in Loop: Header=BB4_2622 Depth=1
	v_or_b32_e32 v30, 64, v30
	s_xor_b32 s7, exec_lo, -1
	s_branch .LBB4_2618
.LBB4_2629:
	s_trap 2
	s_sendmsg_rtn_b32 s0, sendmsg(MSG_RTN_GET_DOORBELL)
	s_mov_b32 ttmp2, m0
	s_waitcnt lgkmcnt(0)
	s_and_b32 s0, s0, 0x3ff
	s_delay_alu instid0(SALU_CYCLE_1) | instskip(NEXT) | instid1(SALU_CYCLE_1)
	s_bitset1_b32 s0, 10
	s_mov_b32 m0, s0
	s_sendmsg sendmsg(MSG_INTERRUPT)
	s_mov_b32 m0, ttmp2
.LBB4_2630:                             ; =>This Inner Loop Header: Depth=1
	s_sethalt 5
	s_branch .LBB4_2630
.LBB4_2631:
	s_trap 2
	s_sendmsg_rtn_b32 s0, sendmsg(MSG_RTN_GET_DOORBELL)
	s_mov_b32 ttmp2, m0
	s_waitcnt lgkmcnt(0)
	s_and_b32 s0, s0, 0x3ff
	s_delay_alu instid0(SALU_CYCLE_1) | instskip(NEXT) | instid1(SALU_CYCLE_1)
	s_bitset1_b32 s0, 10
	s_mov_b32 m0, s0
	s_sendmsg sendmsg(MSG_INTERRUPT)
	s_mov_b32 m0, ttmp2
.LBB4_2632:                             ; =>This Inner Loop Header: Depth=1
	s_sethalt 5
	s_branch .LBB4_2632
.LBB4_2633:
	s_trap 2
	s_sendmsg_rtn_b32 s0, sendmsg(MSG_RTN_GET_DOORBELL)
	s_mov_b32 ttmp2, m0
	s_waitcnt lgkmcnt(0)
	s_and_b32 s0, s0, 0x3ff
	s_delay_alu instid0(SALU_CYCLE_1) | instskip(NEXT) | instid1(SALU_CYCLE_1)
	s_bitset1_b32 s0, 10
	s_mov_b32 m0, s0
	s_sendmsg sendmsg(MSG_INTERRUPT)
	s_mov_b32 m0, ttmp2
.LBB4_2634:                             ; =>This Inner Loop Header: Depth=1
	s_sethalt 5
	s_branch .LBB4_2634
.LBB4_2635:
	s_or_b32 exec_lo, exec_lo, s2
.LBB4_2636:
	s_delay_alu instid0(SALU_CYCLE_1) | instskip(SKIP_2) | instid1(VALU_DEP_1)
	s_or_b32 exec_lo, exec_lo, s1
	v_and_b32_e32 v0, 0x2000, v30
	s_mov_b32 s1, exec_lo
	v_cmpx_ne_u32_e32 0, v0
	s_cbranch_execz .LBB4_2639
; %bb.2637:
	s_cbranch_execnz .LBB4_2647
; %bb.2638:
	ds_load_b64 v[2:3], v0
	s_waitcnt lgkmcnt(0)
	flat_store_b64 v[26:27], v[2:3] offset:16
.LBB4_2639:
	s_or_b32 exec_lo, exec_lo, s1
	v_cmp_ne_u32_e32 vcc_lo, 32, v1
	s_and_b32 exec_lo, exec_lo, vcc_lo
	s_cbranch_execz .LBB4_2840
; %bb.2640:
	s_mov_b32 s1, exec_lo
	v_cmpx_ne_u32_e64 v100, v1
	s_xor_b32 s1, exec_lo, s1
	s_cbranch_execz .LBB4_2838
; %bb.2641:
	v_and_b32_e32 v0, 31, v31
	s_mov_b32 s2, exec_lo
	s_delay_alu instid0(VALU_DEP_1)
	v_cmpx_eq_u32_e32 0, v0
	s_cbranch_execz .LBB4_2837
; %bb.2642:
	s_mov_b32 s4, exec_lo
	s_mov_b32 s3, exec_lo
	v_mbcnt_lo_u32_b32 v0, s4, 0
	s_waitcnt lgkmcnt(0)
	s_waitcnt_vscnt null, 0x0
	buffer_gl1_inv
	buffer_gl0_inv
	v_cmpx_eq_u32_e32 0, v0
	s_cbranch_execz .LBB4_2644
; %bb.2643:
	s_bcnt1_i32_b32 s4, s4
	s_delay_alu instid0(SALU_CYCLE_1)
	v_dual_mov_b32 v3, 0 :: v_dual_mov_b32 v2, s4
	ds_add_u64 v0, v[2:3]
	s_cbranch_execnz .LBB4_2682
.LBB4_2644:
	s_or_b32 exec_lo, exec_lo, s3
	s_cbranch_execnz .LBB4_2661
; %bb.2645:
	v_ashrrev_i32_e32 v0, 31, v1
	s_mov_b32 s3, exec_lo
	s_delay_alu instid0(VALU_DEP_1) | instskip(NEXT) | instid1(VALU_DEP_1)
	v_lshrrev_b32_e32 v0, 27, v0
	v_add_nc_u32_e32 v0, v1, v0
	ds_load_b64 v[2:3], v0
	v_ashrrev_i32_e32 v0, 5, v0
	s_delay_alu instid0(VALU_DEP_1) | instskip(SKIP_1) | instid1(VALU_DEP_2)
	v_ashrrev_i32_e32 v1, 31, v0
	v_add_co_u32 v0, vcc_lo, v48, v0
	v_add_co_ci_u32_e32 v1, vcc_lo, v49, v1, vcc_lo
	s_waitcnt lgkmcnt(0)
	s_delay_alu instid0(VALU_DEP_1)
	v_cmpx_lt_u64_e64 v[2:3], v[0:1]
	s_cbranch_execz .LBB4_2836
; %bb.2646:
	s_mov_b32 s4, 0
	s_mov_b32 s7, 0
                                        ; implicit-def: $sgpr5
                                        ; implicit-def: $sgpr6
	s_branch .LBB4_2668
.LBB4_2647:
	s_trap 2
	s_sendmsg_rtn_b32 s0, sendmsg(MSG_RTN_GET_DOORBELL)
	s_mov_b32 ttmp2, m0
	s_waitcnt lgkmcnt(0)
	s_and_b32 s0, s0, 0x3ff
	s_delay_alu instid0(SALU_CYCLE_1) | instskip(NEXT) | instid1(SALU_CYCLE_1)
	s_bitset1_b32 s0, 10
	s_mov_b32 m0, s0
	s_sendmsg sendmsg(MSG_INTERRUPT)
	s_mov_b32 m0, ttmp2
.LBB4_2648:                             ; =>This Inner Loop Header: Depth=1
	s_sethalt 5
	s_branch .LBB4_2648
.LBB4_2649:
	s_trap 2
	s_sendmsg_rtn_b32 s0, sendmsg(MSG_RTN_GET_DOORBELL)
	s_mov_b32 ttmp2, m0
	s_waitcnt lgkmcnt(0)
	s_and_b32 s0, s0, 0x3ff
	s_delay_alu instid0(SALU_CYCLE_1) | instskip(NEXT) | instid1(SALU_CYCLE_1)
	s_bitset1_b32 s0, 10
	s_mov_b32 m0, s0
	s_sendmsg sendmsg(MSG_INTERRUPT)
	s_mov_b32 m0, ttmp2
.LBB4_2650:                             ; =>This Inner Loop Header: Depth=1
	s_sethalt 5
	s_branch .LBB4_2650
.LBB4_2651:
	s_trap 2
	s_sendmsg_rtn_b32 s0, sendmsg(MSG_RTN_GET_DOORBELL)
	s_mov_b32 ttmp2, m0
	s_waitcnt lgkmcnt(0)
	s_and_b32 s0, s0, 0x3ff
	s_delay_alu instid0(SALU_CYCLE_1) | instskip(NEXT) | instid1(SALU_CYCLE_1)
	s_bitset1_b32 s0, 10
	s_mov_b32 m0, s0
	s_sendmsg sendmsg(MSG_INTERRUPT)
	s_mov_b32 m0, ttmp2
.LBB4_2652:                             ; =>This Inner Loop Header: Depth=1
	s_sethalt 5
	s_branch .LBB4_2652
.LBB4_2653:
	s_trap 2
	s_sendmsg_rtn_b32 s0, sendmsg(MSG_RTN_GET_DOORBELL)
	s_mov_b32 ttmp2, m0
	s_waitcnt lgkmcnt(0)
	s_and_b32 s0, s0, 0x3ff
	s_delay_alu instid0(SALU_CYCLE_1) | instskip(NEXT) | instid1(SALU_CYCLE_1)
	s_bitset1_b32 s0, 10
	s_mov_b32 m0, s0
	s_sendmsg sendmsg(MSG_INTERRUPT)
	s_mov_b32 m0, ttmp2
.LBB4_2654:                             ; =>This Inner Loop Header: Depth=1
	s_sethalt 5
	s_branch .LBB4_2654
.LBB4_2655:
	s_trap 2
	s_sendmsg_rtn_b32 s0, sendmsg(MSG_RTN_GET_DOORBELL)
	s_mov_b32 ttmp2, m0
	s_waitcnt lgkmcnt(0)
	s_and_b32 s0, s0, 0x3ff
	s_delay_alu instid0(SALU_CYCLE_1) | instskip(NEXT) | instid1(SALU_CYCLE_1)
	s_bitset1_b32 s0, 10
	s_mov_b32 m0, s0
	s_sendmsg sendmsg(MSG_INTERRUPT)
	s_mov_b32 m0, ttmp2
.LBB4_2656:                             ; =>This Inner Loop Header: Depth=1
	s_sethalt 5
	s_branch .LBB4_2656
.LBB4_2657:
	s_trap 2
	s_sendmsg_rtn_b32 s0, sendmsg(MSG_RTN_GET_DOORBELL)
	s_mov_b32 ttmp2, m0
	s_waitcnt lgkmcnt(0)
	s_and_b32 s0, s0, 0x3ff
	s_delay_alu instid0(SALU_CYCLE_1) | instskip(NEXT) | instid1(SALU_CYCLE_1)
	s_bitset1_b32 s0, 10
	s_mov_b32 m0, s0
	s_sendmsg sendmsg(MSG_INTERRUPT)
	s_mov_b32 m0, ttmp2
.LBB4_2658:                             ; =>This Inner Loop Header: Depth=1
	s_sethalt 5
	s_branch .LBB4_2658
.LBB4_2659:
	s_trap 2
	s_sendmsg_rtn_b32 s0, sendmsg(MSG_RTN_GET_DOORBELL)
	s_mov_b32 ttmp2, m0
	s_waitcnt lgkmcnt(0)
	s_and_b32 s0, s0, 0x3ff
	s_delay_alu instid0(SALU_CYCLE_1) | instskip(NEXT) | instid1(SALU_CYCLE_1)
	s_bitset1_b32 s0, 10
	s_mov_b32 m0, s0
	s_sendmsg sendmsg(MSG_INTERRUPT)
	s_mov_b32 m0, ttmp2
.LBB4_2660:                             ; =>This Inner Loop Header: Depth=1
	s_sethalt 5
	s_branch .LBB4_2660
.LBB4_2661:
	s_trap 2
	s_sendmsg_rtn_b32 s0, sendmsg(MSG_RTN_GET_DOORBELL)
	s_mov_b32 ttmp2, m0
	s_waitcnt lgkmcnt(0)
	s_and_b32 s0, s0, 0x3ff
	s_delay_alu instid0(SALU_CYCLE_1) | instskip(NEXT) | instid1(SALU_CYCLE_1)
	s_bitset1_b32 s0, 10
	s_mov_b32 m0, s0
	s_sendmsg sendmsg(MSG_INTERRUPT)
	s_mov_b32 m0, ttmp2
.LBB4_2662:                             ; =>This Inner Loop Header: Depth=1
	s_sethalt 5
	s_branch .LBB4_2662
.LBB4_2663:
	s_trap 2
	s_sendmsg_rtn_b32 s0, sendmsg(MSG_RTN_GET_DOORBELL)
	s_mov_b32 ttmp2, m0
	s_waitcnt lgkmcnt(0)
	s_and_b32 s0, s0, 0x3ff
	s_delay_alu instid0(SALU_CYCLE_1) | instskip(NEXT) | instid1(SALU_CYCLE_1)
	s_bitset1_b32 s0, 10
	s_mov_b32 m0, s0
	s_sendmsg sendmsg(MSG_INTERRUPT)
	s_mov_b32 m0, ttmp2
.LBB4_2664:                             ; =>This Inner Loop Header: Depth=1
	s_sethalt 5
	s_branch .LBB4_2664
.LBB4_2665:
	s_trap 2
	s_sendmsg_rtn_b32 s0, sendmsg(MSG_RTN_GET_DOORBELL)
	s_mov_b32 ttmp2, m0
	s_waitcnt lgkmcnt(0)
	s_and_b32 s0, s0, 0x3ff
	s_delay_alu instid0(SALU_CYCLE_1) | instskip(NEXT) | instid1(SALU_CYCLE_1)
	s_bitset1_b32 s0, 10
	s_mov_b32 m0, s0
	s_sendmsg sendmsg(MSG_INTERRUPT)
	s_mov_b32 m0, ttmp2
.LBB4_2666:                             ; =>This Inner Loop Header: Depth=1
	s_sethalt 5
	s_branch .LBB4_2666
.LBB4_2667:                             ;   in Loop: Header=BB4_2668 Depth=1
	s_or_b32 exec_lo, exec_lo, s12
	s_delay_alu instid0(SALU_CYCLE_1) | instskip(NEXT) | instid1(SALU_CYCLE_1)
	s_and_b32 s10, exec_lo, s11
	s_or_b32 s4, s10, s4
	s_and_not1_b32 s5, s5, exec_lo
	s_and_b32 s10, s6, exec_lo
	s_delay_alu instid0(SALU_CYCLE_1)
	s_or_b32 s5, s5, s10
	s_and_not1_b32 exec_lo, exec_lo, s4
	s_cbranch_execz .LBB4_2834
.LBB4_2668:                             ; =>This Inner Loop Header: Depth=1
	s_add_i32 s7, s7, 1
                                        ; implicit-def: $sgpr11
	s_delay_alu instid0(SALU_CYCLE_1) | instskip(SKIP_1) | instid1(SALU_CYCLE_1)
	s_cmpk_lg_i32 s7, 0x2710
	s_cselect_b32 s10, -1, 0
	s_and_b32 vcc_lo, exec_lo, s10
	s_cbranch_vccz .LBB4_2672
.LBB4_2669:                             ;   in Loop: Header=BB4_2668 Depth=1
	s_and_not1_b32 s6, s6, exec_lo
	s_and_b32 s12, s11, exec_lo
	s_mov_b32 s11, -1
	s_or_b32 s6, s6, s12
	s_and_saveexec_b32 s12, s10
	s_cbranch_execz .LBB4_2667
; %bb.2670:                             ;   in Loop: Header=BB4_2668 Depth=1
	s_sleep 1
	s_cbranch_execnz .LBB4_2720
; %bb.2671:                             ;   in Loop: Header=BB4_2668 Depth=1
	ds_load_b64 v[2:3], v0
	s_and_not1_b32 s6, s6, exec_lo
	s_waitcnt lgkmcnt(0)
	v_cmp_ge_u64_e32 vcc_lo, v[2:3], v[0:1]
	s_or_not1_b32 s11, vcc_lo, exec_lo
	s_branch .LBB4_2667
.LBB4_2672:                             ;   in Loop: Header=BB4_2668 Depth=1
	s_cbranch_execnz .LBB4_2722
; %bb.2673:                             ;   in Loop: Header=BB4_2668 Depth=1
	ds_load_b64 v[2:3], v0
	s_and_not1_b32 s10, s10, exec_lo
	s_mov_b32 s7, 0
	s_mov_b32 s11, -1
	s_waitcnt lgkmcnt(0)
	flat_load_b32 v2, v[2:3] glc
	s_waitcnt vmcnt(0) lgkmcnt(0)
	buffer_gl1_inv
	buffer_gl0_inv
	v_cmp_eq_u32_e32 vcc_lo, 0, v2
	s_and_b32 s12, vcc_lo, exec_lo
	s_delay_alu instid0(SALU_CYCLE_1)
	s_or_b32 s10, s10, s12
	s_branch .LBB4_2669
.LBB4_2674:
	s_trap 2
	s_sendmsg_rtn_b32 s0, sendmsg(MSG_RTN_GET_DOORBELL)
	s_mov_b32 ttmp2, m0
	s_waitcnt lgkmcnt(0)
	s_and_b32 s0, s0, 0x3ff
	s_delay_alu instid0(SALU_CYCLE_1) | instskip(NEXT) | instid1(SALU_CYCLE_1)
	s_bitset1_b32 s0, 10
	s_mov_b32 m0, s0
	s_sendmsg sendmsg(MSG_INTERRUPT)
	s_mov_b32 m0, ttmp2
.LBB4_2675:                             ; =>This Inner Loop Header: Depth=1
	s_sethalt 5
	s_branch .LBB4_2675
.LBB4_2676:
	s_trap 2
	s_sendmsg_rtn_b32 s0, sendmsg(MSG_RTN_GET_DOORBELL)
	s_mov_b32 ttmp2, m0
	s_waitcnt lgkmcnt(0)
	s_and_b32 s0, s0, 0x3ff
	s_delay_alu instid0(SALU_CYCLE_1) | instskip(NEXT) | instid1(SALU_CYCLE_1)
	s_bitset1_b32 s0, 10
	s_mov_b32 m0, s0
	s_sendmsg sendmsg(MSG_INTERRUPT)
	s_mov_b32 m0, ttmp2
.LBB4_2677:                             ; =>This Inner Loop Header: Depth=1
	s_sethalt 5
	s_branch .LBB4_2677
.LBB4_2678:
	s_trap 2
	s_sendmsg_rtn_b32 s0, sendmsg(MSG_RTN_GET_DOORBELL)
	s_mov_b32 ttmp2, m0
	s_waitcnt lgkmcnt(0)
	s_and_b32 s0, s0, 0x3ff
	s_delay_alu instid0(SALU_CYCLE_1) | instskip(NEXT) | instid1(SALU_CYCLE_1)
	s_bitset1_b32 s0, 10
	s_mov_b32 m0, s0
	s_sendmsg sendmsg(MSG_INTERRUPT)
	s_mov_b32 m0, ttmp2
.LBB4_2679:                             ; =>This Inner Loop Header: Depth=1
	s_sethalt 5
	s_branch .LBB4_2679
.LBB4_2680:
	s_trap 2
	s_sendmsg_rtn_b32 s0, sendmsg(MSG_RTN_GET_DOORBELL)
	s_mov_b32 ttmp2, m0
	s_waitcnt lgkmcnt(0)
	s_and_b32 s0, s0, 0x3ff
	s_delay_alu instid0(SALU_CYCLE_1) | instskip(NEXT) | instid1(SALU_CYCLE_1)
	s_bitset1_b32 s0, 10
	s_mov_b32 m0, s0
	s_sendmsg sendmsg(MSG_INTERRUPT)
	s_mov_b32 m0, ttmp2
.LBB4_2681:                             ; =>This Inner Loop Header: Depth=1
	s_sethalt 5
	s_branch .LBB4_2681
.LBB4_2682:
	s_trap 2
	s_sendmsg_rtn_b32 s0, sendmsg(MSG_RTN_GET_DOORBELL)
	s_mov_b32 ttmp2, m0
	s_waitcnt lgkmcnt(0)
	s_and_b32 s0, s0, 0x3ff
	s_delay_alu instid0(SALU_CYCLE_1) | instskip(NEXT) | instid1(SALU_CYCLE_1)
	s_bitset1_b32 s0, 10
	s_mov_b32 m0, s0
	s_sendmsg sendmsg(MSG_INTERRUPT)
	s_mov_b32 m0, ttmp2
.LBB4_2683:                             ; =>This Inner Loop Header: Depth=1
	s_sethalt 5
	s_branch .LBB4_2683
.LBB4_2684:
	s_trap 2
	s_sendmsg_rtn_b32 s0, sendmsg(MSG_RTN_GET_DOORBELL)
	s_mov_b32 ttmp2, m0
	s_waitcnt lgkmcnt(0)
	s_and_b32 s0, s0, 0x3ff
	s_delay_alu instid0(SALU_CYCLE_1) | instskip(NEXT) | instid1(SALU_CYCLE_1)
	s_bitset1_b32 s0, 10
	s_mov_b32 m0, s0
	s_sendmsg sendmsg(MSG_INTERRUPT)
	s_mov_b32 m0, ttmp2
.LBB4_2685:                             ; =>This Inner Loop Header: Depth=1
	s_sethalt 5
	s_branch .LBB4_2685
.LBB4_2686:
	s_trap 2
	s_sendmsg_rtn_b32 s0, sendmsg(MSG_RTN_GET_DOORBELL)
	s_mov_b32 ttmp2, m0
	s_waitcnt lgkmcnt(0)
	s_and_b32 s0, s0, 0x3ff
	s_delay_alu instid0(SALU_CYCLE_1) | instskip(NEXT) | instid1(SALU_CYCLE_1)
	s_bitset1_b32 s0, 10
	s_mov_b32 m0, s0
	s_sendmsg sendmsg(MSG_INTERRUPT)
	s_mov_b32 m0, ttmp2
.LBB4_2687:                             ; =>This Inner Loop Header: Depth=1
	s_sethalt 5
	s_branch .LBB4_2687
.LBB4_2688:
	s_trap 2
	s_sendmsg_rtn_b32 s0, sendmsg(MSG_RTN_GET_DOORBELL)
	s_mov_b32 ttmp2, m0
	s_waitcnt lgkmcnt(0)
	s_and_b32 s0, s0, 0x3ff
	s_delay_alu instid0(SALU_CYCLE_1) | instskip(NEXT) | instid1(SALU_CYCLE_1)
	s_bitset1_b32 s0, 10
	s_mov_b32 m0, s0
	s_sendmsg sendmsg(MSG_INTERRUPT)
	s_mov_b32 m0, ttmp2
.LBB4_2689:                             ; =>This Inner Loop Header: Depth=1
	s_sethalt 5
	s_branch .LBB4_2689
.LBB4_2690:
	s_trap 2
	s_sendmsg_rtn_b32 s0, sendmsg(MSG_RTN_GET_DOORBELL)
	s_mov_b32 ttmp2, m0
	s_waitcnt lgkmcnt(0)
	s_and_b32 s0, s0, 0x3ff
	s_delay_alu instid0(SALU_CYCLE_1) | instskip(NEXT) | instid1(SALU_CYCLE_1)
	s_bitset1_b32 s0, 10
	s_mov_b32 m0, s0
	s_sendmsg sendmsg(MSG_INTERRUPT)
	s_mov_b32 m0, ttmp2
.LBB4_2691:                             ; =>This Inner Loop Header: Depth=1
	s_sethalt 5
	s_branch .LBB4_2691
.LBB4_2692:
	s_trap 2
	s_sendmsg_rtn_b32 s0, sendmsg(MSG_RTN_GET_DOORBELL)
	s_mov_b32 ttmp2, m0
	s_waitcnt lgkmcnt(0)
	s_and_b32 s0, s0, 0x3ff
	s_delay_alu instid0(SALU_CYCLE_1) | instskip(NEXT) | instid1(SALU_CYCLE_1)
	s_bitset1_b32 s0, 10
	s_mov_b32 m0, s0
	s_sendmsg sendmsg(MSG_INTERRUPT)
	s_mov_b32 m0, ttmp2
.LBB4_2693:                             ; =>This Inner Loop Header: Depth=1
	s_sethalt 5
	s_branch .LBB4_2693
.LBB4_2694:
	s_trap 2
	s_sendmsg_rtn_b32 s0, sendmsg(MSG_RTN_GET_DOORBELL)
	s_mov_b32 ttmp2, m0
	s_waitcnt lgkmcnt(0)
	s_and_b32 s0, s0, 0x3ff
	s_delay_alu instid0(SALU_CYCLE_1) | instskip(NEXT) | instid1(SALU_CYCLE_1)
	s_bitset1_b32 s0, 10
	s_mov_b32 m0, s0
	s_sendmsg sendmsg(MSG_INTERRUPT)
	s_mov_b32 m0, ttmp2
.LBB4_2695:                             ; =>This Inner Loop Header: Depth=1
	s_sethalt 5
	s_branch .LBB4_2695
.LBB4_2696:
	s_trap 2
	s_sendmsg_rtn_b32 s0, sendmsg(MSG_RTN_GET_DOORBELL)
	s_mov_b32 ttmp2, m0
	s_waitcnt lgkmcnt(0)
	s_and_b32 s0, s0, 0x3ff
	s_delay_alu instid0(SALU_CYCLE_1) | instskip(NEXT) | instid1(SALU_CYCLE_1)
	s_bitset1_b32 s0, 10
	s_mov_b32 m0, s0
	s_sendmsg sendmsg(MSG_INTERRUPT)
	s_mov_b32 m0, ttmp2
.LBB4_2697:                             ; =>This Inner Loop Header: Depth=1
	s_sethalt 5
	s_branch .LBB4_2697
.LBB4_2698:
	s_trap 2
	s_sendmsg_rtn_b32 s0, sendmsg(MSG_RTN_GET_DOORBELL)
	s_mov_b32 ttmp2, m0
	s_waitcnt lgkmcnt(0)
	s_and_b32 s0, s0, 0x3ff
	s_delay_alu instid0(SALU_CYCLE_1) | instskip(NEXT) | instid1(SALU_CYCLE_1)
	s_bitset1_b32 s0, 10
	s_mov_b32 m0, s0
	s_sendmsg sendmsg(MSG_INTERRUPT)
	s_mov_b32 m0, ttmp2
.LBB4_2699:                             ; =>This Inner Loop Header: Depth=1
	s_sethalt 5
	s_branch .LBB4_2699
.LBB4_2700:
	s_trap 2
	s_sendmsg_rtn_b32 s0, sendmsg(MSG_RTN_GET_DOORBELL)
	s_mov_b32 ttmp2, m0
	s_waitcnt lgkmcnt(0)
	s_and_b32 s0, s0, 0x3ff
	s_delay_alu instid0(SALU_CYCLE_1) | instskip(NEXT) | instid1(SALU_CYCLE_1)
	s_bitset1_b32 s0, 10
	s_mov_b32 m0, s0
	s_sendmsg sendmsg(MSG_INTERRUPT)
	s_mov_b32 m0, ttmp2
.LBB4_2701:                             ; =>This Inner Loop Header: Depth=1
	s_sethalt 5
	s_branch .LBB4_2701
.LBB4_2702:
	s_trap 2
	s_sendmsg_rtn_b32 s0, sendmsg(MSG_RTN_GET_DOORBELL)
	s_mov_b32 ttmp2, m0
	s_waitcnt lgkmcnt(0)
	s_and_b32 s0, s0, 0x3ff
	s_delay_alu instid0(SALU_CYCLE_1) | instskip(NEXT) | instid1(SALU_CYCLE_1)
	s_bitset1_b32 s0, 10
	s_mov_b32 m0, s0
	s_sendmsg sendmsg(MSG_INTERRUPT)
	s_mov_b32 m0, ttmp2
.LBB4_2703:                             ; =>This Inner Loop Header: Depth=1
	s_sethalt 5
	s_branch .LBB4_2703
.LBB4_2704:
	s_trap 2
	s_sendmsg_rtn_b32 s0, sendmsg(MSG_RTN_GET_DOORBELL)
	s_mov_b32 ttmp2, m0
	s_waitcnt lgkmcnt(0)
	s_and_b32 s0, s0, 0x3ff
	s_delay_alu instid0(SALU_CYCLE_1) | instskip(NEXT) | instid1(SALU_CYCLE_1)
	s_bitset1_b32 s0, 10
	s_mov_b32 m0, s0
	s_sendmsg sendmsg(MSG_INTERRUPT)
	s_mov_b32 m0, ttmp2
.LBB4_2705:                             ; =>This Inner Loop Header: Depth=1
	s_sethalt 5
	s_branch .LBB4_2705
.LBB4_2706:
	s_trap 2
	s_sendmsg_rtn_b32 s0, sendmsg(MSG_RTN_GET_DOORBELL)
	s_mov_b32 ttmp2, m0
	s_waitcnt lgkmcnt(0)
	s_and_b32 s0, s0, 0x3ff
	s_delay_alu instid0(SALU_CYCLE_1) | instskip(NEXT) | instid1(SALU_CYCLE_1)
	s_bitset1_b32 s0, 10
	s_mov_b32 m0, s0
	s_sendmsg sendmsg(MSG_INTERRUPT)
	s_mov_b32 m0, ttmp2
.LBB4_2707:                             ; =>This Inner Loop Header: Depth=1
	s_sethalt 5
	s_branch .LBB4_2707
.LBB4_2708:
	s_trap 2
	s_sendmsg_rtn_b32 s0, sendmsg(MSG_RTN_GET_DOORBELL)
	s_mov_b32 ttmp2, m0
	s_waitcnt lgkmcnt(0)
	s_and_b32 s0, s0, 0x3ff
	s_delay_alu instid0(SALU_CYCLE_1) | instskip(NEXT) | instid1(SALU_CYCLE_1)
	s_bitset1_b32 s0, 10
	s_mov_b32 m0, s0
	s_sendmsg sendmsg(MSG_INTERRUPT)
	s_mov_b32 m0, ttmp2
.LBB4_2709:                             ; =>This Inner Loop Header: Depth=1
	s_sethalt 5
	s_branch .LBB4_2709
.LBB4_2710:
	s_trap 2
	s_sendmsg_rtn_b32 s0, sendmsg(MSG_RTN_GET_DOORBELL)
	s_mov_b32 ttmp2, m0
	s_waitcnt lgkmcnt(0)
	s_and_b32 s0, s0, 0x3ff
	s_delay_alu instid0(SALU_CYCLE_1) | instskip(NEXT) | instid1(SALU_CYCLE_1)
	s_bitset1_b32 s0, 10
	s_mov_b32 m0, s0
	s_sendmsg sendmsg(MSG_INTERRUPT)
	s_mov_b32 m0, ttmp2
.LBB4_2711:                             ; =>This Inner Loop Header: Depth=1
	s_sethalt 5
	s_branch .LBB4_2711
.LBB4_2712:
	s_trap 2
	s_sendmsg_rtn_b32 s0, sendmsg(MSG_RTN_GET_DOORBELL)
	s_mov_b32 ttmp2, m0
	s_waitcnt lgkmcnt(0)
	s_and_b32 s0, s0, 0x3ff
	s_delay_alu instid0(SALU_CYCLE_1) | instskip(NEXT) | instid1(SALU_CYCLE_1)
	s_bitset1_b32 s0, 10
	s_mov_b32 m0, s0
	s_sendmsg sendmsg(MSG_INTERRUPT)
	s_mov_b32 m0, ttmp2
.LBB4_2713:                             ; =>This Inner Loop Header: Depth=1
	s_sethalt 5
	s_branch .LBB4_2713
.LBB4_2714:
	s_trap 2
	s_sendmsg_rtn_b32 s0, sendmsg(MSG_RTN_GET_DOORBELL)
	s_mov_b32 ttmp2, m0
	s_waitcnt lgkmcnt(0)
	s_and_b32 s0, s0, 0x3ff
	s_delay_alu instid0(SALU_CYCLE_1) | instskip(NEXT) | instid1(SALU_CYCLE_1)
	s_bitset1_b32 s0, 10
	s_mov_b32 m0, s0
	s_sendmsg sendmsg(MSG_INTERRUPT)
	s_mov_b32 m0, ttmp2
.LBB4_2715:                             ; =>This Inner Loop Header: Depth=1
	s_sethalt 5
	s_branch .LBB4_2715
.LBB4_2716:
	s_trap 2
	s_sendmsg_rtn_b32 s0, sendmsg(MSG_RTN_GET_DOORBELL)
	s_mov_b32 ttmp2, m0
	s_waitcnt lgkmcnt(0)
	s_and_b32 s0, s0, 0x3ff
	s_delay_alu instid0(SALU_CYCLE_1) | instskip(NEXT) | instid1(SALU_CYCLE_1)
	s_bitset1_b32 s0, 10
	s_mov_b32 m0, s0
	s_sendmsg sendmsg(MSG_INTERRUPT)
	s_mov_b32 m0, ttmp2
.LBB4_2717:                             ; =>This Inner Loop Header: Depth=1
	s_sethalt 5
	s_branch .LBB4_2717
.LBB4_2718:
	s_trap 2
	s_sendmsg_rtn_b32 s0, sendmsg(MSG_RTN_GET_DOORBELL)
	s_mov_b32 ttmp2, m0
	s_waitcnt lgkmcnt(0)
	s_and_b32 s0, s0, 0x3ff
	s_delay_alu instid0(SALU_CYCLE_1) | instskip(NEXT) | instid1(SALU_CYCLE_1)
	s_bitset1_b32 s0, 10
	s_mov_b32 m0, s0
	s_sendmsg sendmsg(MSG_INTERRUPT)
	s_mov_b32 m0, ttmp2
.LBB4_2719:                             ; =>This Inner Loop Header: Depth=1
	s_sethalt 5
	s_branch .LBB4_2719
.LBB4_2720:
	s_trap 2
	s_sendmsg_rtn_b32 s0, sendmsg(MSG_RTN_GET_DOORBELL)
	s_mov_b32 ttmp2, m0
	s_waitcnt lgkmcnt(0)
	s_and_b32 s0, s0, 0x3ff
	s_delay_alu instid0(SALU_CYCLE_1) | instskip(NEXT) | instid1(SALU_CYCLE_1)
	s_bitset1_b32 s0, 10
	s_mov_b32 m0, s0
	s_sendmsg sendmsg(MSG_INTERRUPT)
	s_mov_b32 m0, ttmp2
.LBB4_2721:                             ; =>This Inner Loop Header: Depth=1
	s_sethalt 5
	s_branch .LBB4_2721
.LBB4_2722:
	s_trap 2
	s_sendmsg_rtn_b32 s0, sendmsg(MSG_RTN_GET_DOORBELL)
	s_mov_b32 ttmp2, m0
	s_waitcnt lgkmcnt(0)
	s_and_b32 s0, s0, 0x3ff
	s_delay_alu instid0(SALU_CYCLE_1) | instskip(NEXT) | instid1(SALU_CYCLE_1)
	s_bitset1_b32 s0, 10
	s_mov_b32 m0, s0
	s_sendmsg sendmsg(MSG_INTERRUPT)
	s_mov_b32 m0, ttmp2
.LBB4_2723:                             ; =>This Inner Loop Header: Depth=1
	s_sethalt 5
	s_branch .LBB4_2723
.LBB4_2724:
	s_trap 2
	s_sendmsg_rtn_b32 s0, sendmsg(MSG_RTN_GET_DOORBELL)
	s_mov_b32 ttmp2, m0
	s_waitcnt lgkmcnt(0)
	s_and_b32 s0, s0, 0x3ff
	s_delay_alu instid0(SALU_CYCLE_1) | instskip(NEXT) | instid1(SALU_CYCLE_1)
	s_bitset1_b32 s0, 10
	s_mov_b32 m0, s0
	s_sendmsg sendmsg(MSG_INTERRUPT)
	s_mov_b32 m0, ttmp2
.LBB4_2725:                             ; =>This Inner Loop Header: Depth=1
	s_sethalt 5
	s_branch .LBB4_2725
.LBB4_2726:
	s_trap 2
	s_sendmsg_rtn_b32 s0, sendmsg(MSG_RTN_GET_DOORBELL)
	s_mov_b32 ttmp2, m0
	s_waitcnt lgkmcnt(0)
	s_and_b32 s0, s0, 0x3ff
	s_delay_alu instid0(SALU_CYCLE_1) | instskip(NEXT) | instid1(SALU_CYCLE_1)
	s_bitset1_b32 s0, 10
	s_mov_b32 m0, s0
	s_sendmsg sendmsg(MSG_INTERRUPT)
	s_mov_b32 m0, ttmp2
.LBB4_2727:                             ; =>This Inner Loop Header: Depth=1
	s_sethalt 5
	s_branch .LBB4_2727
.LBB4_2728:
	s_trap 2
	s_sendmsg_rtn_b32 s0, sendmsg(MSG_RTN_GET_DOORBELL)
	s_mov_b32 ttmp2, m0
	s_waitcnt lgkmcnt(0)
	s_and_b32 s0, s0, 0x3ff
	s_delay_alu instid0(SALU_CYCLE_1) | instskip(NEXT) | instid1(SALU_CYCLE_1)
	s_bitset1_b32 s0, 10
	s_mov_b32 m0, s0
	s_sendmsg sendmsg(MSG_INTERRUPT)
	s_mov_b32 m0, ttmp2
.LBB4_2729:                             ; =>This Inner Loop Header: Depth=1
	s_sethalt 5
	s_branch .LBB4_2729
.LBB4_2730:
	s_trap 2
	s_sendmsg_rtn_b32 s0, sendmsg(MSG_RTN_GET_DOORBELL)
	s_mov_b32 ttmp2, m0
	s_waitcnt lgkmcnt(0)
	s_and_b32 s0, s0, 0x3ff
	s_delay_alu instid0(SALU_CYCLE_1) | instskip(NEXT) | instid1(SALU_CYCLE_1)
	s_bitset1_b32 s0, 10
	s_mov_b32 m0, s0
	s_sendmsg sendmsg(MSG_INTERRUPT)
	s_mov_b32 m0, ttmp2
.LBB4_2731:                             ; =>This Inner Loop Header: Depth=1
	s_sethalt 5
	s_branch .LBB4_2731
.LBB4_2732:
	s_trap 2
	s_sendmsg_rtn_b32 s0, sendmsg(MSG_RTN_GET_DOORBELL)
	s_mov_b32 ttmp2, m0
	s_waitcnt lgkmcnt(0)
	s_and_b32 s0, s0, 0x3ff
	s_delay_alu instid0(SALU_CYCLE_1) | instskip(NEXT) | instid1(SALU_CYCLE_1)
	s_bitset1_b32 s0, 10
	s_mov_b32 m0, s0
	s_sendmsg sendmsg(MSG_INTERRUPT)
	s_mov_b32 m0, ttmp2
.LBB4_2733:                             ; =>This Inner Loop Header: Depth=1
	s_sethalt 5
	s_branch .LBB4_2733
.LBB4_2734:
	s_trap 2
	s_sendmsg_rtn_b32 s0, sendmsg(MSG_RTN_GET_DOORBELL)
	s_mov_b32 ttmp2, m0
	s_waitcnt lgkmcnt(0)
	s_and_b32 s0, s0, 0x3ff
	s_delay_alu instid0(SALU_CYCLE_1) | instskip(NEXT) | instid1(SALU_CYCLE_1)
	s_bitset1_b32 s0, 10
	s_mov_b32 m0, s0
	s_sendmsg sendmsg(MSG_INTERRUPT)
	s_mov_b32 m0, ttmp2
.LBB4_2735:                             ; =>This Inner Loop Header: Depth=1
	s_sethalt 5
	s_branch .LBB4_2735
.LBB4_2736:
	s_trap 2
	s_sendmsg_rtn_b32 s0, sendmsg(MSG_RTN_GET_DOORBELL)
	s_mov_b32 ttmp2, m0
	s_waitcnt lgkmcnt(0)
	s_and_b32 s0, s0, 0x3ff
	s_delay_alu instid0(SALU_CYCLE_1) | instskip(NEXT) | instid1(SALU_CYCLE_1)
	s_bitset1_b32 s0, 10
	s_mov_b32 m0, s0
	s_sendmsg sendmsg(MSG_INTERRUPT)
	s_mov_b32 m0, ttmp2
.LBB4_2737:                             ; =>This Inner Loop Header: Depth=1
	s_sethalt 5
	s_branch .LBB4_2737
.LBB4_2738:
	s_trap 2
	s_sendmsg_rtn_b32 s0, sendmsg(MSG_RTN_GET_DOORBELL)
	s_mov_b32 ttmp2, m0
	s_waitcnt lgkmcnt(0)
	s_and_b32 s0, s0, 0x3ff
	s_delay_alu instid0(SALU_CYCLE_1) | instskip(NEXT) | instid1(SALU_CYCLE_1)
	s_bitset1_b32 s0, 10
	s_mov_b32 m0, s0
	s_sendmsg sendmsg(MSG_INTERRUPT)
	s_mov_b32 m0, ttmp2
.LBB4_2739:                             ; =>This Inner Loop Header: Depth=1
	s_sethalt 5
	s_branch .LBB4_2739
.LBB4_2740:
	s_trap 2
	s_sendmsg_rtn_b32 s0, sendmsg(MSG_RTN_GET_DOORBELL)
	s_mov_b32 ttmp2, m0
	s_waitcnt lgkmcnt(0)
	s_and_b32 s0, s0, 0x3ff
	s_delay_alu instid0(SALU_CYCLE_1) | instskip(NEXT) | instid1(SALU_CYCLE_1)
	s_bitset1_b32 s0, 10
	s_mov_b32 m0, s0
	s_sendmsg sendmsg(MSG_INTERRUPT)
	s_mov_b32 m0, ttmp2
.LBB4_2741:                             ; =>This Inner Loop Header: Depth=1
	s_sethalt 5
	s_branch .LBB4_2741
.LBB4_2742:
	s_trap 2
	s_sendmsg_rtn_b32 s0, sendmsg(MSG_RTN_GET_DOORBELL)
	s_mov_b32 ttmp2, m0
	s_waitcnt lgkmcnt(0)
	s_and_b32 s0, s0, 0x3ff
	s_delay_alu instid0(SALU_CYCLE_1) | instskip(NEXT) | instid1(SALU_CYCLE_1)
	s_bitset1_b32 s0, 10
	s_mov_b32 m0, s0
	s_sendmsg sendmsg(MSG_INTERRUPT)
	s_mov_b32 m0, ttmp2
.LBB4_2743:                             ; =>This Inner Loop Header: Depth=1
	s_sethalt 5
	s_branch .LBB4_2743
.LBB4_2744:
	s_trap 2
	s_sendmsg_rtn_b32 s0, sendmsg(MSG_RTN_GET_DOORBELL)
	s_mov_b32 ttmp2, m0
	s_waitcnt lgkmcnt(0)
	s_and_b32 s0, s0, 0x3ff
	s_delay_alu instid0(SALU_CYCLE_1) | instskip(NEXT) | instid1(SALU_CYCLE_1)
	s_bitset1_b32 s0, 10
	s_mov_b32 m0, s0
	s_sendmsg sendmsg(MSG_INTERRUPT)
	s_mov_b32 m0, ttmp2
.LBB4_2745:                             ; =>This Inner Loop Header: Depth=1
	s_sethalt 5
	s_branch .LBB4_2745
.LBB4_2746:
	s_trap 2
	s_sendmsg_rtn_b32 s0, sendmsg(MSG_RTN_GET_DOORBELL)
	s_mov_b32 ttmp2, m0
	s_waitcnt lgkmcnt(0)
	s_and_b32 s0, s0, 0x3ff
	s_delay_alu instid0(SALU_CYCLE_1) | instskip(NEXT) | instid1(SALU_CYCLE_1)
	s_bitset1_b32 s0, 10
	s_mov_b32 m0, s0
	s_sendmsg sendmsg(MSG_INTERRUPT)
	s_mov_b32 m0, ttmp2
.LBB4_2747:                             ; =>This Inner Loop Header: Depth=1
	s_sethalt 5
	s_branch .LBB4_2747
.LBB4_2748:
	s_trap 2
	s_sendmsg_rtn_b32 s0, sendmsg(MSG_RTN_GET_DOORBELL)
	s_mov_b32 ttmp2, m0
	s_waitcnt lgkmcnt(0)
	s_and_b32 s0, s0, 0x3ff
	s_delay_alu instid0(SALU_CYCLE_1) | instskip(NEXT) | instid1(SALU_CYCLE_1)
	s_bitset1_b32 s0, 10
	s_mov_b32 m0, s0
	s_sendmsg sendmsg(MSG_INTERRUPT)
	s_mov_b32 m0, ttmp2
.LBB4_2749:                             ; =>This Inner Loop Header: Depth=1
	s_sethalt 5
	s_branch .LBB4_2749
.LBB4_2750:
	s_trap 2
	s_sendmsg_rtn_b32 s0, sendmsg(MSG_RTN_GET_DOORBELL)
	s_mov_b32 ttmp2, m0
	s_waitcnt lgkmcnt(0)
	s_and_b32 s0, s0, 0x3ff
	s_delay_alu instid0(SALU_CYCLE_1) | instskip(NEXT) | instid1(SALU_CYCLE_1)
	s_bitset1_b32 s0, 10
	s_mov_b32 m0, s0
	s_sendmsg sendmsg(MSG_INTERRUPT)
	s_mov_b32 m0, ttmp2
.LBB4_2751:                             ; =>This Inner Loop Header: Depth=1
	s_sethalt 5
	s_branch .LBB4_2751
.LBB4_2752:
	s_trap 2
	s_sendmsg_rtn_b32 s0, sendmsg(MSG_RTN_GET_DOORBELL)
	s_mov_b32 ttmp2, m0
	s_waitcnt lgkmcnt(0)
	s_and_b32 s0, s0, 0x3ff
	s_delay_alu instid0(SALU_CYCLE_1) | instskip(NEXT) | instid1(SALU_CYCLE_1)
	s_bitset1_b32 s0, 10
	s_mov_b32 m0, s0
	s_sendmsg sendmsg(MSG_INTERRUPT)
	s_mov_b32 m0, ttmp2
.LBB4_2753:                             ; =>This Inner Loop Header: Depth=1
	s_sethalt 5
	s_branch .LBB4_2753
.LBB4_2754:
	s_trap 2
	s_sendmsg_rtn_b32 s0, sendmsg(MSG_RTN_GET_DOORBELL)
	s_mov_b32 ttmp2, m0
	s_waitcnt lgkmcnt(0)
	s_and_b32 s0, s0, 0x3ff
	s_delay_alu instid0(SALU_CYCLE_1) | instskip(NEXT) | instid1(SALU_CYCLE_1)
	s_bitset1_b32 s0, 10
	s_mov_b32 m0, s0
	s_sendmsg sendmsg(MSG_INTERRUPT)
	s_mov_b32 m0, ttmp2
.LBB4_2755:                             ; =>This Inner Loop Header: Depth=1
	s_sethalt 5
	s_branch .LBB4_2755
.LBB4_2756:
	s_trap 2
	s_sendmsg_rtn_b32 s0, sendmsg(MSG_RTN_GET_DOORBELL)
	s_mov_b32 ttmp2, m0
	s_waitcnt lgkmcnt(0)
	s_and_b32 s0, s0, 0x3ff
	s_delay_alu instid0(SALU_CYCLE_1) | instskip(NEXT) | instid1(SALU_CYCLE_1)
	s_bitset1_b32 s0, 10
	s_mov_b32 m0, s0
	s_sendmsg sendmsg(MSG_INTERRUPT)
	s_mov_b32 m0, ttmp2
.LBB4_2757:                             ; =>This Inner Loop Header: Depth=1
	s_sethalt 5
	s_branch .LBB4_2757
.LBB4_2758:
	s_trap 2
	s_sendmsg_rtn_b32 s0, sendmsg(MSG_RTN_GET_DOORBELL)
	s_mov_b32 ttmp2, m0
	s_waitcnt lgkmcnt(0)
	s_and_b32 s0, s0, 0x3ff
	s_delay_alu instid0(SALU_CYCLE_1) | instskip(NEXT) | instid1(SALU_CYCLE_1)
	s_bitset1_b32 s0, 10
	s_mov_b32 m0, s0
	s_sendmsg sendmsg(MSG_INTERRUPT)
	s_mov_b32 m0, ttmp2
.LBB4_2759:                             ; =>This Inner Loop Header: Depth=1
	s_sethalt 5
	s_branch .LBB4_2759
.LBB4_2760:
	s_trap 2
	s_sendmsg_rtn_b32 s0, sendmsg(MSG_RTN_GET_DOORBELL)
	s_mov_b32 ttmp2, m0
	s_waitcnt lgkmcnt(0)
	s_and_b32 s0, s0, 0x3ff
	s_delay_alu instid0(SALU_CYCLE_1) | instskip(NEXT) | instid1(SALU_CYCLE_1)
	s_bitset1_b32 s0, 10
	s_mov_b32 m0, s0
	s_sendmsg sendmsg(MSG_INTERRUPT)
	s_mov_b32 m0, ttmp2
.LBB4_2761:                             ; =>This Inner Loop Header: Depth=1
	s_sethalt 5
	s_branch .LBB4_2761
.LBB4_2762:
	s_trap 2
	s_sendmsg_rtn_b32 s0, sendmsg(MSG_RTN_GET_DOORBELL)
	s_mov_b32 ttmp2, m0
	s_waitcnt lgkmcnt(0)
	s_and_b32 s0, s0, 0x3ff
	s_delay_alu instid0(SALU_CYCLE_1) | instskip(NEXT) | instid1(SALU_CYCLE_1)
	s_bitset1_b32 s0, 10
	s_mov_b32 m0, s0
	s_sendmsg sendmsg(MSG_INTERRUPT)
	s_mov_b32 m0, ttmp2
.LBB4_2763:                             ; =>This Inner Loop Header: Depth=1
	s_sethalt 5
	s_branch .LBB4_2763
.LBB4_2764:
	s_trap 2
	s_sendmsg_rtn_b32 s0, sendmsg(MSG_RTN_GET_DOORBELL)
	s_mov_b32 ttmp2, m0
	s_waitcnt lgkmcnt(0)
	s_and_b32 s0, s0, 0x3ff
	s_delay_alu instid0(SALU_CYCLE_1) | instskip(NEXT) | instid1(SALU_CYCLE_1)
	s_bitset1_b32 s0, 10
	s_mov_b32 m0, s0
	s_sendmsg sendmsg(MSG_INTERRUPT)
	s_mov_b32 m0, ttmp2
.LBB4_2765:                             ; =>This Inner Loop Header: Depth=1
	s_sethalt 5
	s_branch .LBB4_2765
.LBB4_2766:
	s_trap 2
	s_sendmsg_rtn_b32 s0, sendmsg(MSG_RTN_GET_DOORBELL)
	s_mov_b32 ttmp2, m0
	s_waitcnt lgkmcnt(0)
	s_and_b32 s0, s0, 0x3ff
	s_delay_alu instid0(SALU_CYCLE_1) | instskip(NEXT) | instid1(SALU_CYCLE_1)
	s_bitset1_b32 s0, 10
	s_mov_b32 m0, s0
	s_sendmsg sendmsg(MSG_INTERRUPT)
	s_mov_b32 m0, ttmp2
.LBB4_2767:                             ; =>This Inner Loop Header: Depth=1
	s_sethalt 5
	s_branch .LBB4_2767
.LBB4_2768:
	s_trap 2
	s_sendmsg_rtn_b32 s0, sendmsg(MSG_RTN_GET_DOORBELL)
	s_mov_b32 ttmp2, m0
	s_waitcnt lgkmcnt(0)
	s_and_b32 s0, s0, 0x3ff
	s_delay_alu instid0(SALU_CYCLE_1) | instskip(NEXT) | instid1(SALU_CYCLE_1)
	s_bitset1_b32 s0, 10
	s_mov_b32 m0, s0
	s_sendmsg sendmsg(MSG_INTERRUPT)
	s_mov_b32 m0, ttmp2
.LBB4_2769:                             ; =>This Inner Loop Header: Depth=1
	s_sethalt 5
	s_branch .LBB4_2769
.LBB4_2770:
	s_trap 2
	s_sendmsg_rtn_b32 s0, sendmsg(MSG_RTN_GET_DOORBELL)
	s_mov_b32 ttmp2, m0
	s_waitcnt lgkmcnt(0)
	s_and_b32 s0, s0, 0x3ff
	s_delay_alu instid0(SALU_CYCLE_1) | instskip(NEXT) | instid1(SALU_CYCLE_1)
	s_bitset1_b32 s0, 10
	s_mov_b32 m0, s0
	s_sendmsg sendmsg(MSG_INTERRUPT)
	s_mov_b32 m0, ttmp2
.LBB4_2771:                             ; =>This Inner Loop Header: Depth=1
	s_sethalt 5
	s_branch .LBB4_2771
.LBB4_2772:
	s_trap 2
	s_sendmsg_rtn_b32 s0, sendmsg(MSG_RTN_GET_DOORBELL)
	s_mov_b32 ttmp2, m0
	s_waitcnt lgkmcnt(0)
	s_and_b32 s0, s0, 0x3ff
	s_delay_alu instid0(SALU_CYCLE_1) | instskip(NEXT) | instid1(SALU_CYCLE_1)
	s_bitset1_b32 s0, 10
	s_mov_b32 m0, s0
	s_sendmsg sendmsg(MSG_INTERRUPT)
	s_mov_b32 m0, ttmp2
.LBB4_2773:                             ; =>This Inner Loop Header: Depth=1
	s_sethalt 5
	s_branch .LBB4_2773
.LBB4_2774:
	s_trap 2
	s_sendmsg_rtn_b32 s0, sendmsg(MSG_RTN_GET_DOORBELL)
	s_mov_b32 ttmp2, m0
	s_waitcnt lgkmcnt(0)
	s_and_b32 s0, s0, 0x3ff
	s_delay_alu instid0(SALU_CYCLE_1) | instskip(NEXT) | instid1(SALU_CYCLE_1)
	s_bitset1_b32 s0, 10
	s_mov_b32 m0, s0
	s_sendmsg sendmsg(MSG_INTERRUPT)
	s_mov_b32 m0, ttmp2
.LBB4_2775:                             ; =>This Inner Loop Header: Depth=1
	s_sethalt 5
	s_branch .LBB4_2775
.LBB4_2776:
	s_trap 2
	s_sendmsg_rtn_b32 s0, sendmsg(MSG_RTN_GET_DOORBELL)
	s_mov_b32 ttmp2, m0
	s_waitcnt lgkmcnt(0)
	s_and_b32 s0, s0, 0x3ff
	s_delay_alu instid0(SALU_CYCLE_1) | instskip(NEXT) | instid1(SALU_CYCLE_1)
	s_bitset1_b32 s0, 10
	s_mov_b32 m0, s0
	s_sendmsg sendmsg(MSG_INTERRUPT)
	s_mov_b32 m0, ttmp2
.LBB4_2777:                             ; =>This Inner Loop Header: Depth=1
	s_sethalt 5
	s_branch .LBB4_2777
.LBB4_2778:
	s_trap 2
	s_sendmsg_rtn_b32 s0, sendmsg(MSG_RTN_GET_DOORBELL)
	s_mov_b32 ttmp2, m0
	s_waitcnt lgkmcnt(0)
	s_and_b32 s0, s0, 0x3ff
	s_delay_alu instid0(SALU_CYCLE_1) | instskip(NEXT) | instid1(SALU_CYCLE_1)
	s_bitset1_b32 s0, 10
	s_mov_b32 m0, s0
	s_sendmsg sendmsg(MSG_INTERRUPT)
	s_mov_b32 m0, ttmp2
.LBB4_2779:                             ; =>This Inner Loop Header: Depth=1
	s_sethalt 5
	s_branch .LBB4_2779
.LBB4_2780:
	s_trap 2
	s_sendmsg_rtn_b32 s0, sendmsg(MSG_RTN_GET_DOORBELL)
	s_mov_b32 ttmp2, m0
	s_waitcnt lgkmcnt(0)
	s_and_b32 s0, s0, 0x3ff
	s_delay_alu instid0(SALU_CYCLE_1) | instskip(NEXT) | instid1(SALU_CYCLE_1)
	s_bitset1_b32 s0, 10
	s_mov_b32 m0, s0
	s_sendmsg sendmsg(MSG_INTERRUPT)
	s_mov_b32 m0, ttmp2
.LBB4_2781:                             ; =>This Inner Loop Header: Depth=1
	s_sethalt 5
	s_branch .LBB4_2781
.LBB4_2782:
	s_trap 2
	s_sendmsg_rtn_b32 s0, sendmsg(MSG_RTN_GET_DOORBELL)
	s_mov_b32 ttmp2, m0
	s_waitcnt lgkmcnt(0)
	s_and_b32 s0, s0, 0x3ff
	s_delay_alu instid0(SALU_CYCLE_1) | instskip(NEXT) | instid1(SALU_CYCLE_1)
	s_bitset1_b32 s0, 10
	s_mov_b32 m0, s0
	s_sendmsg sendmsg(MSG_INTERRUPT)
	s_mov_b32 m0, ttmp2
.LBB4_2783:                             ; =>This Inner Loop Header: Depth=1
	s_sethalt 5
	s_branch .LBB4_2783
.LBB4_2784:
	s_trap 2
	s_sendmsg_rtn_b32 s0, sendmsg(MSG_RTN_GET_DOORBELL)
	s_mov_b32 ttmp2, m0
	s_waitcnt lgkmcnt(0)
	s_and_b32 s0, s0, 0x3ff
	s_delay_alu instid0(SALU_CYCLE_1) | instskip(NEXT) | instid1(SALU_CYCLE_1)
	s_bitset1_b32 s0, 10
	s_mov_b32 m0, s0
	s_sendmsg sendmsg(MSG_INTERRUPT)
	s_mov_b32 m0, ttmp2
.LBB4_2785:                             ; =>This Inner Loop Header: Depth=1
	s_sethalt 5
	s_branch .LBB4_2785
.LBB4_2786:
	s_trap 2
	s_sendmsg_rtn_b32 s0, sendmsg(MSG_RTN_GET_DOORBELL)
	s_mov_b32 ttmp2, m0
	s_waitcnt lgkmcnt(0)
	s_and_b32 s0, s0, 0x3ff
	s_delay_alu instid0(SALU_CYCLE_1) | instskip(NEXT) | instid1(SALU_CYCLE_1)
	s_bitset1_b32 s0, 10
	s_mov_b32 m0, s0
	s_sendmsg sendmsg(MSG_INTERRUPT)
	s_mov_b32 m0, ttmp2
.LBB4_2787:                             ; =>This Inner Loop Header: Depth=1
	s_sethalt 5
	s_branch .LBB4_2787
.LBB4_2788:
	s_trap 2
	s_sendmsg_rtn_b32 s0, sendmsg(MSG_RTN_GET_DOORBELL)
	s_mov_b32 ttmp2, m0
	s_waitcnt lgkmcnt(0)
	s_and_b32 s0, s0, 0x3ff
	s_delay_alu instid0(SALU_CYCLE_1) | instskip(NEXT) | instid1(SALU_CYCLE_1)
	s_bitset1_b32 s0, 10
	s_mov_b32 m0, s0
	s_sendmsg sendmsg(MSG_INTERRUPT)
	s_mov_b32 m0, ttmp2
.LBB4_2789:                             ; =>This Inner Loop Header: Depth=1
	s_sethalt 5
	s_branch .LBB4_2789
.LBB4_2790:
	s_trap 2
	s_sendmsg_rtn_b32 s0, sendmsg(MSG_RTN_GET_DOORBELL)
	s_mov_b32 ttmp2, m0
	s_waitcnt lgkmcnt(0)
	s_and_b32 s0, s0, 0x3ff
	s_delay_alu instid0(SALU_CYCLE_1) | instskip(NEXT) | instid1(SALU_CYCLE_1)
	s_bitset1_b32 s0, 10
	s_mov_b32 m0, s0
	s_sendmsg sendmsg(MSG_INTERRUPT)
	s_mov_b32 m0, ttmp2
.LBB4_2791:                             ; =>This Inner Loop Header: Depth=1
	s_sethalt 5
	s_branch .LBB4_2791
.LBB4_2792:
	s_trap 2
	s_sendmsg_rtn_b32 s0, sendmsg(MSG_RTN_GET_DOORBELL)
	s_mov_b32 ttmp2, m0
	s_waitcnt lgkmcnt(0)
	s_and_b32 s0, s0, 0x3ff
	s_delay_alu instid0(SALU_CYCLE_1) | instskip(NEXT) | instid1(SALU_CYCLE_1)
	s_bitset1_b32 s0, 10
	s_mov_b32 m0, s0
	s_sendmsg sendmsg(MSG_INTERRUPT)
	s_mov_b32 m0, ttmp2
.LBB4_2793:                             ; =>This Inner Loop Header: Depth=1
	s_sethalt 5
	s_branch .LBB4_2793
.LBB4_2794:
	s_trap 2
	s_sendmsg_rtn_b32 s0, sendmsg(MSG_RTN_GET_DOORBELL)
	s_mov_b32 ttmp2, m0
	s_waitcnt lgkmcnt(0)
	s_and_b32 s0, s0, 0x3ff
	s_delay_alu instid0(SALU_CYCLE_1) | instskip(NEXT) | instid1(SALU_CYCLE_1)
	s_bitset1_b32 s0, 10
	s_mov_b32 m0, s0
	s_sendmsg sendmsg(MSG_INTERRUPT)
	s_mov_b32 m0, ttmp2
.LBB4_2795:                             ; =>This Inner Loop Header: Depth=1
	s_sethalt 5
	s_branch .LBB4_2795
.LBB4_2796:
	s_trap 2
	s_sendmsg_rtn_b32 s0, sendmsg(MSG_RTN_GET_DOORBELL)
	s_mov_b32 ttmp2, m0
	s_waitcnt lgkmcnt(0)
	s_and_b32 s0, s0, 0x3ff
	s_delay_alu instid0(SALU_CYCLE_1) | instskip(NEXT) | instid1(SALU_CYCLE_1)
	s_bitset1_b32 s0, 10
	s_mov_b32 m0, s0
	s_sendmsg sendmsg(MSG_INTERRUPT)
	s_mov_b32 m0, ttmp2
.LBB4_2797:                             ; =>This Inner Loop Header: Depth=1
	s_sethalt 5
	s_branch .LBB4_2797
.LBB4_2798:
	s_trap 2
	s_sendmsg_rtn_b32 s0, sendmsg(MSG_RTN_GET_DOORBELL)
	s_mov_b32 ttmp2, m0
	s_waitcnt lgkmcnt(0)
	s_and_b32 s0, s0, 0x3ff
	s_delay_alu instid0(SALU_CYCLE_1) | instskip(NEXT) | instid1(SALU_CYCLE_1)
	s_bitset1_b32 s0, 10
	s_mov_b32 m0, s0
	s_sendmsg sendmsg(MSG_INTERRUPT)
	s_mov_b32 m0, ttmp2
.LBB4_2799:                             ; =>This Inner Loop Header: Depth=1
	s_sethalt 5
	s_branch .LBB4_2799
.LBB4_2800:
	s_trap 2
	s_sendmsg_rtn_b32 s0, sendmsg(MSG_RTN_GET_DOORBELL)
	s_mov_b32 ttmp2, m0
	s_waitcnt lgkmcnt(0)
	s_and_b32 s0, s0, 0x3ff
	s_delay_alu instid0(SALU_CYCLE_1) | instskip(NEXT) | instid1(SALU_CYCLE_1)
	s_bitset1_b32 s0, 10
	s_mov_b32 m0, s0
	s_sendmsg sendmsg(MSG_INTERRUPT)
	s_mov_b32 m0, ttmp2
.LBB4_2801:                             ; =>This Inner Loop Header: Depth=1
	s_sethalt 5
	s_branch .LBB4_2801
.LBB4_2802:
	s_trap 2
	s_sendmsg_rtn_b32 s0, sendmsg(MSG_RTN_GET_DOORBELL)
	s_mov_b32 ttmp2, m0
	s_waitcnt lgkmcnt(0)
	s_and_b32 s0, s0, 0x3ff
	s_delay_alu instid0(SALU_CYCLE_1) | instskip(NEXT) | instid1(SALU_CYCLE_1)
	s_bitset1_b32 s0, 10
	s_mov_b32 m0, s0
	s_sendmsg sendmsg(MSG_INTERRUPT)
	s_mov_b32 m0, ttmp2
.LBB4_2803:                             ; =>This Inner Loop Header: Depth=1
	s_sethalt 5
	s_branch .LBB4_2803
.LBB4_2804:
	s_trap 2
	s_sendmsg_rtn_b32 s0, sendmsg(MSG_RTN_GET_DOORBELL)
	s_mov_b32 ttmp2, m0
	s_waitcnt lgkmcnt(0)
	s_and_b32 s0, s0, 0x3ff
	s_delay_alu instid0(SALU_CYCLE_1) | instskip(NEXT) | instid1(SALU_CYCLE_1)
	s_bitset1_b32 s0, 10
	s_mov_b32 m0, s0
	s_sendmsg sendmsg(MSG_INTERRUPT)
	s_mov_b32 m0, ttmp2
.LBB4_2805:                             ; =>This Inner Loop Header: Depth=1
	s_sethalt 5
	s_branch .LBB4_2805
.LBB4_2806:
	s_trap 2
	s_sendmsg_rtn_b32 s0, sendmsg(MSG_RTN_GET_DOORBELL)
	s_mov_b32 ttmp2, m0
	s_waitcnt lgkmcnt(0)
	s_and_b32 s0, s0, 0x3ff
	s_delay_alu instid0(SALU_CYCLE_1) | instskip(NEXT) | instid1(SALU_CYCLE_1)
	s_bitset1_b32 s0, 10
	s_mov_b32 m0, s0
	s_sendmsg sendmsg(MSG_INTERRUPT)
	s_mov_b32 m0, ttmp2
.LBB4_2807:                             ; =>This Inner Loop Header: Depth=1
	s_sethalt 5
	s_branch .LBB4_2807
.LBB4_2808:
	s_trap 2
	s_sendmsg_rtn_b32 s0, sendmsg(MSG_RTN_GET_DOORBELL)
	s_mov_b32 ttmp2, m0
	s_waitcnt lgkmcnt(0)
	s_and_b32 s0, s0, 0x3ff
	s_delay_alu instid0(SALU_CYCLE_1) | instskip(NEXT) | instid1(SALU_CYCLE_1)
	s_bitset1_b32 s0, 10
	s_mov_b32 m0, s0
	s_sendmsg sendmsg(MSG_INTERRUPT)
	s_mov_b32 m0, ttmp2
.LBB4_2809:                             ; =>This Inner Loop Header: Depth=1
	s_sethalt 5
	s_branch .LBB4_2809
.LBB4_2810:
	s_trap 2
	s_sendmsg_rtn_b32 s0, sendmsg(MSG_RTN_GET_DOORBELL)
	s_mov_b32 ttmp2, m0
	s_waitcnt lgkmcnt(0)
	s_and_b32 s0, s0, 0x3ff
	s_delay_alu instid0(SALU_CYCLE_1) | instskip(NEXT) | instid1(SALU_CYCLE_1)
	s_bitset1_b32 s0, 10
	s_mov_b32 m0, s0
	s_sendmsg sendmsg(MSG_INTERRUPT)
	s_mov_b32 m0, ttmp2
.LBB4_2811:                             ; =>This Inner Loop Header: Depth=1
	s_sethalt 5
	s_branch .LBB4_2811
.LBB4_2812:
	s_trap 2
	s_sendmsg_rtn_b32 s0, sendmsg(MSG_RTN_GET_DOORBELL)
	s_mov_b32 ttmp2, m0
	s_waitcnt lgkmcnt(0)
	s_and_b32 s0, s0, 0x3ff
	s_delay_alu instid0(SALU_CYCLE_1) | instskip(NEXT) | instid1(SALU_CYCLE_1)
	s_bitset1_b32 s0, 10
	s_mov_b32 m0, s0
	s_sendmsg sendmsg(MSG_INTERRUPT)
	s_mov_b32 m0, ttmp2
.LBB4_2813:                             ; =>This Inner Loop Header: Depth=1
	s_sethalt 5
	s_branch .LBB4_2813
.LBB4_2814:
	s_trap 2
	s_sendmsg_rtn_b32 s0, sendmsg(MSG_RTN_GET_DOORBELL)
	s_mov_b32 ttmp2, m0
	s_waitcnt lgkmcnt(0)
	s_and_b32 s0, s0, 0x3ff
	s_delay_alu instid0(SALU_CYCLE_1) | instskip(NEXT) | instid1(SALU_CYCLE_1)
	s_bitset1_b32 s0, 10
	s_mov_b32 m0, s0
	s_sendmsg sendmsg(MSG_INTERRUPT)
	s_mov_b32 m0, ttmp2
.LBB4_2815:                             ; =>This Inner Loop Header: Depth=1
	s_sethalt 5
	s_branch .LBB4_2815
.LBB4_2816:
	s_trap 2
	s_sendmsg_rtn_b32 s0, sendmsg(MSG_RTN_GET_DOORBELL)
	s_mov_b32 ttmp2, m0
	s_waitcnt lgkmcnt(0)
	s_and_b32 s0, s0, 0x3ff
	s_delay_alu instid0(SALU_CYCLE_1) | instskip(NEXT) | instid1(SALU_CYCLE_1)
	s_bitset1_b32 s0, 10
	s_mov_b32 m0, s0
	s_sendmsg sendmsg(MSG_INTERRUPT)
	s_mov_b32 m0, ttmp2
.LBB4_2817:                             ; =>This Inner Loop Header: Depth=1
	s_sethalt 5
	s_branch .LBB4_2817
.LBB4_2818:
	s_trap 2
	s_sendmsg_rtn_b32 s0, sendmsg(MSG_RTN_GET_DOORBELL)
	s_mov_b32 ttmp2, m0
	s_waitcnt lgkmcnt(0)
	s_and_b32 s0, s0, 0x3ff
	s_delay_alu instid0(SALU_CYCLE_1) | instskip(NEXT) | instid1(SALU_CYCLE_1)
	s_bitset1_b32 s0, 10
	s_mov_b32 m0, s0
	s_sendmsg sendmsg(MSG_INTERRUPT)
	s_mov_b32 m0, ttmp2
.LBB4_2819:                             ; =>This Inner Loop Header: Depth=1
	s_sethalt 5
	s_branch .LBB4_2819
.LBB4_2820:
	s_trap 2
	s_sendmsg_rtn_b32 s0, sendmsg(MSG_RTN_GET_DOORBELL)
	s_mov_b32 ttmp2, m0
	s_waitcnt lgkmcnt(0)
	s_and_b32 s0, s0, 0x3ff
	s_delay_alu instid0(SALU_CYCLE_1) | instskip(NEXT) | instid1(SALU_CYCLE_1)
	s_bitset1_b32 s0, 10
	s_mov_b32 m0, s0
	s_sendmsg sendmsg(MSG_INTERRUPT)
	s_mov_b32 m0, ttmp2
.LBB4_2821:                             ; =>This Inner Loop Header: Depth=1
	s_sethalt 5
	s_branch .LBB4_2821
.LBB4_2822:
	s_trap 2
	s_sendmsg_rtn_b32 s0, sendmsg(MSG_RTN_GET_DOORBELL)
	s_mov_b32 ttmp2, m0
	s_waitcnt lgkmcnt(0)
	s_and_b32 s0, s0, 0x3ff
	s_delay_alu instid0(SALU_CYCLE_1) | instskip(NEXT) | instid1(SALU_CYCLE_1)
	s_bitset1_b32 s0, 10
	s_mov_b32 m0, s0
	s_sendmsg sendmsg(MSG_INTERRUPT)
	s_mov_b32 m0, ttmp2
.LBB4_2823:                             ; =>This Inner Loop Header: Depth=1
	s_sethalt 5
	s_branch .LBB4_2823
.LBB4_2824:
	s_trap 2
	s_sendmsg_rtn_b32 s0, sendmsg(MSG_RTN_GET_DOORBELL)
	s_mov_b32 ttmp2, m0
	s_waitcnt lgkmcnt(0)
	s_and_b32 s0, s0, 0x3ff
	s_delay_alu instid0(SALU_CYCLE_1) | instskip(NEXT) | instid1(SALU_CYCLE_1)
	s_bitset1_b32 s0, 10
	s_mov_b32 m0, s0
	s_sendmsg sendmsg(MSG_INTERRUPT)
	s_mov_b32 m0, ttmp2
.LBB4_2825:                             ; =>This Inner Loop Header: Depth=1
	s_sethalt 5
	s_branch .LBB4_2825
.LBB4_2826:
	s_trap 2
	s_sendmsg_rtn_b32 s0, sendmsg(MSG_RTN_GET_DOORBELL)
	s_mov_b32 ttmp2, m0
	s_waitcnt lgkmcnt(0)
	s_and_b32 s0, s0, 0x3ff
	s_delay_alu instid0(SALU_CYCLE_1) | instskip(NEXT) | instid1(SALU_CYCLE_1)
	s_bitset1_b32 s0, 10
	s_mov_b32 m0, s0
	s_sendmsg sendmsg(MSG_INTERRUPT)
	s_mov_b32 m0, ttmp2
.LBB4_2827:                             ; =>This Inner Loop Header: Depth=1
	s_sethalt 5
	s_branch .LBB4_2827
.LBB4_2828:
	s_trap 2
	s_sendmsg_rtn_b32 s0, sendmsg(MSG_RTN_GET_DOORBELL)
	s_mov_b32 ttmp2, m0
	s_waitcnt lgkmcnt(0)
	s_and_b32 s0, s0, 0x3ff
	s_delay_alu instid0(SALU_CYCLE_1) | instskip(NEXT) | instid1(SALU_CYCLE_1)
	s_bitset1_b32 s0, 10
	s_mov_b32 m0, s0
	s_sendmsg sendmsg(MSG_INTERRUPT)
	s_mov_b32 m0, ttmp2
.LBB4_2829:                             ; =>This Inner Loop Header: Depth=1
	s_sethalt 5
	s_branch .LBB4_2829
.LBB4_2830:
	s_trap 2
	s_sendmsg_rtn_b32 s0, sendmsg(MSG_RTN_GET_DOORBELL)
	s_mov_b32 ttmp2, m0
	s_waitcnt lgkmcnt(0)
	s_and_b32 s0, s0, 0x3ff
	s_delay_alu instid0(SALU_CYCLE_1) | instskip(NEXT) | instid1(SALU_CYCLE_1)
	s_bitset1_b32 s0, 10
	s_mov_b32 m0, s0
	s_sendmsg sendmsg(MSG_INTERRUPT)
	s_mov_b32 m0, ttmp2
.LBB4_2831:                             ; =>This Inner Loop Header: Depth=1
	s_sethalt 5
	s_branch .LBB4_2831
.LBB4_2832:
	s_trap 2
	s_sendmsg_rtn_b32 s0, sendmsg(MSG_RTN_GET_DOORBELL)
	s_mov_b32 ttmp2, m0
	s_waitcnt lgkmcnt(0)
	s_and_b32 s0, s0, 0x3ff
	s_delay_alu instid0(SALU_CYCLE_1) | instskip(NEXT) | instid1(SALU_CYCLE_1)
	s_bitset1_b32 s0, 10
	s_mov_b32 m0, s0
	s_sendmsg sendmsg(MSG_INTERRUPT)
	s_mov_b32 m0, ttmp2
.LBB4_2833:                             ; =>This Inner Loop Header: Depth=1
	s_sethalt 5
	s_branch .LBB4_2833
.LBB4_2834:
	s_or_b32 exec_lo, exec_lo, s4
	s_and_saveexec_b32 s4, s5
	s_delay_alu instid0(SALU_CYCLE_1)
	s_xor_b32 s4, exec_lo, s4
	s_cbranch_execz .LBB4_2836
; %bb.2835:
	v_mov_b32_e32 v0, 1
	ds_store_b32 v0, v0
	s_cbranch_execnz .LBB4_2924
.LBB4_2836:
	s_or_b32 exec_lo, exec_lo, s3
	;;#ASMSTART
	s_wakeup
	;;#ASMEND
.LBB4_2837:
	s_or_b32 exec_lo, exec_lo, s2
.LBB4_2838:
	s_and_not1_saveexec_b32 s1, s1
	s_cbranch_execz .LBB4_2840
; %bb.2839:
	s_waitcnt lgkmcnt(0)
	s_waitcnt_vscnt null, 0x0
	buffer_gl1_inv
	buffer_gl0_inv
	s_barrier
.LBB4_2840:
	s_or_b32 exec_lo, exec_lo, s0
.LBB4_2841:
	s_and_not1_saveexec_b32 s21, s18
	s_cbranch_execz .LBB4_2843
; %bb.2842:
	s_getpc_b64 s[0:1]
	s_add_u32 s0, s0, __PRETTY_FUNCTION__._ZN10PrimitivesI6__half10FuncMinMaxIS0_E12FanSymmetricILi1EELi0E11ProtoSimpleILi2ELi2ELi0ELi2ELi0ELi0EELi0ELb0ELi0ELi0ELi0EEC2EiiPKiS9_PKvPvmhhhP15ncclDevWorkCollP14ncclDevWorkP2pii@rel32@lo+4
	s_addc_u32 s1, s1, __PRETTY_FUNCTION__._ZN10PrimitivesI6__half10FuncMinMaxIS0_E12FanSymmetricILi1EELi0E11ProtoSimpleILi2ELi2ELi0ELi2ELi0ELi0EELi0ELb0ELi0ELi0ELi0EEC2EiiPKiS9_PKvPvmhhhP15ncclDevWorkCollP14ncclDevWorkP2pii@rel32@hi+12
	s_delay_alu instid0(SALU_CYCLE_1) | instskip(SKIP_3) | instid1(SALU_CYCLE_1)
	v_dual_mov_b32 v0, s0 :: v_dual_mov_b32 v1, s1
	s_getpc_b64 s[2:3]
	s_add_u32 s2, s2, __assert_fail@rel32@lo+4
	s_addc_u32 s3, s3, __assert_fail@rel32@hi+12
	s_swappc_b64 s[30:31], s[2:3]
	; divergent unreachable
.LBB4_2843:
	s_or_b32 exec_lo, exec_lo, s21
	scratch_load_b32 v40, off, s33          ; 4-byte Folded Reload
	v_readlane_b32 s30, v41, 12
	v_readlane_b32 s31, v41, 13
	v_readlane_b32 s45, v41, 11
	v_readlane_b32 s44, v41, 10
	v_readlane_b32 s43, v41, 9
	v_readlane_b32 s42, v41, 8
	v_readlane_b32 s41, v41, 7
	v_readlane_b32 s40, v41, 6
	v_readlane_b32 s39, v41, 5
	v_readlane_b32 s38, v41, 4
	v_readlane_b32 s37, v41, 3
	v_readlane_b32 s36, v41, 2
	v_readlane_b32 s35, v41, 1
	v_readlane_b32 s34, v41, 0
	v_readlane_b32 s0, v41, 14
	s_or_saveexec_b32 s1, -1
	s_clause 0x1
	scratch_load_b32 v41, off, s33 offset:4
	scratch_load_b32 v42, off, s33 offset:8
	s_mov_b32 exec_lo, s1
	s_add_i32 s32, s32, -16
	s_mov_b32 s33, s0
	s_waitcnt vmcnt(0) lgkmcnt(0)
	s_setpc_b64 s[30:31]
.LBB4_2844:
	s_trap 2
	s_sendmsg_rtn_b32 s0, sendmsg(MSG_RTN_GET_DOORBELL)
	s_mov_b32 ttmp2, m0
	s_waitcnt lgkmcnt(0)
	s_and_b32 s0, s0, 0x3ff
	s_delay_alu instid0(SALU_CYCLE_1) | instskip(NEXT) | instid1(SALU_CYCLE_1)
	s_bitset1_b32 s0, 10
	s_mov_b32 m0, s0
	s_sendmsg sendmsg(MSG_INTERRUPT)
	s_mov_b32 m0, ttmp2
.LBB4_2845:                             ; =>This Inner Loop Header: Depth=1
	s_sethalt 5
	s_branch .LBB4_2845
.LBB4_2846:
	s_trap 2
	s_sendmsg_rtn_b32 s0, sendmsg(MSG_RTN_GET_DOORBELL)
	s_mov_b32 ttmp2, m0
	s_waitcnt lgkmcnt(0)
	s_and_b32 s0, s0, 0x3ff
	s_delay_alu instid0(SALU_CYCLE_1) | instskip(NEXT) | instid1(SALU_CYCLE_1)
	s_bitset1_b32 s0, 10
	s_mov_b32 m0, s0
	s_sendmsg sendmsg(MSG_INTERRUPT)
	s_mov_b32 m0, ttmp2
.LBB4_2847:                             ; =>This Inner Loop Header: Depth=1
	s_sethalt 5
	s_branch .LBB4_2847
.LBB4_2848:
	s_trap 2
	s_sendmsg_rtn_b32 s0, sendmsg(MSG_RTN_GET_DOORBELL)
	s_mov_b32 ttmp2, m0
	s_waitcnt lgkmcnt(0)
	s_and_b32 s0, s0, 0x3ff
	s_delay_alu instid0(SALU_CYCLE_1) | instskip(NEXT) | instid1(SALU_CYCLE_1)
	s_bitset1_b32 s0, 10
	s_mov_b32 m0, s0
	s_sendmsg sendmsg(MSG_INTERRUPT)
	s_mov_b32 m0, ttmp2
.LBB4_2849:                             ; =>This Inner Loop Header: Depth=1
	s_sethalt 5
	s_branch .LBB4_2849
.LBB4_2850:
	s_trap 2
	s_sendmsg_rtn_b32 s0, sendmsg(MSG_RTN_GET_DOORBELL)
	s_mov_b32 ttmp2, m0
	s_waitcnt lgkmcnt(0)
	s_and_b32 s0, s0, 0x3ff
	s_delay_alu instid0(SALU_CYCLE_1) | instskip(NEXT) | instid1(SALU_CYCLE_1)
	s_bitset1_b32 s0, 10
	s_mov_b32 m0, s0
	s_sendmsg sendmsg(MSG_INTERRUPT)
	s_mov_b32 m0, ttmp2
.LBB4_2851:                             ; =>This Inner Loop Header: Depth=1
	s_sethalt 5
	s_branch .LBB4_2851
.LBB4_2852:
	s_trap 2
	s_sendmsg_rtn_b32 s0, sendmsg(MSG_RTN_GET_DOORBELL)
	s_mov_b32 ttmp2, m0
	s_waitcnt lgkmcnt(0)
	s_and_b32 s0, s0, 0x3ff
	s_delay_alu instid0(SALU_CYCLE_1) | instskip(NEXT) | instid1(SALU_CYCLE_1)
	s_bitset1_b32 s0, 10
	s_mov_b32 m0, s0
	s_sendmsg sendmsg(MSG_INTERRUPT)
	s_mov_b32 m0, ttmp2
.LBB4_2853:                             ; =>This Inner Loop Header: Depth=1
	s_sethalt 5
	s_branch .LBB4_2853
.LBB4_2854:
	s_trap 2
	s_sendmsg_rtn_b32 s0, sendmsg(MSG_RTN_GET_DOORBELL)
	s_mov_b32 ttmp2, m0
	s_waitcnt lgkmcnt(0)
	s_and_b32 s0, s0, 0x3ff
	s_delay_alu instid0(SALU_CYCLE_1) | instskip(NEXT) | instid1(SALU_CYCLE_1)
	s_bitset1_b32 s0, 10
	s_mov_b32 m0, s0
	s_sendmsg sendmsg(MSG_INTERRUPT)
	s_mov_b32 m0, ttmp2
.LBB4_2855:                             ; =>This Inner Loop Header: Depth=1
	s_sethalt 5
	s_branch .LBB4_2855
.LBB4_2856:
	s_trap 2
	s_sendmsg_rtn_b32 s0, sendmsg(MSG_RTN_GET_DOORBELL)
	s_mov_b32 ttmp2, m0
	s_waitcnt lgkmcnt(0)
	s_and_b32 s0, s0, 0x3ff
	s_delay_alu instid0(SALU_CYCLE_1) | instskip(NEXT) | instid1(SALU_CYCLE_1)
	s_bitset1_b32 s0, 10
	s_mov_b32 m0, s0
	s_sendmsg sendmsg(MSG_INTERRUPT)
	s_mov_b32 m0, ttmp2
.LBB4_2857:                             ; =>This Inner Loop Header: Depth=1
	s_sethalt 5
	s_branch .LBB4_2857
.LBB4_2858:
	s_trap 2
	s_sendmsg_rtn_b32 s0, sendmsg(MSG_RTN_GET_DOORBELL)
	s_mov_b32 ttmp2, m0
	s_waitcnt lgkmcnt(0)
	s_and_b32 s0, s0, 0x3ff
	s_delay_alu instid0(SALU_CYCLE_1) | instskip(NEXT) | instid1(SALU_CYCLE_1)
	s_bitset1_b32 s0, 10
	s_mov_b32 m0, s0
	s_sendmsg sendmsg(MSG_INTERRUPT)
	s_mov_b32 m0, ttmp2
.LBB4_2859:                             ; =>This Inner Loop Header: Depth=1
	s_sethalt 5
	s_branch .LBB4_2859
.LBB4_2860:
	s_trap 2
	s_sendmsg_rtn_b32 s0, sendmsg(MSG_RTN_GET_DOORBELL)
	s_mov_b32 ttmp2, m0
	s_waitcnt lgkmcnt(0)
	s_and_b32 s0, s0, 0x3ff
	s_delay_alu instid0(SALU_CYCLE_1) | instskip(NEXT) | instid1(SALU_CYCLE_1)
	s_bitset1_b32 s0, 10
	s_mov_b32 m0, s0
	s_sendmsg sendmsg(MSG_INTERRUPT)
	s_mov_b32 m0, ttmp2
.LBB4_2861:                             ; =>This Inner Loop Header: Depth=1
	s_sethalt 5
	s_branch .LBB4_2861
.LBB4_2862:
	s_trap 2
	s_sendmsg_rtn_b32 s0, sendmsg(MSG_RTN_GET_DOORBELL)
	s_mov_b32 ttmp2, m0
	s_waitcnt lgkmcnt(0)
	s_and_b32 s0, s0, 0x3ff
	s_delay_alu instid0(SALU_CYCLE_1) | instskip(NEXT) | instid1(SALU_CYCLE_1)
	s_bitset1_b32 s0, 10
	s_mov_b32 m0, s0
	s_sendmsg sendmsg(MSG_INTERRUPT)
	s_mov_b32 m0, ttmp2
.LBB4_2863:                             ; =>This Inner Loop Header: Depth=1
	s_sethalt 5
	s_branch .LBB4_2863
.LBB4_2864:
	s_trap 2
	s_sendmsg_rtn_b32 s0, sendmsg(MSG_RTN_GET_DOORBELL)
	s_mov_b32 ttmp2, m0
	s_waitcnt lgkmcnt(0)
	s_and_b32 s0, s0, 0x3ff
	s_delay_alu instid0(SALU_CYCLE_1) | instskip(NEXT) | instid1(SALU_CYCLE_1)
	s_bitset1_b32 s0, 10
	s_mov_b32 m0, s0
	s_sendmsg sendmsg(MSG_INTERRUPT)
	s_mov_b32 m0, ttmp2
.LBB4_2865:                             ; =>This Inner Loop Header: Depth=1
	s_sethalt 5
	s_branch .LBB4_2865
.LBB4_2866:
	s_trap 2
	s_sendmsg_rtn_b32 s0, sendmsg(MSG_RTN_GET_DOORBELL)
	s_mov_b32 ttmp2, m0
	s_waitcnt lgkmcnt(0)
	s_and_b32 s0, s0, 0x3ff
	s_delay_alu instid0(SALU_CYCLE_1) | instskip(NEXT) | instid1(SALU_CYCLE_1)
	s_bitset1_b32 s0, 10
	s_mov_b32 m0, s0
	s_sendmsg sendmsg(MSG_INTERRUPT)
	s_mov_b32 m0, ttmp2
.LBB4_2867:                             ; =>This Inner Loop Header: Depth=1
	s_sethalt 5
	s_branch .LBB4_2867
.LBB4_2868:
	s_trap 2
	s_sendmsg_rtn_b32 s0, sendmsg(MSG_RTN_GET_DOORBELL)
	s_mov_b32 ttmp2, m0
	s_waitcnt lgkmcnt(0)
	s_and_b32 s0, s0, 0x3ff
	s_delay_alu instid0(SALU_CYCLE_1) | instskip(NEXT) | instid1(SALU_CYCLE_1)
	s_bitset1_b32 s0, 10
	s_mov_b32 m0, s0
	s_sendmsg sendmsg(MSG_INTERRUPT)
	s_mov_b32 m0, ttmp2
.LBB4_2869:                             ; =>This Inner Loop Header: Depth=1
	s_sethalt 5
	s_branch .LBB4_2869
.LBB4_2870:
	s_trap 2
	s_sendmsg_rtn_b32 s0, sendmsg(MSG_RTN_GET_DOORBELL)
	s_mov_b32 ttmp2, m0
	s_waitcnt lgkmcnt(0)
	s_and_b32 s0, s0, 0x3ff
	s_delay_alu instid0(SALU_CYCLE_1) | instskip(NEXT) | instid1(SALU_CYCLE_1)
	s_bitset1_b32 s0, 10
	s_mov_b32 m0, s0
	s_sendmsg sendmsg(MSG_INTERRUPT)
	s_mov_b32 m0, ttmp2
.LBB4_2871:                             ; =>This Inner Loop Header: Depth=1
	s_sethalt 5
	s_branch .LBB4_2871
.LBB4_2872:
	s_trap 2
	s_sendmsg_rtn_b32 s0, sendmsg(MSG_RTN_GET_DOORBELL)
	s_mov_b32 ttmp2, m0
	s_waitcnt lgkmcnt(0)
	s_and_b32 s0, s0, 0x3ff
	s_delay_alu instid0(SALU_CYCLE_1) | instskip(NEXT) | instid1(SALU_CYCLE_1)
	s_bitset1_b32 s0, 10
	s_mov_b32 m0, s0
	s_sendmsg sendmsg(MSG_INTERRUPT)
	s_mov_b32 m0, ttmp2
.LBB4_2873:                             ; =>This Inner Loop Header: Depth=1
	s_sethalt 5
	s_branch .LBB4_2873
.LBB4_2874:
	s_trap 2
	s_sendmsg_rtn_b32 s0, sendmsg(MSG_RTN_GET_DOORBELL)
	s_mov_b32 ttmp2, m0
	s_waitcnt lgkmcnt(0)
	s_and_b32 s0, s0, 0x3ff
	s_delay_alu instid0(SALU_CYCLE_1) | instskip(NEXT) | instid1(SALU_CYCLE_1)
	s_bitset1_b32 s0, 10
	s_mov_b32 m0, s0
	s_sendmsg sendmsg(MSG_INTERRUPT)
	s_mov_b32 m0, ttmp2
.LBB4_2875:                             ; =>This Inner Loop Header: Depth=1
	s_sethalt 5
	s_branch .LBB4_2875
.LBB4_2876:
	s_trap 2
	s_sendmsg_rtn_b32 s0, sendmsg(MSG_RTN_GET_DOORBELL)
	s_mov_b32 ttmp2, m0
	s_waitcnt lgkmcnt(0)
	s_and_b32 s0, s0, 0x3ff
	s_delay_alu instid0(SALU_CYCLE_1) | instskip(NEXT) | instid1(SALU_CYCLE_1)
	s_bitset1_b32 s0, 10
	s_mov_b32 m0, s0
	s_sendmsg sendmsg(MSG_INTERRUPT)
	s_mov_b32 m0, ttmp2
.LBB4_2877:                             ; =>This Inner Loop Header: Depth=1
	s_sethalt 5
	s_branch .LBB4_2877
.LBB4_2878:
	s_trap 2
	s_sendmsg_rtn_b32 s0, sendmsg(MSG_RTN_GET_DOORBELL)
	s_mov_b32 ttmp2, m0
	s_waitcnt lgkmcnt(0)
	s_and_b32 s0, s0, 0x3ff
	s_delay_alu instid0(SALU_CYCLE_1) | instskip(NEXT) | instid1(SALU_CYCLE_1)
	s_bitset1_b32 s0, 10
	s_mov_b32 m0, s0
	s_sendmsg sendmsg(MSG_INTERRUPT)
	s_mov_b32 m0, ttmp2
.LBB4_2879:                             ; =>This Inner Loop Header: Depth=1
	s_sethalt 5
	s_branch .LBB4_2879
.LBB4_2880:
	s_trap 2
	s_sendmsg_rtn_b32 s0, sendmsg(MSG_RTN_GET_DOORBELL)
	s_mov_b32 ttmp2, m0
	s_waitcnt lgkmcnt(0)
	s_and_b32 s0, s0, 0x3ff
	s_delay_alu instid0(SALU_CYCLE_1) | instskip(NEXT) | instid1(SALU_CYCLE_1)
	s_bitset1_b32 s0, 10
	s_mov_b32 m0, s0
	s_sendmsg sendmsg(MSG_INTERRUPT)
	s_mov_b32 m0, ttmp2
.LBB4_2881:                             ; =>This Inner Loop Header: Depth=1
	s_sethalt 5
	s_branch .LBB4_2881
.LBB4_2882:
	s_trap 2
	s_sendmsg_rtn_b32 s0, sendmsg(MSG_RTN_GET_DOORBELL)
	s_mov_b32 ttmp2, m0
	s_waitcnt lgkmcnt(0)
	s_and_b32 s0, s0, 0x3ff
	s_delay_alu instid0(SALU_CYCLE_1) | instskip(NEXT) | instid1(SALU_CYCLE_1)
	s_bitset1_b32 s0, 10
	s_mov_b32 m0, s0
	s_sendmsg sendmsg(MSG_INTERRUPT)
	s_mov_b32 m0, ttmp2
.LBB4_2883:                             ; =>This Inner Loop Header: Depth=1
	s_sethalt 5
	s_branch .LBB4_2883
.LBB4_2884:
	s_trap 2
	s_sendmsg_rtn_b32 s0, sendmsg(MSG_RTN_GET_DOORBELL)
	s_mov_b32 ttmp2, m0
	s_waitcnt lgkmcnt(0)
	s_and_b32 s0, s0, 0x3ff
	s_delay_alu instid0(SALU_CYCLE_1) | instskip(NEXT) | instid1(SALU_CYCLE_1)
	s_bitset1_b32 s0, 10
	s_mov_b32 m0, s0
	s_sendmsg sendmsg(MSG_INTERRUPT)
	s_mov_b32 m0, ttmp2
.LBB4_2885:                             ; =>This Inner Loop Header: Depth=1
	s_sethalt 5
	s_branch .LBB4_2885
.LBB4_2886:
	s_trap 2
	s_sendmsg_rtn_b32 s0, sendmsg(MSG_RTN_GET_DOORBELL)
	s_mov_b32 ttmp2, m0
	s_waitcnt lgkmcnt(0)
	s_and_b32 s0, s0, 0x3ff
	s_delay_alu instid0(SALU_CYCLE_1) | instskip(NEXT) | instid1(SALU_CYCLE_1)
	s_bitset1_b32 s0, 10
	s_mov_b32 m0, s0
	s_sendmsg sendmsg(MSG_INTERRUPT)
	s_mov_b32 m0, ttmp2
.LBB4_2887:                             ; =>This Inner Loop Header: Depth=1
	s_sethalt 5
	s_branch .LBB4_2887
.LBB4_2888:
	s_trap 2
	s_sendmsg_rtn_b32 s0, sendmsg(MSG_RTN_GET_DOORBELL)
	s_mov_b32 ttmp2, m0
	s_waitcnt lgkmcnt(0)
	s_and_b32 s0, s0, 0x3ff
	s_delay_alu instid0(SALU_CYCLE_1) | instskip(NEXT) | instid1(SALU_CYCLE_1)
	s_bitset1_b32 s0, 10
	s_mov_b32 m0, s0
	s_sendmsg sendmsg(MSG_INTERRUPT)
	s_mov_b32 m0, ttmp2
.LBB4_2889:                             ; =>This Inner Loop Header: Depth=1
	s_sethalt 5
	s_branch .LBB4_2889
.LBB4_2890:
	s_trap 2
	s_sendmsg_rtn_b32 s0, sendmsg(MSG_RTN_GET_DOORBELL)
	s_mov_b32 ttmp2, m0
	s_waitcnt lgkmcnt(0)
	s_and_b32 s0, s0, 0x3ff
	s_delay_alu instid0(SALU_CYCLE_1) | instskip(NEXT) | instid1(SALU_CYCLE_1)
	s_bitset1_b32 s0, 10
	s_mov_b32 m0, s0
	s_sendmsg sendmsg(MSG_INTERRUPT)
	s_mov_b32 m0, ttmp2
.LBB4_2891:                             ; =>This Inner Loop Header: Depth=1
	s_sethalt 5
	s_branch .LBB4_2891
.LBB4_2892:
	s_trap 2
	s_sendmsg_rtn_b32 s0, sendmsg(MSG_RTN_GET_DOORBELL)
	s_mov_b32 ttmp2, m0
	s_waitcnt lgkmcnt(0)
	s_and_b32 s0, s0, 0x3ff
	s_delay_alu instid0(SALU_CYCLE_1) | instskip(NEXT) | instid1(SALU_CYCLE_1)
	s_bitset1_b32 s0, 10
	s_mov_b32 m0, s0
	s_sendmsg sendmsg(MSG_INTERRUPT)
	s_mov_b32 m0, ttmp2
.LBB4_2893:                             ; =>This Inner Loop Header: Depth=1
	s_sethalt 5
	s_branch .LBB4_2893
.LBB4_2894:
	s_trap 2
	s_sendmsg_rtn_b32 s0, sendmsg(MSG_RTN_GET_DOORBELL)
	s_mov_b32 ttmp2, m0
	s_waitcnt lgkmcnt(0)
	s_and_b32 s0, s0, 0x3ff
	s_delay_alu instid0(SALU_CYCLE_1) | instskip(NEXT) | instid1(SALU_CYCLE_1)
	s_bitset1_b32 s0, 10
	s_mov_b32 m0, s0
	s_sendmsg sendmsg(MSG_INTERRUPT)
	s_mov_b32 m0, ttmp2
.LBB4_2895:                             ; =>This Inner Loop Header: Depth=1
	s_sethalt 5
	s_branch .LBB4_2895
.LBB4_2896:
	s_trap 2
	s_sendmsg_rtn_b32 s0, sendmsg(MSG_RTN_GET_DOORBELL)
	s_mov_b32 ttmp2, m0
	s_waitcnt lgkmcnt(0)
	s_and_b32 s0, s0, 0x3ff
	s_delay_alu instid0(SALU_CYCLE_1) | instskip(NEXT) | instid1(SALU_CYCLE_1)
	s_bitset1_b32 s0, 10
	s_mov_b32 m0, s0
	s_sendmsg sendmsg(MSG_INTERRUPT)
	s_mov_b32 m0, ttmp2
.LBB4_2897:                             ; =>This Inner Loop Header: Depth=1
	s_sethalt 5
	s_branch .LBB4_2897
.LBB4_2898:
	s_trap 2
	s_sendmsg_rtn_b32 s0, sendmsg(MSG_RTN_GET_DOORBELL)
	s_mov_b32 ttmp2, m0
	s_waitcnt lgkmcnt(0)
	s_and_b32 s0, s0, 0x3ff
	s_delay_alu instid0(SALU_CYCLE_1) | instskip(NEXT) | instid1(SALU_CYCLE_1)
	s_bitset1_b32 s0, 10
	s_mov_b32 m0, s0
	s_sendmsg sendmsg(MSG_INTERRUPT)
	s_mov_b32 m0, ttmp2
.LBB4_2899:                             ; =>This Inner Loop Header: Depth=1
	s_sethalt 5
	s_branch .LBB4_2899
.LBB4_2900:
	s_trap 2
	s_sendmsg_rtn_b32 s0, sendmsg(MSG_RTN_GET_DOORBELL)
	s_mov_b32 ttmp2, m0
	s_waitcnt lgkmcnt(0)
	s_and_b32 s0, s0, 0x3ff
	s_delay_alu instid0(SALU_CYCLE_1) | instskip(NEXT) | instid1(SALU_CYCLE_1)
	s_bitset1_b32 s0, 10
	s_mov_b32 m0, s0
	s_sendmsg sendmsg(MSG_INTERRUPT)
	s_mov_b32 m0, ttmp2
.LBB4_2901:                             ; =>This Inner Loop Header: Depth=1
	s_sethalt 5
	s_branch .LBB4_2901
.LBB4_2902:
	s_trap 2
	s_sendmsg_rtn_b32 s0, sendmsg(MSG_RTN_GET_DOORBELL)
	s_mov_b32 ttmp2, m0
	s_waitcnt lgkmcnt(0)
	s_and_b32 s0, s0, 0x3ff
	s_delay_alu instid0(SALU_CYCLE_1) | instskip(NEXT) | instid1(SALU_CYCLE_1)
	s_bitset1_b32 s0, 10
	s_mov_b32 m0, s0
	s_sendmsg sendmsg(MSG_INTERRUPT)
	s_mov_b32 m0, ttmp2
.LBB4_2903:                             ; =>This Inner Loop Header: Depth=1
	s_sethalt 5
	s_branch .LBB4_2903
.LBB4_2904:
	s_trap 2
	s_sendmsg_rtn_b32 s0, sendmsg(MSG_RTN_GET_DOORBELL)
	s_mov_b32 ttmp2, m0
	s_waitcnt lgkmcnt(0)
	s_and_b32 s0, s0, 0x3ff
	s_delay_alu instid0(SALU_CYCLE_1) | instskip(NEXT) | instid1(SALU_CYCLE_1)
	s_bitset1_b32 s0, 10
	s_mov_b32 m0, s0
	s_sendmsg sendmsg(MSG_INTERRUPT)
	s_mov_b32 m0, ttmp2
.LBB4_2905:                             ; =>This Inner Loop Header: Depth=1
	s_sethalt 5
	s_branch .LBB4_2905
.LBB4_2906:
	s_trap 2
	s_sendmsg_rtn_b32 s0, sendmsg(MSG_RTN_GET_DOORBELL)
	s_mov_b32 ttmp2, m0
	s_waitcnt lgkmcnt(0)
	s_and_b32 s0, s0, 0x3ff
	s_delay_alu instid0(SALU_CYCLE_1) | instskip(NEXT) | instid1(SALU_CYCLE_1)
	s_bitset1_b32 s0, 10
	s_mov_b32 m0, s0
	s_sendmsg sendmsg(MSG_INTERRUPT)
	s_mov_b32 m0, ttmp2
.LBB4_2907:                             ; =>This Inner Loop Header: Depth=1
	s_sethalt 5
	s_branch .LBB4_2907
.LBB4_2908:
	s_trap 2
	s_sendmsg_rtn_b32 s0, sendmsg(MSG_RTN_GET_DOORBELL)
	s_mov_b32 ttmp2, m0
	s_waitcnt lgkmcnt(0)
	s_and_b32 s0, s0, 0x3ff
	s_delay_alu instid0(SALU_CYCLE_1) | instskip(NEXT) | instid1(SALU_CYCLE_1)
	s_bitset1_b32 s0, 10
	s_mov_b32 m0, s0
	s_sendmsg sendmsg(MSG_INTERRUPT)
	s_mov_b32 m0, ttmp2
.LBB4_2909:                             ; =>This Inner Loop Header: Depth=1
	s_sethalt 5
	s_branch .LBB4_2909
.LBB4_2910:
	s_trap 2
	s_sendmsg_rtn_b32 s0, sendmsg(MSG_RTN_GET_DOORBELL)
	s_mov_b32 ttmp2, m0
	s_waitcnt lgkmcnt(0)
	s_and_b32 s0, s0, 0x3ff
	s_delay_alu instid0(SALU_CYCLE_1) | instskip(NEXT) | instid1(SALU_CYCLE_1)
	s_bitset1_b32 s0, 10
	s_mov_b32 m0, s0
	s_sendmsg sendmsg(MSG_INTERRUPT)
	s_mov_b32 m0, ttmp2
.LBB4_2911:                             ; =>This Inner Loop Header: Depth=1
	s_sethalt 5
	s_branch .LBB4_2911
.LBB4_2912:
	s_trap 2
	s_sendmsg_rtn_b32 s0, sendmsg(MSG_RTN_GET_DOORBELL)
	s_mov_b32 ttmp2, m0
	s_waitcnt lgkmcnt(0)
	s_and_b32 s0, s0, 0x3ff
	s_delay_alu instid0(SALU_CYCLE_1) | instskip(NEXT) | instid1(SALU_CYCLE_1)
	s_bitset1_b32 s0, 10
	s_mov_b32 m0, s0
	s_sendmsg sendmsg(MSG_INTERRUPT)
	s_mov_b32 m0, ttmp2
.LBB4_2913:                             ; =>This Inner Loop Header: Depth=1
	s_sethalt 5
	s_branch .LBB4_2913
.LBB4_2914:
	s_trap 2
	s_sendmsg_rtn_b32 s0, sendmsg(MSG_RTN_GET_DOORBELL)
	s_mov_b32 ttmp2, m0
	s_waitcnt lgkmcnt(0)
	s_and_b32 s0, s0, 0x3ff
	s_delay_alu instid0(SALU_CYCLE_1) | instskip(NEXT) | instid1(SALU_CYCLE_1)
	s_bitset1_b32 s0, 10
	s_mov_b32 m0, s0
	s_sendmsg sendmsg(MSG_INTERRUPT)
	s_mov_b32 m0, ttmp2
.LBB4_2915:                             ; =>This Inner Loop Header: Depth=1
	s_sethalt 5
	s_branch .LBB4_2915
.LBB4_2916:
	s_trap 2
	s_sendmsg_rtn_b32 s0, sendmsg(MSG_RTN_GET_DOORBELL)
	s_mov_b32 ttmp2, m0
	s_waitcnt lgkmcnt(0)
	s_and_b32 s0, s0, 0x3ff
	s_delay_alu instid0(SALU_CYCLE_1) | instskip(NEXT) | instid1(SALU_CYCLE_1)
	s_bitset1_b32 s0, 10
	s_mov_b32 m0, s0
	s_sendmsg sendmsg(MSG_INTERRUPT)
	s_mov_b32 m0, ttmp2
.LBB4_2917:                             ; =>This Inner Loop Header: Depth=1
	s_sethalt 5
	s_branch .LBB4_2917
.LBB4_2918:
	s_trap 2
	s_sendmsg_rtn_b32 s0, sendmsg(MSG_RTN_GET_DOORBELL)
	s_mov_b32 ttmp2, m0
	s_waitcnt lgkmcnt(0)
	s_and_b32 s0, s0, 0x3ff
	s_delay_alu instid0(SALU_CYCLE_1) | instskip(NEXT) | instid1(SALU_CYCLE_1)
	s_bitset1_b32 s0, 10
	s_mov_b32 m0, s0
	s_sendmsg sendmsg(MSG_INTERRUPT)
	s_mov_b32 m0, ttmp2
.LBB4_2919:                             ; =>This Inner Loop Header: Depth=1
	s_sethalt 5
	s_branch .LBB4_2919
.LBB4_2920:
	s_trap 2
	s_sendmsg_rtn_b32 s0, sendmsg(MSG_RTN_GET_DOORBELL)
	s_mov_b32 ttmp2, m0
	s_waitcnt lgkmcnt(0)
	s_and_b32 s0, s0, 0x3ff
	s_delay_alu instid0(SALU_CYCLE_1) | instskip(NEXT) | instid1(SALU_CYCLE_1)
	s_bitset1_b32 s0, 10
	s_mov_b32 m0, s0
	s_sendmsg sendmsg(MSG_INTERRUPT)
	s_mov_b32 m0, ttmp2
.LBB4_2921:                             ; =>This Inner Loop Header: Depth=1
	s_sethalt 5
	s_branch .LBB4_2921
.LBB4_2922:
	s_trap 2
	s_sendmsg_rtn_b32 s0, sendmsg(MSG_RTN_GET_DOORBELL)
	s_mov_b32 ttmp2, m0
	s_waitcnt lgkmcnt(0)
	s_and_b32 s0, s0, 0x3ff
	s_delay_alu instid0(SALU_CYCLE_1) | instskip(NEXT) | instid1(SALU_CYCLE_1)
	s_bitset1_b32 s0, 10
	s_mov_b32 m0, s0
	s_sendmsg sendmsg(MSG_INTERRUPT)
	s_mov_b32 m0, ttmp2
.LBB4_2923:                             ; =>This Inner Loop Header: Depth=1
	s_sethalt 5
	s_branch .LBB4_2923
.LBB4_2924:
	s_trap 2
	s_sendmsg_rtn_b32 s0, sendmsg(MSG_RTN_GET_DOORBELL)
	s_mov_b32 ttmp2, m0
	s_waitcnt lgkmcnt(0)
	s_and_b32 s0, s0, 0x3ff
	s_delay_alu instid0(SALU_CYCLE_1) | instskip(NEXT) | instid1(SALU_CYCLE_1)
	s_bitset1_b32 s0, 10
	s_mov_b32 m0, s0
	s_sendmsg sendmsg(MSG_INTERRUPT)
	s_mov_b32 m0, ttmp2
.LBB4_2925:                             ; =>This Inner Loop Header: Depth=1
	s_sethalt 5
	s_branch .LBB4_2925
.LBB4_2926:
	s_trap 2
	s_sendmsg_rtn_b32 s0, sendmsg(MSG_RTN_GET_DOORBELL)
	s_mov_b32 ttmp2, m0
	s_waitcnt lgkmcnt(0)
	s_and_b32 s0, s0, 0x3ff
	s_delay_alu instid0(SALU_CYCLE_1) | instskip(NEXT) | instid1(SALU_CYCLE_1)
	s_bitset1_b32 s0, 10
	s_mov_b32 m0, s0
	s_sendmsg sendmsg(MSG_INTERRUPT)
	s_mov_b32 m0, ttmp2
.LBB4_2927:                             ; =>This Inner Loop Header: Depth=1
	s_sethalt 5
	s_branch .LBB4_2927
.LBB4_2928:
	s_trap 2
	s_sendmsg_rtn_b32 s0, sendmsg(MSG_RTN_GET_DOORBELL)
	s_mov_b32 ttmp2, m0
	s_waitcnt lgkmcnt(0)
	s_and_b32 s0, s0, 0x3ff
	s_delay_alu instid0(SALU_CYCLE_1) | instskip(NEXT) | instid1(SALU_CYCLE_1)
	s_bitset1_b32 s0, 10
	s_mov_b32 m0, s0
	s_sendmsg sendmsg(MSG_INTERRUPT)
	s_mov_b32 m0, ttmp2
.LBB4_2929:                             ; =>This Inner Loop Header: Depth=1
	s_sethalt 5
	s_branch .LBB4_2929
.LBB4_2930:
	s_trap 2
	s_sendmsg_rtn_b32 s0, sendmsg(MSG_RTN_GET_DOORBELL)
	s_mov_b32 ttmp2, m0
	s_waitcnt lgkmcnt(0)
	s_and_b32 s0, s0, 0x3ff
	s_delay_alu instid0(SALU_CYCLE_1) | instskip(NEXT) | instid1(SALU_CYCLE_1)
	s_bitset1_b32 s0, 10
	s_mov_b32 m0, s0
	s_sendmsg sendmsg(MSG_INTERRUPT)
	s_mov_b32 m0, ttmp2
.LBB4_2931:                             ; =>This Inner Loop Header: Depth=1
	s_sethalt 5
	s_branch .LBB4_2931
.LBB4_2932:
	s_trap 2
	s_sendmsg_rtn_b32 s0, sendmsg(MSG_RTN_GET_DOORBELL)
	s_mov_b32 ttmp2, m0
	s_waitcnt lgkmcnt(0)
	s_and_b32 s0, s0, 0x3ff
	s_delay_alu instid0(SALU_CYCLE_1) | instskip(NEXT) | instid1(SALU_CYCLE_1)
	s_bitset1_b32 s0, 10
	s_mov_b32 m0, s0
	s_sendmsg sendmsg(MSG_INTERRUPT)
	s_mov_b32 m0, ttmp2
.LBB4_2933:                             ; =>This Inner Loop Header: Depth=1
	s_sethalt 5
	s_branch .LBB4_2933
.LBB4_2934:
	s_trap 2
	s_sendmsg_rtn_b32 s0, sendmsg(MSG_RTN_GET_DOORBELL)
	s_mov_b32 ttmp2, m0
	s_waitcnt lgkmcnt(0)
	s_and_b32 s0, s0, 0x3ff
	s_delay_alu instid0(SALU_CYCLE_1) | instskip(NEXT) | instid1(SALU_CYCLE_1)
	s_bitset1_b32 s0, 10
	s_mov_b32 m0, s0
	s_sendmsg sendmsg(MSG_INTERRUPT)
	s_mov_b32 m0, ttmp2
.LBB4_2935:                             ; =>This Inner Loop Header: Depth=1
	s_sethalt 5
	s_branch .LBB4_2935
.LBB4_2936:
	s_trap 2
	s_sendmsg_rtn_b32 s0, sendmsg(MSG_RTN_GET_DOORBELL)
	s_mov_b32 ttmp2, m0
	s_waitcnt lgkmcnt(0)
	s_and_b32 s0, s0, 0x3ff
	s_delay_alu instid0(SALU_CYCLE_1) | instskip(NEXT) | instid1(SALU_CYCLE_1)
	s_bitset1_b32 s0, 10
	s_mov_b32 m0, s0
	s_sendmsg sendmsg(MSG_INTERRUPT)
	s_mov_b32 m0, ttmp2
.LBB4_2937:                             ; =>This Inner Loop Header: Depth=1
	s_sethalt 5
	s_branch .LBB4_2937
.LBB4_2938:
	s_trap 2
	s_sendmsg_rtn_b32 s0, sendmsg(MSG_RTN_GET_DOORBELL)
	s_mov_b32 ttmp2, m0
	s_waitcnt lgkmcnt(0)
	s_and_b32 s0, s0, 0x3ff
	s_delay_alu instid0(SALU_CYCLE_1) | instskip(NEXT) | instid1(SALU_CYCLE_1)
	s_bitset1_b32 s0, 10
	s_mov_b32 m0, s0
	s_sendmsg sendmsg(MSG_INTERRUPT)
	s_mov_b32 m0, ttmp2
.LBB4_2939:                             ; =>This Inner Loop Header: Depth=1
	s_sethalt 5
	s_branch .LBB4_2939
.LBB4_2940:
	s_trap 2
	s_sendmsg_rtn_b32 s0, sendmsg(MSG_RTN_GET_DOORBELL)
	s_mov_b32 ttmp2, m0
	s_waitcnt lgkmcnt(0)
	s_and_b32 s0, s0, 0x3ff
	s_delay_alu instid0(SALU_CYCLE_1) | instskip(NEXT) | instid1(SALU_CYCLE_1)
	s_bitset1_b32 s0, 10
	s_mov_b32 m0, s0
	s_sendmsg sendmsg(MSG_INTERRUPT)
	s_mov_b32 m0, ttmp2
.LBB4_2941:                             ; =>This Inner Loop Header: Depth=1
	s_sethalt 5
	s_branch .LBB4_2941
.LBB4_2942:
	s_trap 2
	s_sendmsg_rtn_b32 s0, sendmsg(MSG_RTN_GET_DOORBELL)
	s_mov_b32 ttmp2, m0
	s_waitcnt lgkmcnt(0)
	s_and_b32 s0, s0, 0x3ff
	s_delay_alu instid0(SALU_CYCLE_1) | instskip(NEXT) | instid1(SALU_CYCLE_1)
	s_bitset1_b32 s0, 10
	s_mov_b32 m0, s0
	s_sendmsg sendmsg(MSG_INTERRUPT)
	s_mov_b32 m0, ttmp2
.LBB4_2943:                             ; =>This Inner Loop Header: Depth=1
	s_sethalt 5
	s_branch .LBB4_2943
.LBB4_2944:
	s_trap 2
	s_sendmsg_rtn_b32 s0, sendmsg(MSG_RTN_GET_DOORBELL)
	s_mov_b32 ttmp2, m0
	s_waitcnt lgkmcnt(0)
	s_and_b32 s0, s0, 0x3ff
	s_delay_alu instid0(SALU_CYCLE_1) | instskip(NEXT) | instid1(SALU_CYCLE_1)
	s_bitset1_b32 s0, 10
	s_mov_b32 m0, s0
	s_sendmsg sendmsg(MSG_INTERRUPT)
	s_mov_b32 m0, ttmp2
.LBB4_2945:                             ; =>This Inner Loop Header: Depth=1
	s_sethalt 5
	s_branch .LBB4_2945
.LBB4_2946:
	s_trap 2
	s_sendmsg_rtn_b32 s0, sendmsg(MSG_RTN_GET_DOORBELL)
	s_mov_b32 ttmp2, m0
	s_waitcnt lgkmcnt(0)
	s_and_b32 s0, s0, 0x3ff
	s_delay_alu instid0(SALU_CYCLE_1) | instskip(NEXT) | instid1(SALU_CYCLE_1)
	s_bitset1_b32 s0, 10
	s_mov_b32 m0, s0
	s_sendmsg sendmsg(MSG_INTERRUPT)
	s_mov_b32 m0, ttmp2
.LBB4_2947:                             ; =>This Inner Loop Header: Depth=1
	s_sethalt 5
	s_branch .LBB4_2947
.LBB4_2948:
	s_trap 2
	s_sendmsg_rtn_b32 s0, sendmsg(MSG_RTN_GET_DOORBELL)
	s_mov_b32 ttmp2, m0
	s_waitcnt lgkmcnt(0)
	s_and_b32 s0, s0, 0x3ff
	s_delay_alu instid0(SALU_CYCLE_1) | instskip(NEXT) | instid1(SALU_CYCLE_1)
	s_bitset1_b32 s0, 10
	s_mov_b32 m0, s0
	s_sendmsg sendmsg(MSG_INTERRUPT)
	s_mov_b32 m0, ttmp2
.LBB4_2949:                             ; =>This Inner Loop Header: Depth=1
	s_sethalt 5
	s_branch .LBB4_2949
.LBB4_2950:
	s_trap 2
	s_sendmsg_rtn_b32 s0, sendmsg(MSG_RTN_GET_DOORBELL)
	s_mov_b32 ttmp2, m0
	s_waitcnt lgkmcnt(0)
	s_and_b32 s0, s0, 0x3ff
	s_delay_alu instid0(SALU_CYCLE_1) | instskip(NEXT) | instid1(SALU_CYCLE_1)
	s_bitset1_b32 s0, 10
	s_mov_b32 m0, s0
	s_sendmsg sendmsg(MSG_INTERRUPT)
	s_mov_b32 m0, ttmp2
.LBB4_2951:                             ; =>This Inner Loop Header: Depth=1
	s_sethalt 5
	s_branch .LBB4_2951
.LBB4_2952:
	s_trap 2
	s_sendmsg_rtn_b32 s0, sendmsg(MSG_RTN_GET_DOORBELL)
	s_mov_b32 ttmp2, m0
	s_waitcnt lgkmcnt(0)
	s_and_b32 s0, s0, 0x3ff
	s_delay_alu instid0(SALU_CYCLE_1) | instskip(NEXT) | instid1(SALU_CYCLE_1)
	s_bitset1_b32 s0, 10
	s_mov_b32 m0, s0
	s_sendmsg sendmsg(MSG_INTERRUPT)
	s_mov_b32 m0, ttmp2
.LBB4_2953:                             ; =>This Inner Loop Header: Depth=1
	s_sethalt 5
	s_branch .LBB4_2953
.LBB4_2954:
	s_trap 2
	s_sendmsg_rtn_b32 s0, sendmsg(MSG_RTN_GET_DOORBELL)
	s_mov_b32 ttmp2, m0
	s_waitcnt lgkmcnt(0)
	s_and_b32 s0, s0, 0x3ff
	s_delay_alu instid0(SALU_CYCLE_1) | instskip(NEXT) | instid1(SALU_CYCLE_1)
	s_bitset1_b32 s0, 10
	s_mov_b32 m0, s0
	s_sendmsg sendmsg(MSG_INTERRUPT)
	s_mov_b32 m0, ttmp2
.LBB4_2955:                             ; =>This Inner Loop Header: Depth=1
	s_sethalt 5
	s_branch .LBB4_2955
.LBB4_2956:
	s_trap 2
	s_sendmsg_rtn_b32 s0, sendmsg(MSG_RTN_GET_DOORBELL)
	s_mov_b32 ttmp2, m0
	s_waitcnt lgkmcnt(0)
	s_and_b32 s0, s0, 0x3ff
	s_delay_alu instid0(SALU_CYCLE_1) | instskip(NEXT) | instid1(SALU_CYCLE_1)
	s_bitset1_b32 s0, 10
	s_mov_b32 m0, s0
	s_sendmsg sendmsg(MSG_INTERRUPT)
	s_mov_b32 m0, ttmp2
.LBB4_2957:                             ; =>This Inner Loop Header: Depth=1
	s_sethalt 5
	s_branch .LBB4_2957
.LBB4_2958:
	s_trap 2
	s_sendmsg_rtn_b32 s0, sendmsg(MSG_RTN_GET_DOORBELL)
	s_mov_b32 ttmp2, m0
	s_waitcnt lgkmcnt(0)
	s_and_b32 s0, s0, 0x3ff
	s_delay_alu instid0(SALU_CYCLE_1) | instskip(NEXT) | instid1(SALU_CYCLE_1)
	s_bitset1_b32 s0, 10
	s_mov_b32 m0, s0
	s_sendmsg sendmsg(MSG_INTERRUPT)
	s_mov_b32 m0, ttmp2
.LBB4_2959:                             ; =>This Inner Loop Header: Depth=1
	s_sethalt 5
	s_branch .LBB4_2959
.LBB4_2960:
	s_trap 2
	s_sendmsg_rtn_b32 s0, sendmsg(MSG_RTN_GET_DOORBELL)
	s_mov_b32 ttmp2, m0
	s_waitcnt lgkmcnt(0)
	s_and_b32 s0, s0, 0x3ff
	s_delay_alu instid0(SALU_CYCLE_1) | instskip(NEXT) | instid1(SALU_CYCLE_1)
	s_bitset1_b32 s0, 10
	s_mov_b32 m0, s0
	s_sendmsg sendmsg(MSG_INTERRUPT)
	s_mov_b32 m0, ttmp2
.LBB4_2961:                             ; =>This Inner Loop Header: Depth=1
	s_sethalt 5
	s_branch .LBB4_2961
.LBB4_2962:
	s_trap 2
	s_sendmsg_rtn_b32 s0, sendmsg(MSG_RTN_GET_DOORBELL)
	s_mov_b32 ttmp2, m0
	s_waitcnt lgkmcnt(0)
	s_and_b32 s0, s0, 0x3ff
	s_delay_alu instid0(SALU_CYCLE_1) | instskip(NEXT) | instid1(SALU_CYCLE_1)
	s_bitset1_b32 s0, 10
	s_mov_b32 m0, s0
	s_sendmsg sendmsg(MSG_INTERRUPT)
	s_mov_b32 m0, ttmp2
.LBB4_2963:                             ; =>This Inner Loop Header: Depth=1
	s_sethalt 5
	s_branch .LBB4_2963
.LBB4_2964:
	s_trap 2
	s_sendmsg_rtn_b32 s0, sendmsg(MSG_RTN_GET_DOORBELL)
	s_mov_b32 ttmp2, m0
	s_waitcnt lgkmcnt(0)
	s_and_b32 s0, s0, 0x3ff
	s_delay_alu instid0(SALU_CYCLE_1) | instskip(NEXT) | instid1(SALU_CYCLE_1)
	s_bitset1_b32 s0, 10
	s_mov_b32 m0, s0
	s_sendmsg sendmsg(MSG_INTERRUPT)
	s_mov_b32 m0, ttmp2
.LBB4_2965:                             ; =>This Inner Loop Header: Depth=1
	s_sethalt 5
	s_branch .LBB4_2965
.LBB4_2966:
	s_trap 2
	s_sendmsg_rtn_b32 s0, sendmsg(MSG_RTN_GET_DOORBELL)
	s_mov_b32 ttmp2, m0
	s_waitcnt lgkmcnt(0)
	s_and_b32 s0, s0, 0x3ff
	s_delay_alu instid0(SALU_CYCLE_1) | instskip(NEXT) | instid1(SALU_CYCLE_1)
	s_bitset1_b32 s0, 10
	s_mov_b32 m0, s0
	s_sendmsg sendmsg(MSG_INTERRUPT)
	s_mov_b32 m0, ttmp2
.LBB4_2967:                             ; =>This Inner Loop Header: Depth=1
	s_sethalt 5
	s_branch .LBB4_2967
.LBB4_2968:
	s_trap 2
	s_sendmsg_rtn_b32 s0, sendmsg(MSG_RTN_GET_DOORBELL)
	s_mov_b32 ttmp2, m0
	s_waitcnt lgkmcnt(0)
	s_and_b32 s0, s0, 0x3ff
	s_delay_alu instid0(SALU_CYCLE_1) | instskip(NEXT) | instid1(SALU_CYCLE_1)
	s_bitset1_b32 s0, 10
	s_mov_b32 m0, s0
	s_sendmsg sendmsg(MSG_INTERRUPT)
	s_mov_b32 m0, ttmp2
.LBB4_2969:                             ; =>This Inner Loop Header: Depth=1
	s_sethalt 5
	s_branch .LBB4_2969
.LBB4_2970:
	s_trap 2
	s_sendmsg_rtn_b32 s0, sendmsg(MSG_RTN_GET_DOORBELL)
	s_mov_b32 ttmp2, m0
	s_waitcnt lgkmcnt(0)
	s_and_b32 s0, s0, 0x3ff
	s_delay_alu instid0(SALU_CYCLE_1) | instskip(NEXT) | instid1(SALU_CYCLE_1)
	s_bitset1_b32 s0, 10
	s_mov_b32 m0, s0
	s_sendmsg sendmsg(MSG_INTERRUPT)
	s_mov_b32 m0, ttmp2
.LBB4_2971:                             ; =>This Inner Loop Header: Depth=1
	s_sethalt 5
	s_branch .LBB4_2971
.LBB4_2972:
	s_trap 2
	s_sendmsg_rtn_b32 s0, sendmsg(MSG_RTN_GET_DOORBELL)
	s_mov_b32 ttmp2, m0
	s_waitcnt lgkmcnt(0)
	s_and_b32 s0, s0, 0x3ff
	s_delay_alu instid0(SALU_CYCLE_1) | instskip(NEXT) | instid1(SALU_CYCLE_1)
	s_bitset1_b32 s0, 10
	s_mov_b32 m0, s0
	s_sendmsg sendmsg(MSG_INTERRUPT)
	s_mov_b32 m0, ttmp2
.LBB4_2973:                             ; =>This Inner Loop Header: Depth=1
	s_sethalt 5
	s_branch .LBB4_2973
.LBB4_2974:
	s_trap 2
	s_sendmsg_rtn_b32 s0, sendmsg(MSG_RTN_GET_DOORBELL)
	s_mov_b32 ttmp2, m0
	s_waitcnt lgkmcnt(0)
	s_and_b32 s0, s0, 0x3ff
	s_delay_alu instid0(SALU_CYCLE_1) | instskip(NEXT) | instid1(SALU_CYCLE_1)
	s_bitset1_b32 s0, 10
	s_mov_b32 m0, s0
	s_sendmsg sendmsg(MSG_INTERRUPT)
	s_mov_b32 m0, ttmp2
.LBB4_2975:                             ; =>This Inner Loop Header: Depth=1
	s_sethalt 5
	s_branch .LBB4_2975
.LBB4_2976:
	s_trap 2
	s_sendmsg_rtn_b32 s0, sendmsg(MSG_RTN_GET_DOORBELL)
	s_mov_b32 ttmp2, m0
	s_waitcnt lgkmcnt(0)
	s_and_b32 s0, s0, 0x3ff
	s_delay_alu instid0(SALU_CYCLE_1) | instskip(NEXT) | instid1(SALU_CYCLE_1)
	s_bitset1_b32 s0, 10
	s_mov_b32 m0, s0
	s_sendmsg sendmsg(MSG_INTERRUPT)
	s_mov_b32 m0, ttmp2
.LBB4_2977:                             ; =>This Inner Loop Header: Depth=1
	s_sethalt 5
	s_branch .LBB4_2977
.LBB4_2978:
	s_trap 2
	s_sendmsg_rtn_b32 s0, sendmsg(MSG_RTN_GET_DOORBELL)
	s_mov_b32 ttmp2, m0
	s_waitcnt lgkmcnt(0)
	s_and_b32 s0, s0, 0x3ff
	s_delay_alu instid0(SALU_CYCLE_1) | instskip(NEXT) | instid1(SALU_CYCLE_1)
	s_bitset1_b32 s0, 10
	s_mov_b32 m0, s0
	s_sendmsg sendmsg(MSG_INTERRUPT)
	s_mov_b32 m0, ttmp2
.LBB4_2979:                             ; =>This Inner Loop Header: Depth=1
	s_sethalt 5
	s_branch .LBB4_2979
.LBB4_2980:
	s_trap 2
	s_sendmsg_rtn_b32 s0, sendmsg(MSG_RTN_GET_DOORBELL)
	s_mov_b32 ttmp2, m0
	s_waitcnt lgkmcnt(0)
	s_and_b32 s0, s0, 0x3ff
	s_delay_alu instid0(SALU_CYCLE_1) | instskip(NEXT) | instid1(SALU_CYCLE_1)
	s_bitset1_b32 s0, 10
	s_mov_b32 m0, s0
	s_sendmsg sendmsg(MSG_INTERRUPT)
	s_mov_b32 m0, ttmp2
.LBB4_2981:                             ; =>This Inner Loop Header: Depth=1
	s_sethalt 5
	s_branch .LBB4_2981
.LBB4_2982:
	s_trap 2
	s_sendmsg_rtn_b32 s0, sendmsg(MSG_RTN_GET_DOORBELL)
	s_mov_b32 ttmp2, m0
	s_waitcnt lgkmcnt(0)
	s_and_b32 s0, s0, 0x3ff
	s_delay_alu instid0(SALU_CYCLE_1) | instskip(NEXT) | instid1(SALU_CYCLE_1)
	s_bitset1_b32 s0, 10
	s_mov_b32 m0, s0
	s_sendmsg sendmsg(MSG_INTERRUPT)
	s_mov_b32 m0, ttmp2
.LBB4_2983:                             ; =>This Inner Loop Header: Depth=1
	s_sethalt 5
	s_branch .LBB4_2983
.LBB4_2984:
	s_trap 2
	s_sendmsg_rtn_b32 s0, sendmsg(MSG_RTN_GET_DOORBELL)
	s_mov_b32 ttmp2, m0
	s_waitcnt lgkmcnt(0)
	s_and_b32 s0, s0, 0x3ff
	s_delay_alu instid0(SALU_CYCLE_1) | instskip(NEXT) | instid1(SALU_CYCLE_1)
	s_bitset1_b32 s0, 10
	s_mov_b32 m0, s0
	s_sendmsg sendmsg(MSG_INTERRUPT)
	s_mov_b32 m0, ttmp2
.LBB4_2985:                             ; =>This Inner Loop Header: Depth=1
	s_sethalt 5
	s_branch .LBB4_2985
.LBB4_2986:
	s_trap 2
	s_sendmsg_rtn_b32 s0, sendmsg(MSG_RTN_GET_DOORBELL)
	s_mov_b32 ttmp2, m0
	s_waitcnt lgkmcnt(0)
	s_and_b32 s0, s0, 0x3ff
	s_delay_alu instid0(SALU_CYCLE_1) | instskip(NEXT) | instid1(SALU_CYCLE_1)
	s_bitset1_b32 s0, 10
	s_mov_b32 m0, s0
	s_sendmsg sendmsg(MSG_INTERRUPT)
	s_mov_b32 m0, ttmp2
.LBB4_2987:                             ; =>This Inner Loop Header: Depth=1
	s_sethalt 5
	s_branch .LBB4_2987
.LBB4_2988:
	s_trap 2
	s_sendmsg_rtn_b32 s0, sendmsg(MSG_RTN_GET_DOORBELL)
	s_mov_b32 ttmp2, m0
	s_waitcnt lgkmcnt(0)
	s_and_b32 s0, s0, 0x3ff
	s_delay_alu instid0(SALU_CYCLE_1) | instskip(NEXT) | instid1(SALU_CYCLE_1)
	s_bitset1_b32 s0, 10
	s_mov_b32 m0, s0
	s_sendmsg sendmsg(MSG_INTERRUPT)
	s_mov_b32 m0, ttmp2
.LBB4_2989:                             ; =>This Inner Loop Header: Depth=1
	s_sethalt 5
	s_branch .LBB4_2989
.LBB4_2990:
	s_trap 2
	s_sendmsg_rtn_b32 s0, sendmsg(MSG_RTN_GET_DOORBELL)
	s_mov_b32 ttmp2, m0
	s_waitcnt lgkmcnt(0)
	s_and_b32 s0, s0, 0x3ff
	s_delay_alu instid0(SALU_CYCLE_1) | instskip(NEXT) | instid1(SALU_CYCLE_1)
	s_bitset1_b32 s0, 10
	s_mov_b32 m0, s0
	s_sendmsg sendmsg(MSG_INTERRUPT)
	s_mov_b32 m0, ttmp2
.LBB4_2991:                             ; =>This Inner Loop Header: Depth=1
	s_sethalt 5
	s_branch .LBB4_2991
.LBB4_2992:
	s_trap 2
	s_sendmsg_rtn_b32 s0, sendmsg(MSG_RTN_GET_DOORBELL)
	s_mov_b32 ttmp2, m0
	s_waitcnt lgkmcnt(0)
	s_and_b32 s0, s0, 0x3ff
	s_delay_alu instid0(SALU_CYCLE_1) | instskip(NEXT) | instid1(SALU_CYCLE_1)
	s_bitset1_b32 s0, 10
	s_mov_b32 m0, s0
	s_sendmsg sendmsg(MSG_INTERRUPT)
	s_mov_b32 m0, ttmp2
.LBB4_2993:                             ; =>This Inner Loop Header: Depth=1
	s_sethalt 5
	s_branch .LBB4_2993
.LBB4_2994:
	s_trap 2
	s_sendmsg_rtn_b32 s0, sendmsg(MSG_RTN_GET_DOORBELL)
	s_mov_b32 ttmp2, m0
	s_waitcnt lgkmcnt(0)
	s_and_b32 s0, s0, 0x3ff
	s_delay_alu instid0(SALU_CYCLE_1) | instskip(NEXT) | instid1(SALU_CYCLE_1)
	s_bitset1_b32 s0, 10
	s_mov_b32 m0, s0
	s_sendmsg sendmsg(MSG_INTERRUPT)
	s_mov_b32 m0, ttmp2
.LBB4_2995:                             ; =>This Inner Loop Header: Depth=1
	s_sethalt 5
	s_branch .LBB4_2995
.LBB4_2996:
	s_trap 2
	s_sendmsg_rtn_b32 s0, sendmsg(MSG_RTN_GET_DOORBELL)
	s_mov_b32 ttmp2, m0
	s_waitcnt lgkmcnt(0)
	s_and_b32 s0, s0, 0x3ff
	s_delay_alu instid0(SALU_CYCLE_1) | instskip(NEXT) | instid1(SALU_CYCLE_1)
	s_bitset1_b32 s0, 10
	s_mov_b32 m0, s0
	s_sendmsg sendmsg(MSG_INTERRUPT)
	s_mov_b32 m0, ttmp2
.LBB4_2997:                             ; =>This Inner Loop Header: Depth=1
	s_sethalt 5
	s_branch .LBB4_2997
.LBB4_2998:
	s_trap 2
	s_sendmsg_rtn_b32 s0, sendmsg(MSG_RTN_GET_DOORBELL)
	s_mov_b32 ttmp2, m0
	s_waitcnt lgkmcnt(0)
	s_and_b32 s0, s0, 0x3ff
	s_delay_alu instid0(SALU_CYCLE_1) | instskip(NEXT) | instid1(SALU_CYCLE_1)
	s_bitset1_b32 s0, 10
	s_mov_b32 m0, s0
	s_sendmsg sendmsg(MSG_INTERRUPT)
	s_mov_b32 m0, ttmp2
.LBB4_2999:                             ; =>This Inner Loop Header: Depth=1
	s_sethalt 5
	s_branch .LBB4_2999
.LBB4_3000:
	s_trap 2
	s_sendmsg_rtn_b32 s0, sendmsg(MSG_RTN_GET_DOORBELL)
	s_mov_b32 ttmp2, m0
	s_waitcnt lgkmcnt(0)
	s_and_b32 s0, s0, 0x3ff
	s_delay_alu instid0(SALU_CYCLE_1) | instskip(NEXT) | instid1(SALU_CYCLE_1)
	s_bitset1_b32 s0, 10
	s_mov_b32 m0, s0
	s_sendmsg sendmsg(MSG_INTERRUPT)
	s_mov_b32 m0, ttmp2
.LBB4_3001:                             ; =>This Inner Loop Header: Depth=1
	s_sethalt 5
	s_branch .LBB4_3001
.LBB4_3002:
	s_trap 2
	s_sendmsg_rtn_b32 s0, sendmsg(MSG_RTN_GET_DOORBELL)
	s_mov_b32 ttmp2, m0
	s_waitcnt lgkmcnt(0)
	s_and_b32 s0, s0, 0x3ff
	s_delay_alu instid0(SALU_CYCLE_1) | instskip(NEXT) | instid1(SALU_CYCLE_1)
	s_bitset1_b32 s0, 10
	s_mov_b32 m0, s0
	s_sendmsg sendmsg(MSG_INTERRUPT)
	s_mov_b32 m0, ttmp2
.LBB4_3003:                             ; =>This Inner Loop Header: Depth=1
	s_sethalt 5
	s_branch .LBB4_3003
.LBB4_3004:
	s_trap 2
	s_sendmsg_rtn_b32 s0, sendmsg(MSG_RTN_GET_DOORBELL)
	s_mov_b32 ttmp2, m0
	s_waitcnt lgkmcnt(0)
	s_and_b32 s0, s0, 0x3ff
	s_delay_alu instid0(SALU_CYCLE_1) | instskip(NEXT) | instid1(SALU_CYCLE_1)
	s_bitset1_b32 s0, 10
	s_mov_b32 m0, s0
	s_sendmsg sendmsg(MSG_INTERRUPT)
	s_mov_b32 m0, ttmp2
.LBB4_3005:                             ; =>This Inner Loop Header: Depth=1
	s_sethalt 5
	s_branch .LBB4_3005
.LBB4_3006:
	s_trap 2
	s_sendmsg_rtn_b32 s0, sendmsg(MSG_RTN_GET_DOORBELL)
	s_mov_b32 ttmp2, m0
	s_waitcnt lgkmcnt(0)
	s_and_b32 s0, s0, 0x3ff
	s_delay_alu instid0(SALU_CYCLE_1) | instskip(NEXT) | instid1(SALU_CYCLE_1)
	s_bitset1_b32 s0, 10
	s_mov_b32 m0, s0
	s_sendmsg sendmsg(MSG_INTERRUPT)
	s_mov_b32 m0, ttmp2
.LBB4_3007:                             ; =>This Inner Loop Header: Depth=1
	s_sethalt 5
	s_branch .LBB4_3007
.LBB4_3008:
	s_trap 2
	s_sendmsg_rtn_b32 s0, sendmsg(MSG_RTN_GET_DOORBELL)
	s_mov_b32 ttmp2, m0
	s_waitcnt lgkmcnt(0)
	s_and_b32 s0, s0, 0x3ff
	s_delay_alu instid0(SALU_CYCLE_1) | instskip(NEXT) | instid1(SALU_CYCLE_1)
	s_bitset1_b32 s0, 10
	s_mov_b32 m0, s0
	s_sendmsg sendmsg(MSG_INTERRUPT)
	s_mov_b32 m0, ttmp2
.LBB4_3009:                             ; =>This Inner Loop Header: Depth=1
	s_sethalt 5
	s_branch .LBB4_3009
.LBB4_3010:
	s_trap 2
	s_sendmsg_rtn_b32 s0, sendmsg(MSG_RTN_GET_DOORBELL)
	s_mov_b32 ttmp2, m0
	s_waitcnt lgkmcnt(0)
	s_and_b32 s0, s0, 0x3ff
	s_delay_alu instid0(SALU_CYCLE_1) | instskip(NEXT) | instid1(SALU_CYCLE_1)
	s_bitset1_b32 s0, 10
	s_mov_b32 m0, s0
	s_sendmsg sendmsg(MSG_INTERRUPT)
	s_mov_b32 m0, ttmp2
.LBB4_3011:                             ; =>This Inner Loop Header: Depth=1
	s_sethalt 5
	s_branch .LBB4_3011
.LBB4_3012:
	s_trap 2
	s_sendmsg_rtn_b32 s0, sendmsg(MSG_RTN_GET_DOORBELL)
	s_mov_b32 ttmp2, m0
	s_waitcnt lgkmcnt(0)
	s_and_b32 s0, s0, 0x3ff
	s_delay_alu instid0(SALU_CYCLE_1) | instskip(NEXT) | instid1(SALU_CYCLE_1)
	s_bitset1_b32 s0, 10
	s_mov_b32 m0, s0
	s_sendmsg sendmsg(MSG_INTERRUPT)
	s_mov_b32 m0, ttmp2
.LBB4_3013:                             ; =>This Inner Loop Header: Depth=1
	s_sethalt 5
	s_branch .LBB4_3013
.LBB4_3014:
	s_trap 2
	s_sendmsg_rtn_b32 s0, sendmsg(MSG_RTN_GET_DOORBELL)
	s_mov_b32 ttmp2, m0
	s_waitcnt lgkmcnt(0)
	s_and_b32 s0, s0, 0x3ff
	s_delay_alu instid0(SALU_CYCLE_1) | instskip(NEXT) | instid1(SALU_CYCLE_1)
	s_bitset1_b32 s0, 10
	s_mov_b32 m0, s0
	s_sendmsg sendmsg(MSG_INTERRUPT)
	s_mov_b32 m0, ttmp2
.LBB4_3015:                             ; =>This Inner Loop Header: Depth=1
	s_sethalt 5
	s_branch .LBB4_3015
.LBB4_3016:
	s_trap 2
	s_sendmsg_rtn_b32 s0, sendmsg(MSG_RTN_GET_DOORBELL)
	s_mov_b32 ttmp2, m0
	s_waitcnt lgkmcnt(0)
	s_and_b32 s0, s0, 0x3ff
	s_delay_alu instid0(SALU_CYCLE_1) | instskip(NEXT) | instid1(SALU_CYCLE_1)
	s_bitset1_b32 s0, 10
	s_mov_b32 m0, s0
	s_sendmsg sendmsg(MSG_INTERRUPT)
	s_mov_b32 m0, ttmp2
.LBB4_3017:                             ; =>This Inner Loop Header: Depth=1
	s_sethalt 5
	s_branch .LBB4_3017
.LBB4_3018:
	s_trap 2
	s_sendmsg_rtn_b32 s0, sendmsg(MSG_RTN_GET_DOORBELL)
	s_mov_b32 ttmp2, m0
	s_waitcnt lgkmcnt(0)
	s_and_b32 s0, s0, 0x3ff
	s_delay_alu instid0(SALU_CYCLE_1) | instskip(NEXT) | instid1(SALU_CYCLE_1)
	s_bitset1_b32 s0, 10
	s_mov_b32 m0, s0
	s_sendmsg sendmsg(MSG_INTERRUPT)
	s_mov_b32 m0, ttmp2
.LBB4_3019:                             ; =>This Inner Loop Header: Depth=1
	s_sethalt 5
	s_branch .LBB4_3019
.LBB4_3020:
	s_trap 2
	s_sendmsg_rtn_b32 s0, sendmsg(MSG_RTN_GET_DOORBELL)
	s_mov_b32 ttmp2, m0
	s_waitcnt lgkmcnt(0)
	s_and_b32 s0, s0, 0x3ff
	s_delay_alu instid0(SALU_CYCLE_1) | instskip(NEXT) | instid1(SALU_CYCLE_1)
	s_bitset1_b32 s0, 10
	s_mov_b32 m0, s0
	s_sendmsg sendmsg(MSG_INTERRUPT)
	s_mov_b32 m0, ttmp2
.LBB4_3021:                             ; =>This Inner Loop Header: Depth=1
	s_sethalt 5
	s_branch .LBB4_3021
.LBB4_3022:
	s_trap 2
	s_sendmsg_rtn_b32 s0, sendmsg(MSG_RTN_GET_DOORBELL)
	s_mov_b32 ttmp2, m0
	s_waitcnt lgkmcnt(0)
	s_and_b32 s0, s0, 0x3ff
	s_delay_alu instid0(SALU_CYCLE_1) | instskip(NEXT) | instid1(SALU_CYCLE_1)
	s_bitset1_b32 s0, 10
	s_mov_b32 m0, s0
	s_sendmsg sendmsg(MSG_INTERRUPT)
	s_mov_b32 m0, ttmp2
.LBB4_3023:                             ; =>This Inner Loop Header: Depth=1
	s_sethalt 5
	s_branch .LBB4_3023
.LBB4_3024:
	s_trap 2
	s_sendmsg_rtn_b32 s0, sendmsg(MSG_RTN_GET_DOORBELL)
	s_mov_b32 ttmp2, m0
	s_waitcnt lgkmcnt(0)
	s_and_b32 s0, s0, 0x3ff
	s_delay_alu instid0(SALU_CYCLE_1) | instskip(NEXT) | instid1(SALU_CYCLE_1)
	s_bitset1_b32 s0, 10
	s_mov_b32 m0, s0
	s_sendmsg sendmsg(MSG_INTERRUPT)
	s_mov_b32 m0, ttmp2
.LBB4_3025:                             ; =>This Inner Loop Header: Depth=1
	s_sethalt 5
	s_branch .LBB4_3025
.LBB4_3026:
	s_trap 2
	s_sendmsg_rtn_b32 s0, sendmsg(MSG_RTN_GET_DOORBELL)
	s_mov_b32 ttmp2, m0
	s_waitcnt lgkmcnt(0)
	s_and_b32 s0, s0, 0x3ff
	s_delay_alu instid0(SALU_CYCLE_1) | instskip(NEXT) | instid1(SALU_CYCLE_1)
	s_bitset1_b32 s0, 10
	s_mov_b32 m0, s0
	s_sendmsg sendmsg(MSG_INTERRUPT)
	s_mov_b32 m0, ttmp2
.LBB4_3027:                             ; =>This Inner Loop Header: Depth=1
	s_sethalt 5
	s_branch .LBB4_3027
.LBB4_3028:
	s_trap 2
	s_sendmsg_rtn_b32 s0, sendmsg(MSG_RTN_GET_DOORBELL)
	s_mov_b32 ttmp2, m0
	s_waitcnt lgkmcnt(0)
	s_and_b32 s0, s0, 0x3ff
	s_delay_alu instid0(SALU_CYCLE_1) | instskip(NEXT) | instid1(SALU_CYCLE_1)
	s_bitset1_b32 s0, 10
	s_mov_b32 m0, s0
	s_sendmsg sendmsg(MSG_INTERRUPT)
	s_mov_b32 m0, ttmp2
.LBB4_3029:                             ; =>This Inner Loop Header: Depth=1
	s_sethalt 5
	s_branch .LBB4_3029
.LBB4_3030:
	s_trap 2
	s_sendmsg_rtn_b32 s0, sendmsg(MSG_RTN_GET_DOORBELL)
	s_mov_b32 ttmp2, m0
	s_waitcnt lgkmcnt(0)
	s_and_b32 s0, s0, 0x3ff
	s_delay_alu instid0(SALU_CYCLE_1) | instskip(NEXT) | instid1(SALU_CYCLE_1)
	s_bitset1_b32 s0, 10
	s_mov_b32 m0, s0
	s_sendmsg sendmsg(MSG_INTERRUPT)
	s_mov_b32 m0, ttmp2
.LBB4_3031:                             ; =>This Inner Loop Header: Depth=1
	s_sethalt 5
	s_branch .LBB4_3031
.LBB4_3032:
	s_trap 2
	s_sendmsg_rtn_b32 s0, sendmsg(MSG_RTN_GET_DOORBELL)
	s_mov_b32 ttmp2, m0
	s_waitcnt lgkmcnt(0)
	s_and_b32 s0, s0, 0x3ff
	s_delay_alu instid0(SALU_CYCLE_1) | instskip(NEXT) | instid1(SALU_CYCLE_1)
	s_bitset1_b32 s0, 10
	s_mov_b32 m0, s0
	s_sendmsg sendmsg(MSG_INTERRUPT)
	s_mov_b32 m0, ttmp2
.LBB4_3033:                             ; =>This Inner Loop Header: Depth=1
	s_sethalt 5
	s_branch .LBB4_3033
.LBB4_3034:
	s_trap 2
	s_sendmsg_rtn_b32 s0, sendmsg(MSG_RTN_GET_DOORBELL)
	s_mov_b32 ttmp2, m0
	s_waitcnt lgkmcnt(0)
	s_and_b32 s0, s0, 0x3ff
	s_delay_alu instid0(SALU_CYCLE_1) | instskip(NEXT) | instid1(SALU_CYCLE_1)
	s_bitset1_b32 s0, 10
	s_mov_b32 m0, s0
	s_sendmsg sendmsg(MSG_INTERRUPT)
	s_mov_b32 m0, ttmp2
.LBB4_3035:                             ; =>This Inner Loop Header: Depth=1
	s_sethalt 5
	s_branch .LBB4_3035
.LBB4_3036:
	s_trap 2
	s_sendmsg_rtn_b32 s0, sendmsg(MSG_RTN_GET_DOORBELL)
	s_mov_b32 ttmp2, m0
	s_waitcnt lgkmcnt(0)
	s_and_b32 s0, s0, 0x3ff
	s_delay_alu instid0(SALU_CYCLE_1) | instskip(NEXT) | instid1(SALU_CYCLE_1)
	s_bitset1_b32 s0, 10
	s_mov_b32 m0, s0
	s_sendmsg sendmsg(MSG_INTERRUPT)
	s_mov_b32 m0, ttmp2
.LBB4_3037:                             ; =>This Inner Loop Header: Depth=1
	s_sethalt 5
	s_branch .LBB4_3037
.LBB4_3038:
	s_trap 2
	s_sendmsg_rtn_b32 s0, sendmsg(MSG_RTN_GET_DOORBELL)
	s_mov_b32 ttmp2, m0
	s_waitcnt lgkmcnt(0)
	s_and_b32 s0, s0, 0x3ff
	s_delay_alu instid0(SALU_CYCLE_1) | instskip(NEXT) | instid1(SALU_CYCLE_1)
	s_bitset1_b32 s0, 10
	s_mov_b32 m0, s0
	s_sendmsg sendmsg(MSG_INTERRUPT)
	s_mov_b32 m0, ttmp2
.LBB4_3039:                             ; =>This Inner Loop Header: Depth=1
	s_sethalt 5
	s_branch .LBB4_3039
.LBB4_3040:
	s_trap 2
	s_sendmsg_rtn_b32 s0, sendmsg(MSG_RTN_GET_DOORBELL)
	s_mov_b32 ttmp2, m0
	s_waitcnt lgkmcnt(0)
	s_and_b32 s0, s0, 0x3ff
	s_delay_alu instid0(SALU_CYCLE_1) | instskip(NEXT) | instid1(SALU_CYCLE_1)
	s_bitset1_b32 s0, 10
	s_mov_b32 m0, s0
	s_sendmsg sendmsg(MSG_INTERRUPT)
	s_mov_b32 m0, ttmp2
.LBB4_3041:                             ; =>This Inner Loop Header: Depth=1
	s_sethalt 5
	s_branch .LBB4_3041
.LBB4_3042:
	s_trap 2
	s_sendmsg_rtn_b32 s0, sendmsg(MSG_RTN_GET_DOORBELL)
	s_mov_b32 ttmp2, m0
	s_waitcnt lgkmcnt(0)
	s_and_b32 s0, s0, 0x3ff
	s_delay_alu instid0(SALU_CYCLE_1) | instskip(NEXT) | instid1(SALU_CYCLE_1)
	s_bitset1_b32 s0, 10
	s_mov_b32 m0, s0
	s_sendmsg sendmsg(MSG_INTERRUPT)
	s_mov_b32 m0, ttmp2
.LBB4_3043:                             ; =>This Inner Loop Header: Depth=1
	s_sethalt 5
	s_branch .LBB4_3043
.LBB4_3044:
	s_trap 2
	s_sendmsg_rtn_b32 s0, sendmsg(MSG_RTN_GET_DOORBELL)
	s_mov_b32 ttmp2, m0
	s_waitcnt lgkmcnt(0)
	s_and_b32 s0, s0, 0x3ff
	s_delay_alu instid0(SALU_CYCLE_1) | instskip(NEXT) | instid1(SALU_CYCLE_1)
	s_bitset1_b32 s0, 10
	s_mov_b32 m0, s0
	s_sendmsg sendmsg(MSG_INTERRUPT)
	s_mov_b32 m0, ttmp2
.LBB4_3045:                             ; =>This Inner Loop Header: Depth=1
	s_sethalt 5
	s_branch .LBB4_3045
.LBB4_3046:
	s_trap 2
	s_sendmsg_rtn_b32 s0, sendmsg(MSG_RTN_GET_DOORBELL)
	s_mov_b32 ttmp2, m0
	s_waitcnt lgkmcnt(0)
	s_and_b32 s0, s0, 0x3ff
	s_delay_alu instid0(SALU_CYCLE_1) | instskip(NEXT) | instid1(SALU_CYCLE_1)
	s_bitset1_b32 s0, 10
	s_mov_b32 m0, s0
	s_sendmsg sendmsg(MSG_INTERRUPT)
	s_mov_b32 m0, ttmp2
.LBB4_3047:                             ; =>This Inner Loop Header: Depth=1
	s_sethalt 5
	s_branch .LBB4_3047
.LBB4_3048:
	s_trap 2
	s_sendmsg_rtn_b32 s0, sendmsg(MSG_RTN_GET_DOORBELL)
	s_mov_b32 ttmp2, m0
	s_waitcnt lgkmcnt(0)
	s_and_b32 s0, s0, 0x3ff
	s_delay_alu instid0(SALU_CYCLE_1) | instskip(NEXT) | instid1(SALU_CYCLE_1)
	s_bitset1_b32 s0, 10
	s_mov_b32 m0, s0
	s_sendmsg sendmsg(MSG_INTERRUPT)
	s_mov_b32 m0, ttmp2
.LBB4_3049:                             ; =>This Inner Loop Header: Depth=1
	s_sethalt 5
	s_branch .LBB4_3049
.LBB4_3050:
	s_trap 2
	s_sendmsg_rtn_b32 s0, sendmsg(MSG_RTN_GET_DOORBELL)
	s_mov_b32 ttmp2, m0
	s_waitcnt lgkmcnt(0)
	s_and_b32 s0, s0, 0x3ff
	s_delay_alu instid0(SALU_CYCLE_1) | instskip(NEXT) | instid1(SALU_CYCLE_1)
	s_bitset1_b32 s0, 10
	s_mov_b32 m0, s0
	s_sendmsg sendmsg(MSG_INTERRUPT)
	s_mov_b32 m0, ttmp2
.LBB4_3051:                             ; =>This Inner Loop Header: Depth=1
	s_sethalt 5
	s_branch .LBB4_3051
.LBB4_3052:
	s_trap 2
	s_sendmsg_rtn_b32 s0, sendmsg(MSG_RTN_GET_DOORBELL)
	s_mov_b32 ttmp2, m0
	s_waitcnt lgkmcnt(0)
	s_and_b32 s0, s0, 0x3ff
	s_delay_alu instid0(SALU_CYCLE_1) | instskip(NEXT) | instid1(SALU_CYCLE_1)
	s_bitset1_b32 s0, 10
	s_mov_b32 m0, s0
	s_sendmsg sendmsg(MSG_INTERRUPT)
	s_mov_b32 m0, ttmp2
.LBB4_3053:                             ; =>This Inner Loop Header: Depth=1
	s_sethalt 5
	s_branch .LBB4_3053
.LBB4_3054:
	s_trap 2
	s_sendmsg_rtn_b32 s0, sendmsg(MSG_RTN_GET_DOORBELL)
	s_mov_b32 ttmp2, m0
	s_waitcnt lgkmcnt(0)
	s_and_b32 s0, s0, 0x3ff
	s_delay_alu instid0(SALU_CYCLE_1) | instskip(NEXT) | instid1(SALU_CYCLE_1)
	s_bitset1_b32 s0, 10
	s_mov_b32 m0, s0
	s_sendmsg sendmsg(MSG_INTERRUPT)
	s_mov_b32 m0, ttmp2
.LBB4_3055:                             ; =>This Inner Loop Header: Depth=1
	s_sethalt 5
	s_branch .LBB4_3055
.LBB4_3056:
	s_trap 2
	s_sendmsg_rtn_b32 s0, sendmsg(MSG_RTN_GET_DOORBELL)
	s_mov_b32 ttmp2, m0
	s_waitcnt lgkmcnt(0)
	s_and_b32 s0, s0, 0x3ff
	s_delay_alu instid0(SALU_CYCLE_1) | instskip(NEXT) | instid1(SALU_CYCLE_1)
	s_bitset1_b32 s0, 10
	s_mov_b32 m0, s0
	s_sendmsg sendmsg(MSG_INTERRUPT)
	s_mov_b32 m0, ttmp2
.LBB4_3057:                             ; =>This Inner Loop Header: Depth=1
	s_sethalt 5
	s_branch .LBB4_3057
.LBB4_3058:
	s_trap 2
	s_sendmsg_rtn_b32 s0, sendmsg(MSG_RTN_GET_DOORBELL)
	s_mov_b32 ttmp2, m0
	s_waitcnt lgkmcnt(0)
	s_and_b32 s0, s0, 0x3ff
	s_delay_alu instid0(SALU_CYCLE_1) | instskip(NEXT) | instid1(SALU_CYCLE_1)
	s_bitset1_b32 s0, 10
	s_mov_b32 m0, s0
	s_sendmsg sendmsg(MSG_INTERRUPT)
	s_mov_b32 m0, ttmp2
.LBB4_3059:                             ; =>This Inner Loop Header: Depth=1
	s_sethalt 5
	s_branch .LBB4_3059
.LBB4_3060:
	s_trap 2
	s_sendmsg_rtn_b32 s0, sendmsg(MSG_RTN_GET_DOORBELL)
	s_mov_b32 ttmp2, m0
	s_waitcnt lgkmcnt(0)
	s_and_b32 s0, s0, 0x3ff
	s_delay_alu instid0(SALU_CYCLE_1) | instskip(NEXT) | instid1(SALU_CYCLE_1)
	s_bitset1_b32 s0, 10
	s_mov_b32 m0, s0
	s_sendmsg sendmsg(MSG_INTERRUPT)
	s_mov_b32 m0, ttmp2
.LBB4_3061:                             ; =>This Inner Loop Header: Depth=1
	s_sethalt 5
	s_branch .LBB4_3061
.LBB4_3062:
	s_trap 2
	s_sendmsg_rtn_b32 s0, sendmsg(MSG_RTN_GET_DOORBELL)
	s_mov_b32 ttmp2, m0
	s_waitcnt lgkmcnt(0)
	s_and_b32 s0, s0, 0x3ff
	s_delay_alu instid0(SALU_CYCLE_1) | instskip(NEXT) | instid1(SALU_CYCLE_1)
	s_bitset1_b32 s0, 10
	s_mov_b32 m0, s0
	s_sendmsg sendmsg(MSG_INTERRUPT)
	s_mov_b32 m0, ttmp2
.LBB4_3063:                             ; =>This Inner Loop Header: Depth=1
	s_sethalt 5
	s_branch .LBB4_3063
.LBB4_3064:
	s_trap 2
	s_sendmsg_rtn_b32 s0, sendmsg(MSG_RTN_GET_DOORBELL)
	s_mov_b32 ttmp2, m0
	s_waitcnt lgkmcnt(0)
	s_and_b32 s0, s0, 0x3ff
	s_delay_alu instid0(SALU_CYCLE_1) | instskip(NEXT) | instid1(SALU_CYCLE_1)
	s_bitset1_b32 s0, 10
	s_mov_b32 m0, s0
	s_sendmsg sendmsg(MSG_INTERRUPT)
	s_mov_b32 m0, ttmp2
.LBB4_3065:                             ; =>This Inner Loop Header: Depth=1
	s_sethalt 5
	s_branch .LBB4_3065
.LBB4_3066:
	s_trap 2
	s_sendmsg_rtn_b32 s0, sendmsg(MSG_RTN_GET_DOORBELL)
	s_mov_b32 ttmp2, m0
	s_waitcnt lgkmcnt(0)
	s_and_b32 s0, s0, 0x3ff
	s_delay_alu instid0(SALU_CYCLE_1) | instskip(NEXT) | instid1(SALU_CYCLE_1)
	s_bitset1_b32 s0, 10
	s_mov_b32 m0, s0
	s_sendmsg sendmsg(MSG_INTERRUPT)
	s_mov_b32 m0, ttmp2
.LBB4_3067:                             ; =>This Inner Loop Header: Depth=1
	s_sethalt 5
	s_branch .LBB4_3067
.LBB4_3068:
	s_trap 2
	s_sendmsg_rtn_b32 s0, sendmsg(MSG_RTN_GET_DOORBELL)
	s_mov_b32 ttmp2, m0
	s_waitcnt lgkmcnt(0)
	s_and_b32 s0, s0, 0x3ff
	s_delay_alu instid0(SALU_CYCLE_1) | instskip(NEXT) | instid1(SALU_CYCLE_1)
	s_bitset1_b32 s0, 10
	s_mov_b32 m0, s0
	s_sendmsg sendmsg(MSG_INTERRUPT)
	s_mov_b32 m0, ttmp2
.LBB4_3069:                             ; =>This Inner Loop Header: Depth=1
	s_sethalt 5
	s_branch .LBB4_3069
.LBB4_3070:
	s_trap 2
	s_sendmsg_rtn_b32 s0, sendmsg(MSG_RTN_GET_DOORBELL)
	s_mov_b32 ttmp2, m0
	s_waitcnt lgkmcnt(0)
	s_and_b32 s0, s0, 0x3ff
	s_delay_alu instid0(SALU_CYCLE_1) | instskip(NEXT) | instid1(SALU_CYCLE_1)
	s_bitset1_b32 s0, 10
	s_mov_b32 m0, s0
	s_sendmsg sendmsg(MSG_INTERRUPT)
	s_mov_b32 m0, ttmp2
.LBB4_3071:                             ; =>This Inner Loop Header: Depth=1
	s_sethalt 5
	s_branch .LBB4_3071
.LBB4_3072:
	s_trap 2
	s_sendmsg_rtn_b32 s0, sendmsg(MSG_RTN_GET_DOORBELL)
	s_mov_b32 ttmp2, m0
	s_waitcnt lgkmcnt(0)
	s_and_b32 s0, s0, 0x3ff
	s_delay_alu instid0(SALU_CYCLE_1) | instskip(NEXT) | instid1(SALU_CYCLE_1)
	s_bitset1_b32 s0, 10
	s_mov_b32 m0, s0
	s_sendmsg sendmsg(MSG_INTERRUPT)
	s_mov_b32 m0, ttmp2
.LBB4_3073:                             ; =>This Inner Loop Header: Depth=1
	s_sethalt 5
	s_branch .LBB4_3073
.LBB4_3074:
	s_trap 2
	s_sendmsg_rtn_b32 s0, sendmsg(MSG_RTN_GET_DOORBELL)
	s_mov_b32 ttmp2, m0
	s_waitcnt lgkmcnt(0)
	s_and_b32 s0, s0, 0x3ff
	s_delay_alu instid0(SALU_CYCLE_1) | instskip(NEXT) | instid1(SALU_CYCLE_1)
	s_bitset1_b32 s0, 10
	s_mov_b32 m0, s0
	s_sendmsg sendmsg(MSG_INTERRUPT)
	s_mov_b32 m0, ttmp2
.LBB4_3075:                             ; =>This Inner Loop Header: Depth=1
	s_sethalt 5
	s_branch .LBB4_3075
.LBB4_3076:
	s_trap 2
	s_sendmsg_rtn_b32 s0, sendmsg(MSG_RTN_GET_DOORBELL)
	s_mov_b32 ttmp2, m0
	s_waitcnt lgkmcnt(0)
	s_and_b32 s0, s0, 0x3ff
	s_delay_alu instid0(SALU_CYCLE_1) | instskip(NEXT) | instid1(SALU_CYCLE_1)
	s_bitset1_b32 s0, 10
	s_mov_b32 m0, s0
	s_sendmsg sendmsg(MSG_INTERRUPT)
	s_mov_b32 m0, ttmp2
.LBB4_3077:                             ; =>This Inner Loop Header: Depth=1
	s_sethalt 5
	s_branch .LBB4_3077
.LBB4_3078:
	s_trap 2
	s_sendmsg_rtn_b32 s0, sendmsg(MSG_RTN_GET_DOORBELL)
	s_mov_b32 ttmp2, m0
	s_waitcnt lgkmcnt(0)
	s_and_b32 s0, s0, 0x3ff
	s_delay_alu instid0(SALU_CYCLE_1) | instskip(NEXT) | instid1(SALU_CYCLE_1)
	s_bitset1_b32 s0, 10
	s_mov_b32 m0, s0
	s_sendmsg sendmsg(MSG_INTERRUPT)
	s_mov_b32 m0, ttmp2
.LBB4_3079:                             ; =>This Inner Loop Header: Depth=1
	s_sethalt 5
	s_branch .LBB4_3079
.LBB4_3080:
	s_trap 2
	s_sendmsg_rtn_b32 s0, sendmsg(MSG_RTN_GET_DOORBELL)
	s_mov_b32 ttmp2, m0
	s_waitcnt lgkmcnt(0)
	s_and_b32 s0, s0, 0x3ff
	s_delay_alu instid0(SALU_CYCLE_1) | instskip(NEXT) | instid1(SALU_CYCLE_1)
	s_bitset1_b32 s0, 10
	s_mov_b32 m0, s0
	s_sendmsg sendmsg(MSG_INTERRUPT)
	s_mov_b32 m0, ttmp2
.LBB4_3081:                             ; =>This Inner Loop Header: Depth=1
	s_sethalt 5
	s_branch .LBB4_3081
.LBB4_3082:
	s_trap 2
	s_sendmsg_rtn_b32 s0, sendmsg(MSG_RTN_GET_DOORBELL)
	s_mov_b32 ttmp2, m0
	s_waitcnt lgkmcnt(0)
	s_and_b32 s0, s0, 0x3ff
	s_delay_alu instid0(SALU_CYCLE_1) | instskip(NEXT) | instid1(SALU_CYCLE_1)
	s_bitset1_b32 s0, 10
	s_mov_b32 m0, s0
	s_sendmsg sendmsg(MSG_INTERRUPT)
	s_mov_b32 m0, ttmp2
.LBB4_3083:                             ; =>This Inner Loop Header: Depth=1
	s_sethalt 5
	s_branch .LBB4_3083
.LBB4_3084:
	s_trap 2
	s_sendmsg_rtn_b32 s0, sendmsg(MSG_RTN_GET_DOORBELL)
	s_mov_b32 ttmp2, m0
	s_waitcnt lgkmcnt(0)
	s_and_b32 s0, s0, 0x3ff
	s_delay_alu instid0(SALU_CYCLE_1) | instskip(NEXT) | instid1(SALU_CYCLE_1)
	s_bitset1_b32 s0, 10
	s_mov_b32 m0, s0
	s_sendmsg sendmsg(MSG_INTERRUPT)
	s_mov_b32 m0, ttmp2
.LBB4_3085:                             ; =>This Inner Loop Header: Depth=1
	s_sethalt 5
	s_branch .LBB4_3085
.LBB4_3086:
	s_trap 2
	s_sendmsg_rtn_b32 s0, sendmsg(MSG_RTN_GET_DOORBELL)
	s_mov_b32 ttmp2, m0
	s_waitcnt lgkmcnt(0)
	s_and_b32 s0, s0, 0x3ff
	s_delay_alu instid0(SALU_CYCLE_1) | instskip(NEXT) | instid1(SALU_CYCLE_1)
	s_bitset1_b32 s0, 10
	s_mov_b32 m0, s0
	s_sendmsg sendmsg(MSG_INTERRUPT)
	s_mov_b32 m0, ttmp2
.LBB4_3087:                             ; =>This Inner Loop Header: Depth=1
	s_sethalt 5
	s_branch .LBB4_3087
.LBB4_3088:
	s_trap 2
	s_sendmsg_rtn_b32 s0, sendmsg(MSG_RTN_GET_DOORBELL)
	s_mov_b32 ttmp2, m0
	s_waitcnt lgkmcnt(0)
	s_and_b32 s0, s0, 0x3ff
	s_delay_alu instid0(SALU_CYCLE_1) | instskip(NEXT) | instid1(SALU_CYCLE_1)
	s_bitset1_b32 s0, 10
	s_mov_b32 m0, s0
	s_sendmsg sendmsg(MSG_INTERRUPT)
	s_mov_b32 m0, ttmp2
.LBB4_3089:                             ; =>This Inner Loop Header: Depth=1
	s_sethalt 5
	s_branch .LBB4_3089
.LBB4_3090:
	s_trap 2
	s_sendmsg_rtn_b32 s0, sendmsg(MSG_RTN_GET_DOORBELL)
	s_mov_b32 ttmp2, m0
	s_waitcnt lgkmcnt(0)
	s_and_b32 s0, s0, 0x3ff
	s_delay_alu instid0(SALU_CYCLE_1) | instskip(NEXT) | instid1(SALU_CYCLE_1)
	s_bitset1_b32 s0, 10
	s_mov_b32 m0, s0
	s_sendmsg sendmsg(MSG_INTERRUPT)
	s_mov_b32 m0, ttmp2
.LBB4_3091:                             ; =>This Inner Loop Header: Depth=1
	s_sethalt 5
	s_branch .LBB4_3091
.LBB4_3092:
	s_trap 2
	s_sendmsg_rtn_b32 s0, sendmsg(MSG_RTN_GET_DOORBELL)
	s_mov_b32 ttmp2, m0
	s_waitcnt lgkmcnt(0)
	s_and_b32 s0, s0, 0x3ff
	s_delay_alu instid0(SALU_CYCLE_1) | instskip(NEXT) | instid1(SALU_CYCLE_1)
	s_bitset1_b32 s0, 10
	s_mov_b32 m0, s0
	s_sendmsg sendmsg(MSG_INTERRUPT)
	s_mov_b32 m0, ttmp2
.LBB4_3093:                             ; =>This Inner Loop Header: Depth=1
	s_sethalt 5
	s_branch .LBB4_3093
.LBB4_3094:
	s_trap 2
	s_sendmsg_rtn_b32 s0, sendmsg(MSG_RTN_GET_DOORBELL)
	s_mov_b32 ttmp2, m0
	s_waitcnt lgkmcnt(0)
	s_and_b32 s0, s0, 0x3ff
	s_delay_alu instid0(SALU_CYCLE_1) | instskip(NEXT) | instid1(SALU_CYCLE_1)
	s_bitset1_b32 s0, 10
	s_mov_b32 m0, s0
	s_sendmsg sendmsg(MSG_INTERRUPT)
	s_mov_b32 m0, ttmp2
.LBB4_3095:                             ; =>This Inner Loop Header: Depth=1
	s_sethalt 5
	s_branch .LBB4_3095
.LBB4_3096:
	s_trap 2
	s_sendmsg_rtn_b32 s0, sendmsg(MSG_RTN_GET_DOORBELL)
	s_mov_b32 ttmp2, m0
	s_waitcnt lgkmcnt(0)
	s_and_b32 s0, s0, 0x3ff
	s_delay_alu instid0(SALU_CYCLE_1) | instskip(NEXT) | instid1(SALU_CYCLE_1)
	s_bitset1_b32 s0, 10
	s_mov_b32 m0, s0
	s_sendmsg sendmsg(MSG_INTERRUPT)
	s_mov_b32 m0, ttmp2
.LBB4_3097:                             ; =>This Inner Loop Header: Depth=1
	s_sethalt 5
	s_branch .LBB4_3097
.LBB4_3098:
	s_trap 2
	s_sendmsg_rtn_b32 s0, sendmsg(MSG_RTN_GET_DOORBELL)
	s_mov_b32 ttmp2, m0
	s_waitcnt lgkmcnt(0)
	s_and_b32 s0, s0, 0x3ff
	s_delay_alu instid0(SALU_CYCLE_1) | instskip(NEXT) | instid1(SALU_CYCLE_1)
	s_bitset1_b32 s0, 10
	s_mov_b32 m0, s0
	s_sendmsg sendmsg(MSG_INTERRUPT)
	s_mov_b32 m0, ttmp2
.LBB4_3099:                             ; =>This Inner Loop Header: Depth=1
	s_sethalt 5
	s_branch .LBB4_3099
.LBB4_3100:
	s_trap 2
	s_sendmsg_rtn_b32 s0, sendmsg(MSG_RTN_GET_DOORBELL)
	s_mov_b32 ttmp2, m0
	s_waitcnt lgkmcnt(0)
	s_and_b32 s0, s0, 0x3ff
	s_delay_alu instid0(SALU_CYCLE_1) | instskip(NEXT) | instid1(SALU_CYCLE_1)
	s_bitset1_b32 s0, 10
	s_mov_b32 m0, s0
	s_sendmsg sendmsg(MSG_INTERRUPT)
	s_mov_b32 m0, ttmp2
.LBB4_3101:                             ; =>This Inner Loop Header: Depth=1
	s_sethalt 5
	s_branch .LBB4_3101
.LBB4_3102:
	s_trap 2
	s_sendmsg_rtn_b32 s0, sendmsg(MSG_RTN_GET_DOORBELL)
	s_mov_b32 ttmp2, m0
	s_waitcnt lgkmcnt(0)
	s_and_b32 s0, s0, 0x3ff
	s_delay_alu instid0(SALU_CYCLE_1) | instskip(NEXT) | instid1(SALU_CYCLE_1)
	s_bitset1_b32 s0, 10
	s_mov_b32 m0, s0
	s_sendmsg sendmsg(MSG_INTERRUPT)
	s_mov_b32 m0, ttmp2
.LBB4_3103:                             ; =>This Inner Loop Header: Depth=1
	s_sethalt 5
	s_branch .LBB4_3103
.LBB4_3104:
	s_trap 2
	s_sendmsg_rtn_b32 s0, sendmsg(MSG_RTN_GET_DOORBELL)
	s_mov_b32 ttmp2, m0
	s_waitcnt lgkmcnt(0)
	s_and_b32 s0, s0, 0x3ff
	s_delay_alu instid0(SALU_CYCLE_1) | instskip(NEXT) | instid1(SALU_CYCLE_1)
	s_bitset1_b32 s0, 10
	s_mov_b32 m0, s0
	s_sendmsg sendmsg(MSG_INTERRUPT)
	s_mov_b32 m0, ttmp2
.LBB4_3105:                             ; =>This Inner Loop Header: Depth=1
	s_sethalt 5
	s_branch .LBB4_3105
.LBB4_3106:
	s_trap 2
	s_sendmsg_rtn_b32 s0, sendmsg(MSG_RTN_GET_DOORBELL)
	s_mov_b32 ttmp2, m0
	s_waitcnt lgkmcnt(0)
	s_and_b32 s0, s0, 0x3ff
	s_delay_alu instid0(SALU_CYCLE_1) | instskip(NEXT) | instid1(SALU_CYCLE_1)
	s_bitset1_b32 s0, 10
	s_mov_b32 m0, s0
	s_sendmsg sendmsg(MSG_INTERRUPT)
	s_mov_b32 m0, ttmp2
.LBB4_3107:                             ; =>This Inner Loop Header: Depth=1
	s_sethalt 5
	s_branch .LBB4_3107
.LBB4_3108:
	s_trap 2
	s_sendmsg_rtn_b32 s0, sendmsg(MSG_RTN_GET_DOORBELL)
	s_mov_b32 ttmp2, m0
	s_waitcnt lgkmcnt(0)
	s_and_b32 s0, s0, 0x3ff
	s_delay_alu instid0(SALU_CYCLE_1) | instskip(NEXT) | instid1(SALU_CYCLE_1)
	s_bitset1_b32 s0, 10
	s_mov_b32 m0, s0
	s_sendmsg sendmsg(MSG_INTERRUPT)
	s_mov_b32 m0, ttmp2
.LBB4_3109:                             ; =>This Inner Loop Header: Depth=1
	s_sethalt 5
	s_branch .LBB4_3109
.LBB4_3110:
	s_trap 2
	s_sendmsg_rtn_b32 s0, sendmsg(MSG_RTN_GET_DOORBELL)
	s_mov_b32 ttmp2, m0
	s_waitcnt lgkmcnt(0)
	s_and_b32 s0, s0, 0x3ff
	s_delay_alu instid0(SALU_CYCLE_1) | instskip(NEXT) | instid1(SALU_CYCLE_1)
	s_bitset1_b32 s0, 10
	s_mov_b32 m0, s0
	s_sendmsg sendmsg(MSG_INTERRUPT)
	s_mov_b32 m0, ttmp2
.LBB4_3111:                             ; =>This Inner Loop Header: Depth=1
	s_sethalt 5
	s_branch .LBB4_3111
.LBB4_3112:
	s_trap 2
	s_sendmsg_rtn_b32 s0, sendmsg(MSG_RTN_GET_DOORBELL)
	s_mov_b32 ttmp2, m0
	s_waitcnt lgkmcnt(0)
	s_and_b32 s0, s0, 0x3ff
	s_delay_alu instid0(SALU_CYCLE_1) | instskip(NEXT) | instid1(SALU_CYCLE_1)
	s_bitset1_b32 s0, 10
	s_mov_b32 m0, s0
	s_sendmsg sendmsg(MSG_INTERRUPT)
	s_mov_b32 m0, ttmp2
.LBB4_3113:                             ; =>This Inner Loop Header: Depth=1
	s_sethalt 5
	s_branch .LBB4_3113
.LBB4_3114:
	s_trap 2
	s_sendmsg_rtn_b32 s0, sendmsg(MSG_RTN_GET_DOORBELL)
	s_mov_b32 ttmp2, m0
	s_waitcnt lgkmcnt(0)
	s_and_b32 s0, s0, 0x3ff
	s_delay_alu instid0(SALU_CYCLE_1) | instskip(NEXT) | instid1(SALU_CYCLE_1)
	s_bitset1_b32 s0, 10
	s_mov_b32 m0, s0
	s_sendmsg sendmsg(MSG_INTERRUPT)
	s_mov_b32 m0, ttmp2
.LBB4_3115:                             ; =>This Inner Loop Header: Depth=1
	s_sethalt 5
	s_branch .LBB4_3115
.LBB4_3116:
	s_trap 2
	s_sendmsg_rtn_b32 s0, sendmsg(MSG_RTN_GET_DOORBELL)
	s_mov_b32 ttmp2, m0
	s_waitcnt lgkmcnt(0)
	s_and_b32 s0, s0, 0x3ff
	s_delay_alu instid0(SALU_CYCLE_1) | instskip(NEXT) | instid1(SALU_CYCLE_1)
	s_bitset1_b32 s0, 10
	s_mov_b32 m0, s0
	s_sendmsg sendmsg(MSG_INTERRUPT)
	s_mov_b32 m0, ttmp2
.LBB4_3117:                             ; =>This Inner Loop Header: Depth=1
	s_sethalt 5
	s_branch .LBB4_3117
.LBB4_3118:
	s_trap 2
	s_sendmsg_rtn_b32 s0, sendmsg(MSG_RTN_GET_DOORBELL)
	s_mov_b32 ttmp2, m0
	s_waitcnt lgkmcnt(0)
	s_and_b32 s0, s0, 0x3ff
	s_delay_alu instid0(SALU_CYCLE_1) | instskip(NEXT) | instid1(SALU_CYCLE_1)
	s_bitset1_b32 s0, 10
	s_mov_b32 m0, s0
	s_sendmsg sendmsg(MSG_INTERRUPT)
	s_mov_b32 m0, ttmp2
.LBB4_3119:                             ; =>This Inner Loop Header: Depth=1
	s_sethalt 5
	s_branch .LBB4_3119
.LBB4_3120:
	s_trap 2
	s_sendmsg_rtn_b32 s0, sendmsg(MSG_RTN_GET_DOORBELL)
	s_mov_b32 ttmp2, m0
	s_waitcnt lgkmcnt(0)
	s_and_b32 s0, s0, 0x3ff
	s_delay_alu instid0(SALU_CYCLE_1) | instskip(NEXT) | instid1(SALU_CYCLE_1)
	s_bitset1_b32 s0, 10
	s_mov_b32 m0, s0
	s_sendmsg sendmsg(MSG_INTERRUPT)
	s_mov_b32 m0, ttmp2
.LBB4_3121:                             ; =>This Inner Loop Header: Depth=1
	s_sethalt 5
	s_branch .LBB4_3121
.LBB4_3122:
	s_trap 2
	s_sendmsg_rtn_b32 s0, sendmsg(MSG_RTN_GET_DOORBELL)
	s_mov_b32 ttmp2, m0
	s_waitcnt lgkmcnt(0)
	s_and_b32 s0, s0, 0x3ff
	s_delay_alu instid0(SALU_CYCLE_1) | instskip(NEXT) | instid1(SALU_CYCLE_1)
	s_bitset1_b32 s0, 10
	s_mov_b32 m0, s0
	s_sendmsg sendmsg(MSG_INTERRUPT)
	s_mov_b32 m0, ttmp2
.LBB4_3123:                             ; =>This Inner Loop Header: Depth=1
	s_sethalt 5
	s_branch .LBB4_3123
.LBB4_3124:
	s_trap 2
	s_sendmsg_rtn_b32 s0, sendmsg(MSG_RTN_GET_DOORBELL)
	s_mov_b32 ttmp2, m0
	s_waitcnt lgkmcnt(0)
	s_and_b32 s0, s0, 0x3ff
	s_delay_alu instid0(SALU_CYCLE_1) | instskip(NEXT) | instid1(SALU_CYCLE_1)
	s_bitset1_b32 s0, 10
	s_mov_b32 m0, s0
	s_sendmsg sendmsg(MSG_INTERRUPT)
	s_mov_b32 m0, ttmp2
.LBB4_3125:                             ; =>This Inner Loop Header: Depth=1
	s_sethalt 5
	s_branch .LBB4_3125
.LBB4_3126:
	s_trap 2
	s_sendmsg_rtn_b32 s0, sendmsg(MSG_RTN_GET_DOORBELL)
	s_mov_b32 ttmp2, m0
	s_waitcnt lgkmcnt(0)
	s_and_b32 s0, s0, 0x3ff
	s_delay_alu instid0(SALU_CYCLE_1) | instskip(NEXT) | instid1(SALU_CYCLE_1)
	s_bitset1_b32 s0, 10
	s_mov_b32 m0, s0
	s_sendmsg sendmsg(MSG_INTERRUPT)
	s_mov_b32 m0, ttmp2
.LBB4_3127:                             ; =>This Inner Loop Header: Depth=1
	s_sethalt 5
	s_branch .LBB4_3127
.Lfunc_end4:
	.size	_ZN12_GLOBAL__N_17runRingI6__half10FuncMinMaxIS1_E11ProtoSimpleILi2ELi2ELi0ELi2ELi0ELi0EELi0ELi0ELi2ELi0EEEviiP15ncclDevWorkColl, .Lfunc_end4-_ZN12_GLOBAL__N_17runRingI6__half10FuncMinMaxIS1_E11ProtoSimpleILi2ELi2ELi0ELi2ELi0ELi0EELi0ELi0ELi2ELi0EEEviiP15ncclDevWorkColl
                                        ; -- End function
	.section	.AMDGPU.csdata,"",@progbits
; Function info:
; codeLenInByte = 86156
; NumSgprs: 48
; NumVgprs: 165
; ScratchSize: 80
; MemoryBound: 1
	.text
	.p2align	2                               ; -- Begin function _Z50ncclDevFunc_AllReduce_RING_SIMPLE_MinMax_f16_0_0_2v
	.type	_Z50ncclDevFunc_AllReduce_RING_SIMPLE_MinMax_f16_0_0_2v,@function
_Z50ncclDevFunc_AllReduce_RING_SIMPLE_MinMax_f16_0_0_2v: ; @_Z50ncclDevFunc_AllReduce_RING_SIMPLE_MinMax_f16_0_0_2v
; %bb.0:
	s_waitcnt vmcnt(0) expcnt(0) lgkmcnt(0)
	s_mov_b32 s0, s33
	s_mov_b32 s33, s32
	s_or_saveexec_b32 s1, -1
	scratch_store_b32 off, v40, s33 offset:8 ; 4-byte Folded Spill
	s_mov_b32 exec_lo, s1
	v_writelane_b32 v40, s0, 20
	s_add_i32 s32, s32, 16
	s_clause 0x1
	scratch_store_b32 off, v41, s33 offset:4
	; meta instruction
	scratch_store_b32 off, v42, s33
	v_writelane_b32 v40, s34, 0
	v_writelane_b32 v40, s35, 1
	;; [unrolled: 1-line block ×20, first 2 shown]
	s_cbranch_execnz .LBB5_7
; %bb.1:
	ds_load_b32 v0, v0
	v_and_b32_e32 v165, 0x3ff, v31
	s_mov_b32 s0, exec_lo
	s_waitcnt lgkmcnt(0)
	s_delay_alu instid0(VALU_DEP_1)
	v_cmpx_lt_i32_e64 v165, v0
	s_cbranch_execz .LBB5_9
; %bb.2:
	s_load_b32 s1, s[8:9], 0x0
	v_mov_b32_e32 v1, 0
	s_waitcnt lgkmcnt(0)
	s_cmp_lt_u32 s12, s1
	s_cselect_b32 s1, 12, 18
	s_delay_alu instid0(SALU_CYCLE_1)
	s_add_u32 s2, s8, s1
	s_addc_u32 s3, s9, 0
	s_mov_b32 s1, 0
	global_load_u16 v1, v1, s[2:3]
	s_cbranch_execnz .LBB5_24
; %bb.3:
	ds_load_b32 v2, v0
	v_mov_b32_e32 v3, v165
	s_mov_b32 s2, 0
                                        ; implicit-def: $vgpr4
	s_waitcnt vmcnt(0) lgkmcnt(0)
	v_mul_lo_u32 v2, v2, v1
	s_branch .LBB5_5
	.p2align	6
.LBB5_4:                                ;   in Loop: Header=BB5_5 Depth=1
	s_or_b32 exec_lo, exec_lo, s3
	v_add_nc_u32_e32 v3, v3, v1
	v_add_nc_u32_e32 v4, v4, v2
	s_delay_alu instid0(VALU_DEP_2) | instskip(SKIP_1) | instid1(SALU_CYCLE_1)
	v_cmp_ge_i32_e32 vcc_lo, v3, v0
	s_or_b32 s1, vcc_lo, s1
	s_and_not1_b32 exec_lo, exec_lo, s1
	s_cbranch_execz .LBB5_9
.LBB5_5:                                ; =>This Inner Loop Header: Depth=1
	ds_load_b32 v5, v4
	s_mov_b32 s3, exec_lo
	s_waitcnt lgkmcnt(0)
	v_and_b32_e32 v5, 0x1000000, v5
	s_delay_alu instid0(VALU_DEP_1)
	v_cmpx_ne_u32_e32 0, v5
	s_cbranch_execz .LBB5_4
; %bb.6:                                ;   in Loop: Header=BB5_5 Depth=1
	ds_load_b64 v[5:6], v4 offset:104
	s_waitcnt lgkmcnt(0)
	flat_load_u16 v5, v[5:6]
	s_waitcnt vmcnt(0) lgkmcnt(0)
	v_dual_mov_b32 v6, s2 :: v_dual_and_b32 v5, 0xffff, v5
	ds_store_b64 v4, v[5:6] offset:104
	s_branch .LBB5_4
.LBB5_7:
	s_trap 2
	s_sendmsg_rtn_b32 s0, sendmsg(MSG_RTN_GET_DOORBELL)
	s_mov_b32 ttmp2, m0
	s_waitcnt lgkmcnt(0)
	s_and_b32 s0, s0, 0x3ff
	s_delay_alu instid0(SALU_CYCLE_1) | instskip(NEXT) | instid1(SALU_CYCLE_1)
	s_bitset1_b32 s0, 10
	s_mov_b32 m0, s0
	s_sendmsg sendmsg(MSG_INTERRUPT)
	s_mov_b32 m0, ttmp2
.LBB5_8:                                ; =>This Inner Loop Header: Depth=1
	s_sethalt 5
	s_branch .LBB5_8
.LBB5_9:
	s_or_b32 exec_lo, exec_lo, s0
	s_waitcnt lgkmcnt(0)
	s_waitcnt_vscnt null, 0x0
	s_barrier
	buffer_gl0_inv
	s_cbranch_execnz .LBB5_22
; %bb.10:
	ds_load_b32 v0, v0
	s_waitcnt lgkmcnt(0)
	v_cmp_gt_i32_e32 vcc_lo, 1, v0
	s_cbranch_vccnz .LBB5_21
; %bb.11:
	s_mov_b32 s50, 0
	s_mov_b64 s[48:49], src_shared_base
.LBB5_12:                               ; =>This Inner Loop Header: Depth=1
	s_cbranch_execnz .LBB5_26
; %bb.13:                               ;   in Loop: Header=BB5_12 Depth=1
	ds_load_b32 v0, v0
	s_cmp_eq_u32 s50, 0
	s_cbranch_scc1 .LBB5_17
; %bb.14:                               ;   in Loop: Header=BB5_12 Depth=1
	s_cbranch_execnz .LBB5_30
; %bb.15:                               ;   in Loop: Header=BB5_12 Depth=1
	s_waitcnt lgkmcnt(0)
	ds_load_b32 v1, v0
	s_waitcnt lgkmcnt(0)
	v_xor_b32_e32 v1, v1, v0
	s_delay_alu instid0(VALU_DEP_1) | instskip(NEXT) | instid1(VALU_DEP_1)
	v_and_b32_e32 v1, 0xff0000, v1
	v_cmp_eq_u32_e32 vcc_lo, 0, v1
	s_cbranch_vccnz .LBB5_17
; %bb.16:                               ;   in Loop: Header=BB5_12 Depth=1
	s_waitcnt_vscnt null, 0x0
	s_barrier
	buffer_gl0_inv
	ds_load_b32 v0, v0
.LBB5_17:                               ;   in Loop: Header=BB5_12 Depth=1
	s_waitcnt lgkmcnt(0)
	v_lshrrev_b32_e32 v0, 11, v0
	s_mov_b32 s51, exec_lo
	s_delay_alu instid0(VALU_DEP_1) | instskip(NEXT) | instid1(VALU_DEP_1)
	v_and_b32_e32 v1, 0x1fe0, v0
	v_cmpx_lt_u32_e64 v165, v1
	s_cbranch_execz .LBB5_19
; %bb.18:                               ;   in Loop: Header=BB5_12 Depth=1
	v_dual_mov_b32 v166, v31 :: v_dual_mov_b32 v3, s49
	v_mov_b32_e32 v0, v165
	s_getpc_b64 s[0:1]
	s_add_u32 s0, s0, _ZN12_GLOBAL__N_17runRingI6__half10FuncMinMaxIS1_E11ProtoSimpleILi2ELi2ELi0ELi2ELi0ELi0EELi0ELi0ELi2ELi0EEEviiP15ncclDevWorkColl@rel32@lo+4
	s_addc_u32 s1, s1, _ZN12_GLOBAL__N_17runRingI6__half10FuncMinMaxIS1_E11ProtoSimpleILi2ELi2ELi0ELi2ELi0ELi0EELi0ELi0ELi2ELi0EEEviiP15ncclDevWorkColl@rel32@hi+12
	s_mov_b64 s[46:47], s[8:9]
	s_mov_b32 s48, s12
	s_swappc_b64 s[30:31], s[0:1]
	v_mov_b32_e32 v31, v166
	s_mov_b32 s12, s48
	s_mov_b64 s[8:9], s[46:47]
.LBB5_19:                               ;   in Loop: Header=BB5_12 Depth=1
	s_or_b32 exec_lo, exec_lo, s51
	s_cbranch_execnz .LBB5_28
; %bb.20:                               ;   in Loop: Header=BB5_12 Depth=1
	ds_load_b32 v0, v0
	s_add_i32 s50, s50, 1
	s_waitcnt lgkmcnt(0)
	v_cmp_lt_i32_e32 vcc_lo, s50, v0
	s_cbranch_vccnz .LBB5_12
.LBB5_21:
	s_clause 0x1
	scratch_load_b32 v42, off, s33
	scratch_load_b32 v41, off, s33 offset:4
	v_readlane_b32 s30, v40, 18
	v_readlane_b32 s31, v40, 19
	;; [unrolled: 1-line block ×21, first 2 shown]
	s_or_saveexec_b32 s1, -1
	scratch_load_b32 v40, off, s33 offset:8 ; 4-byte Folded Reload
	s_mov_b32 exec_lo, s1
	s_add_i32 s32, s32, -16
	s_mov_b32 s33, s0
	s_waitcnt vmcnt(0)
	s_setpc_b64 s[30:31]
.LBB5_22:
	s_trap 2
	s_sendmsg_rtn_b32 s0, sendmsg(MSG_RTN_GET_DOORBELL)
	s_mov_b32 ttmp2, m0
	s_waitcnt lgkmcnt(0)
	s_and_b32 s0, s0, 0x3ff
	s_delay_alu instid0(SALU_CYCLE_1) | instskip(NEXT) | instid1(SALU_CYCLE_1)
	s_bitset1_b32 s0, 10
	s_mov_b32 m0, s0
	s_sendmsg sendmsg(MSG_INTERRUPT)
	s_mov_b32 m0, ttmp2
.LBB5_23:                               ; =>This Inner Loop Header: Depth=1
	s_sethalt 5
	s_branch .LBB5_23
.LBB5_24:
	s_trap 2
	s_sendmsg_rtn_b32 s0, sendmsg(MSG_RTN_GET_DOORBELL)
	s_mov_b32 ttmp2, m0
	s_waitcnt lgkmcnt(0)
	s_and_b32 s0, s0, 0x3ff
	s_delay_alu instid0(SALU_CYCLE_1) | instskip(NEXT) | instid1(SALU_CYCLE_1)
	s_bitset1_b32 s0, 10
	s_mov_b32 m0, s0
	s_sendmsg sendmsg(MSG_INTERRUPT)
	s_mov_b32 m0, ttmp2
.LBB5_25:                               ; =>This Inner Loop Header: Depth=1
	s_sethalt 5
	s_branch .LBB5_25
.LBB5_26:
	s_trap 2
	s_sendmsg_rtn_b32 s0, sendmsg(MSG_RTN_GET_DOORBELL)
	s_mov_b32 ttmp2, m0
	s_waitcnt lgkmcnt(0)
	s_and_b32 s0, s0, 0x3ff
	s_delay_alu instid0(SALU_CYCLE_1) | instskip(NEXT) | instid1(SALU_CYCLE_1)
	s_bitset1_b32 s0, 10
	s_mov_b32 m0, s0
	s_sendmsg sendmsg(MSG_INTERRUPT)
	s_mov_b32 m0, ttmp2
.LBB5_27:                               ; =>This Inner Loop Header: Depth=1
	s_sethalt 5
	s_branch .LBB5_27
.LBB5_28:
	s_trap 2
	s_sendmsg_rtn_b32 s0, sendmsg(MSG_RTN_GET_DOORBELL)
	s_mov_b32 ttmp2, m0
	s_waitcnt lgkmcnt(0)
	s_and_b32 s0, s0, 0x3ff
	s_delay_alu instid0(SALU_CYCLE_1) | instskip(NEXT) | instid1(SALU_CYCLE_1)
	s_bitset1_b32 s0, 10
	s_mov_b32 m0, s0
	s_sendmsg sendmsg(MSG_INTERRUPT)
	s_mov_b32 m0, ttmp2
.LBB5_29:                               ; =>This Inner Loop Header: Depth=1
	s_sethalt 5
	s_branch .LBB5_29
.LBB5_30:
	s_trap 2
	s_sendmsg_rtn_b32 s0, sendmsg(MSG_RTN_GET_DOORBELL)
	s_mov_b32 ttmp2, m0
	s_waitcnt lgkmcnt(0)
	s_and_b32 s0, s0, 0x3ff
	s_delay_alu instid0(SALU_CYCLE_1) | instskip(NEXT) | instid1(SALU_CYCLE_1)
	s_bitset1_b32 s0, 10
	s_mov_b32 m0, s0
	s_sendmsg sendmsg(MSG_INTERRUPT)
	s_mov_b32 m0, ttmp2
.LBB5_31:                               ; =>This Inner Loop Header: Depth=1
	s_sethalt 5
	s_branch .LBB5_31
.Lfunc_end5:
	.size	_Z50ncclDevFunc_AllReduce_RING_SIMPLE_MinMax_f16_0_0_2v, .Lfunc_end5-_Z50ncclDevFunc_AllReduce_RING_SIMPLE_MinMax_f16_0_0_2v
                                        ; -- End function
	.section	.AMDGPU.csdata,"",@progbits
; Function info:
; codeLenInByte = 1264
; NumSgprs: 54
; NumVgprs: 167
; ScratchSize: 96
; MemoryBound: 0
	.text
	.p2align	2                               ; -- Begin function _ZN12_GLOBAL__N_17runRingI6__half10FuncMinMaxIS1_E11ProtoSimpleILi2ELi2ELi0ELi4ELi0ELi0EELi0ELi0ELi4ELi0EEEviiP15ncclDevWorkColl
	.type	_ZN12_GLOBAL__N_17runRingI6__half10FuncMinMaxIS1_E11ProtoSimpleILi2ELi2ELi0ELi4ELi0ELi0EELi0ELi0ELi4ELi0EEEviiP15ncclDevWorkColl,@function
_ZN12_GLOBAL__N_17runRingI6__half10FuncMinMaxIS1_E11ProtoSimpleILi2ELi2ELi0ELi4ELi0ELi0EELi0ELi0ELi4ELi0EEEviiP15ncclDevWorkColl: ; @_ZN12_GLOBAL__N_17runRingI6__half10FuncMinMaxIS1_E11ProtoSimpleILi2ELi2ELi0ELi4ELi0ELi0EELi0ELi0ELi4ELi0EEEviiP15ncclDevWorkColl
; %bb.0:
	s_waitcnt vmcnt(0) expcnt(0) lgkmcnt(0)
	s_mov_b32 s0, s33
	s_mov_b32 s33, s32
	s_or_saveexec_b32 s1, -1
	s_clause 0x1
	scratch_store_b32 off, v47, s33 offset:28
	; meta instruction
	scratch_store_b32 off, v56, s33 offset:32
	s_mov_b32 exec_lo, s1
	v_writelane_b32 v47, s0, 14
	s_add_i32 s32, s32, 48
	s_clause 0x6
	scratch_store_b32 off, v40, s33 offset:24
	; meta instruction
	scratch_store_b32 off, v41, s33 offset:20
	; meta instruction
	;; [unrolled: 2-line block ×6, first 2 shown]
	scratch_store_b32 off, v46, s33
	v_writelane_b32 v47, s34, 0
	v_writelane_b32 v47, s35, 1
	;; [unrolled: 1-line block ×14, first 2 shown]
	s_cbranch_execnz .LBB6_3451
; %bb.1:
	flat_load_b32 v7, v[2:3]
	ds_load_b32 v6, v0
	s_mov_b32 s0, exec_lo
                                        ; implicit-def: $vgpr14_vgpr15
                                        ; implicit-def: $vgpr28_vgpr29
                                        ; implicit-def: $vgpr4_vgpr5
	s_waitcnt lgkmcnt(0)
	v_readfirstlane_b32 s19, v6
	s_waitcnt vmcnt(0)
	v_and_b32_e32 v8, 0xff, v7
	s_delay_alu instid0(VALU_DEP_1)
	v_cmpx_ne_u32_e64 v8, v6
	s_xor_b32 s0, exec_lo, s0
	s_cbranch_execnz .LBB6_3453
; %bb.2:
	s_and_not1_saveexec_b32 s0, s0
	s_cbranch_execnz .LBB6_3458
.LBB6_3:
	s_or_b32 exec_lo, exec_lo, s0
	s_cbranch_execnz .LBB6_3459
.LBB6_4:
	ds_load_b64 v[6:7], v0
	s_mov_b32 s1, exec_lo
	s_waitcnt lgkmcnt(0)
	v_cmp_ne_u32_e32 vcc_lo, -1, v6
	v_cndmask_b32_e64 v17, 0, 1, vcc_lo
	v_cmp_ne_u32_e32 vcc_lo, -1, v7
	s_delay_alu instid0(VALU_DEP_2) | instskip(NEXT) | instid1(VALU_DEP_1)
	v_add_co_ci_u32_e64 v8, s0, 0, v17, vcc_lo
	v_lshlrev_b32_e32 v6, 1, v8
	s_delay_alu instid0(VALU_DEP_1)
	v_cmpx_le_i32_e64 v6, v1
	s_xor_b32 s18, exec_lo, s1
	s_cbranch_execz .LBB6_3704
; %bb.5:
	s_clause 0x3
	flat_load_b64 v[15:16], v[2:3] offset:104
	flat_load_b128 v[10:13], v[2:3] offset:16
	flat_load_u16 v7, v[2:3] offset:8
	flat_load_b32 v6, v[2:3] offset:4
	s_cbranch_execnz .LBB6_3461
; %bb.6:
	s_load_b32 s0, s[8:9], 0x0
	v_dual_mov_b32 v9, 0 :: v_dual_mov_b32 v30, 4
	s_waitcnt lgkmcnt(0)
	s_cmp_lt_u32 s12, s0
	s_cselect_b32 s0, 12, 18
	s_delay_alu instid0(SALU_CYCLE_1)
	s_add_u32 s0, s8, s0
	s_addc_u32 s1, s9, 0
	global_load_u16 v18, v9, s[0:1]
	ds_load_b32 v9, v0
	s_mov_b32 s1, exec_lo
	s_waitcnt lgkmcnt(0)
	v_readfirstlane_b32 s2, v9
	v_cmpx_ge_i32_e64 v0, v17
	s_cbranch_execz .LBB6_16
; %bb.7:
	v_cmp_le_u32_e64 s0, v8, v0
                                        ; implicit-def: $vgpr30
	s_delay_alu instid0(VALU_DEP_1) | instskip(NEXT) | instid1(SALU_CYCLE_1)
	s_and_saveexec_b32 s3, s0
	s_xor_b32 s0, exec_lo, s3
	s_cbranch_execz .LBB6_13
; %bb.8:
	v_cndmask_b32_e64 v9, 0, 1, vcc_lo
	s_mov_b32 s3, exec_lo
                                        ; implicit-def: $sgpr4
	s_delay_alu instid0(VALU_DEP_1) | instskip(NEXT) | instid1(VALU_DEP_1)
	v_sub_nc_u32_e32 v9, v1, v9
	v_cmpx_ge_u32_e64 v0, v9
	s_xor_b32 s3, exec_lo, s3
; %bb.9:
	s_mov_b32 s4, 16
                                        ; implicit-def: $vgpr8
; %bb.10:
	s_or_saveexec_b32 s3, s3
	v_mov_b32_e32 v30, s4
	s_xor_b32 exec_lo, exec_lo, s3
; %bb.11:
	v_sub_nc_u32_e32 v8, v1, v8
	s_delay_alu instid0(VALU_DEP_1) | instskip(SKIP_1) | instid1(VALU_DEP_1)
	v_cmp_ge_i32_e32 vcc_lo, v0, v8
	v_cndmask_b32_e64 v8, 0, 1, vcc_lo
	v_lshlrev_b32_e32 v30, 5, v8
; %bb.12:
	s_or_b32 exec_lo, exec_lo, s3
.LBB6_13:
	s_and_not1_saveexec_b32 s0, s0
; %bb.14:
	v_mov_b32_e32 v30, 8
; %bb.15:
	s_or_b32 exec_lo, exec_lo, s0
.LBB6_16:
	s_delay_alu instid0(SALU_CYCLE_1) | instskip(NEXT) | instid1(VALU_DEP_1)
	s_or_b32 exec_lo, exec_lo, s1
	v_and_b32_e32 v8, 36, v30
	s_delay_alu instid0(VALU_DEP_1)
	v_cmp_ne_u32_e32 vcc_lo, 0, v8
	v_mov_b32_e32 v8, -1
	s_and_saveexec_b32 s0, vcc_lo
	s_cbranch_execz .LBB6_19
; %bb.17:
	s_cbranch_execnz .LBB6_3463
; %bb.18:
	ds_load_b32 v8, v0
.LBB6_19:
	s_or_b32 exec_lo, exec_lo, s0
	v_and_b32_e32 v9, 24, v30
	s_mov_b32 s1, exec_lo
	s_delay_alu instid0(VALU_DEP_1)
	v_cmpx_ne_u32_e32 0, v9
	s_cbranch_execz .LBB6_22
; %bb.20:
	s_cbranch_execnz .LBB6_3465
; %bb.21:
	s_waitcnt lgkmcnt(0)
	ds_load_b32 v8, v0
.LBB6_22:
	s_or_b32 exec_lo, exec_lo, s1
	s_waitcnt vmcnt(1)
	v_lshrrev_b64 v[6:7], 31, v[6:7]
	v_mov_b32_e32 v54, 0
	v_mov_b32_e32 v55, 0
                                        ; implicit-def: $vgpr52_vgpr53
                                        ; implicit-def: $vgpr133
                                        ; implicit-def: $vgpr66_vgpr67
                                        ; implicit-def: $vgpr68_vgpr69
                                        ; implicit-def: $vgpr82_vgpr83
                                        ; implicit-def: $vgpr64_vgpr65
	s_delay_alu instid0(VALU_DEP_2) | instskip(NEXT) | instid1(VALU_DEP_2)
	v_dual_mov_b32 v6, v54 :: v_dual_and_b32 v19, 3, v6
	v_mov_b32_e32 v7, v55
	s_and_saveexec_b32 s0, vcc_lo
	s_cbranch_execz .LBB6_35
; %bb.23:
	s_cbranch_execnz .LBB6_3467
; %bb.24:
	ds_load_b64 v[6:7], v0
	s_waitcnt lgkmcnt(1)
	v_ashrrev_i32_e32 v9, 31, v8
	s_mov_b32 s1, exec_lo
                                        ; implicit-def: $vgpr52_vgpr53
	s_delay_alu instid0(VALU_DEP_1) | instskip(SKIP_2) | instid1(VALU_DEP_2)
	v_lshlrev_b64 v[20:21], 3, v[8:9]
	v_and_b32_e32 v9, 0xffff, v19
	s_waitcnt lgkmcnt(0)
	v_add_co_u32 v6, vcc_lo, v6, v20
	s_delay_alu instid0(VALU_DEP_3)
	v_add_co_ci_u32_e32 v7, vcc_lo, v7, v21, vcc_lo
	flat_load_b64 v[6:7], v[6:7]
	s_waitcnt vmcnt(0) lgkmcnt(0)
	v_mad_u64_u32 v[20:21], null, 0xa8, v9, v[6:7]
	flat_load_b32 v6, v[20:21] offset:640
	v_add_co_u32 v54, vcc_lo, 0x1f8, v20
	v_add_co_ci_u32_e32 v55, vcc_lo, 0, v21, vcc_lo
	s_waitcnt vmcnt(0) lgkmcnt(0)
	v_cmpx_eq_u32_e32 1, v6
	s_cbranch_execz .LBB6_27
; %bb.25:
	flat_load_b64 v[52:53], v[54:55] offset:144
	s_waitcnt vmcnt(0) lgkmcnt(0)
	flat_load_b64 v[6:7], v[52:53]
	s_cbranch_execnz .LBB6_3475
; %bb.26:
	s_waitcnt vmcnt(0) lgkmcnt(0)
	ds_store_b64 v0, v[6:7]
	flat_load_b64 v[6:7], v[52:53] offset:8
	v_or_b32_e32 v30, 0x2000, v30
	s_waitcnt vmcnt(0) lgkmcnt(0)
	ds_store_b64 v0, v[6:7]
	flat_load_b64 v[6:7], v[52:53] offset:16
	s_waitcnt vmcnt(0) lgkmcnt(0)
	ds_store_b64 v0, v[6:7]
.LBB6_27:
	s_or_b32 exec_lo, exec_lo, s1
	flat_load_b64 v[6:7], v[54:55] offset:104
	v_and_b32_e32 v9, 32, v30
	s_mov_b32 s1, exec_lo
                                        ; implicit-def: $vgpr64_vgpr65
	s_waitcnt vmcnt(0) lgkmcnt(0)
	v_add_co_u32 v6, vcc_lo, v6, 3
	v_add_co_ci_u32_e32 v67, vcc_lo, 0, v7, vcc_lo
	s_delay_alu instid0(VALU_DEP_2)
	v_and_b32_e32 v66, -4, v6
	v_cmpx_ne_u32_e32 0, v9
	s_cbranch_execz .LBB6_29
; %bb.28:
	flat_load_b64 v[64:65], v[54:55] offset:56
	s_waitcnt vmcnt(0) lgkmcnt(0)
	s_waitcnt_vscnt null, 0x0
	flat_store_b64 v[64:65], v[66:67]
.LBB6_29:
	s_or_b32 exec_lo, exec_lo, s1
	v_dual_mov_b32 v6, 0 :: v_dual_and_b32 v9, 4, v30
	v_mov_b32_e32 v7, 0
	s_mov_b32 s1, exec_lo
                                        ; implicit-def: $vgpr133
                                        ; implicit-def: $vgpr68_vgpr69
                                        ; implicit-def: $vgpr82_vgpr83
	s_delay_alu instid0(VALU_DEP_2)
	v_cmpx_ne_u32_e32 0, v9
	s_cbranch_execz .LBB6_34
; %bb.30:
	v_and_b32_e32 v6, 0x800, v30
	s_mov_b32 s3, exec_lo
	s_delay_alu instid0(VALU_DEP_1)
	v_cmpx_eq_u32_e32 0, v6
	s_cbranch_execz .LBB6_33
; %bb.31:
	s_cbranch_execnz .LBB6_3477
; %bb.32:
	ds_store_b64 v0, v[54:55]
.LBB6_33:
	s_or_b32 exec_lo, exec_lo, s3
	flat_load_b64 v[64:65], v[54:55] offset:48
	v_or_b32_e32 v20, 0x100, v30
	s_waitcnt vmcnt(0) lgkmcnt(0)
	flat_load_b64 v[82:83], v[64:65] glc
	s_clause 0x2
	flat_load_b32 v9, v[54:55] offset:72
	flat_load_b64 v[6:7], v[54:55] offset:96
	flat_load_b64 v[68:69], v[54:55] offset:16
	s_waitcnt vmcnt(2) lgkmcnt(2)
	v_ashrrev_i32_e32 v133, 1, v9
	s_waitcnt vmcnt(1) lgkmcnt(1)
	v_cmp_eq_u64_e32 vcc_lo, 0, v[6:7]
	v_cndmask_b32_e32 v30, v20, v30, vcc_lo
.LBB6_34:
	s_or_b32 exec_lo, exec_lo, s1
.LBB6_35:
	s_delay_alu instid0(SALU_CYCLE_1) | instskip(NEXT) | instid1(VALU_DEP_1)
	s_or_b32 exec_lo, exec_lo, s0
	v_and_b32_e32 v9, 24, v30
	s_mov_b32 s0, exec_lo
                                        ; implicit-def: $vgpr70_vgpr71
	s_delay_alu instid0(VALU_DEP_1)
	v_cmpx_ne_u32_e32 0, v9
	s_cbranch_execz .LBB6_45
; %bb.36:
	s_cbranch_execnz .LBB6_3469
; %bb.37:
	ds_load_b64 v[6:7], v0
	s_waitcnt lgkmcnt(1)
	v_ashrrev_i32_e32 v9, 31, v8
	s_mov_b32 s1, exec_lo
                                        ; implicit-def: $vgpr70_vgpr71
	s_delay_alu instid0(VALU_DEP_1) | instskip(SKIP_1) | instid1(VALU_DEP_1)
	v_lshlrev_b64 v[8:9], 3, v[8:9]
	s_waitcnt lgkmcnt(0)
	v_add_co_u32 v6, vcc_lo, v6, v8
	s_delay_alu instid0(VALU_DEP_2)
	v_add_co_ci_u32_e32 v7, vcc_lo, v7, v9, vcc_lo
	v_and_b32_e32 v8, 0xffff, v19
	v_or_b32_e32 v19, 0x100, v30
	flat_load_b64 v[6:7], v[6:7]
	s_waitcnt vmcnt(0) lgkmcnt(0)
	v_mad_u64_u32 v[54:55], null, 0xa8, v8, v[6:7]
	flat_load_b128 v[6:9], v[54:55] offset:96
	s_waitcnt vmcnt(0) lgkmcnt(0)
	v_cmp_eq_u64_e32 vcc_lo, 0, v[6:7]
	v_cndmask_b32_e32 v30, v19, v30, vcc_lo
	s_delay_alu instid0(VALU_DEP_1) | instskip(NEXT) | instid1(VALU_DEP_1)
	v_and_b32_e32 v19, 16, v30
	v_cmpx_ne_u32_e32 0, v19
; %bb.38:
	s_clause 0x2
	flat_load_b64 v[70:71], v[54:55] offset:120
	flat_load_b64 v[64:65], v[54:55] offset:48
	;; [unrolled: 1-line block ×3, first 2 shown]
; %bb.39:
	s_or_b32 exec_lo, exec_lo, s1
	v_and_b32_e32 v19, 8, v30
	s_mov_b32 s1, exec_lo
	s_delay_alu instid0(VALU_DEP_1)
	v_cmpx_ne_u32_e32 0, v19
	s_cbranch_execz .LBB6_44
; %bb.40:
	v_and_b32_e32 v19, 0x800, v30
	s_mov_b32 s3, exec_lo
	s_delay_alu instid0(VALU_DEP_1)
	v_cmpx_eq_u32_e32 0, v19
	s_cbranch_execz .LBB6_43
; %bb.41:
	s_cbranch_execnz .LBB6_3479
; %bb.42:
	ds_store_b64 v0, v[54:55]
.LBB6_43:
	s_or_b32 exec_lo, exec_lo, s3
	s_waitcnt vmcnt(1) lgkmcnt(1)
	flat_load_b64 v[64:65], v[54:55] offset:56
	s_waitcnt vmcnt(0) lgkmcnt(0)
	flat_load_b64 v[82:83], v[64:65] glc
	s_clause 0x1
	flat_load_b32 v19, v[54:55] offset:72
	flat_load_b64 v[68:69], v[54:55] offset:16
	s_waitcnt vmcnt(1) lgkmcnt(1)
	v_ashrrev_i32_e32 v133, 1, v19
.LBB6_44:
	s_or_b32 exec_lo, exec_lo, s1
	v_add_co_u32 v8, vcc_lo, v8, 3
	v_add_co_ci_u32_e32 v67, vcc_lo, 0, v9, vcc_lo
	s_delay_alu instid0(VALU_DEP_2)
	v_and_b32_e32 v66, -4, v8
.LBB6_45:
	s_or_b32 exec_lo, exec_lo, s0
	v_cmp_eq_u32_e64 s0, 0, v0
	s_delay_alu instid0(VALU_DEP_1)
	s_and_saveexec_b32 s1, s0
	s_cbranch_execz .LBB6_48
; %bb.46:
	s_waitcnt lgkmcnt(0)
	flat_load_b64 v[8:9], v[2:3] offset:32
	ds_store_2addr_b64 v0, v[12:13], v[10:11] offset1:1
	s_cbranch_execnz .LBB6_3471
; %bb.47:
	s_waitcnt vmcnt(0) lgkmcnt(1)
	ds_store_b64 v0, v[8:9]
	ds_store_b64 v0, v[15:16]
.LBB6_48:
	s_or_b32 exec_lo, exec_lo, s1
	v_mov_b32_e32 v80, 0
	s_waitcnt vmcnt(0)
	v_dual_mov_b32 v81, 0 :: v_dual_and_b32 v132, 0xffff, v18
	s_mov_b32 s20, exec_lo
	v_cmpx_lt_i64_e32 0, v[4:5]
	s_cbranch_execz .LBB6_3445
; %bb.49:
	s_waitcnt lgkmcnt(0)
	flat_load_b32 v8, v[2:3] offset:4
	v_dual_mov_b32 v3, 0 :: v_dual_and_b32 v2, 31, v31
	s_ashr_i32 s21, s19, 31
	s_add_u32 s22, s19, -1
	s_addc_u32 s23, s21, -1
	s_not_b32 s3, s19
	v_cmp_ge_i32_e32 vcc_lo, v0, v1
	v_cmp_eq_u32_e64 s1, 0, v2
	s_cmp_gt_i32 s19, 0
	s_mov_b32 s24, 0
	s_cselect_b32 s26, s3, -1
	s_cbranch_execnz .LBB6_3473
; %bb.50:
	v_ashrrev_i32_e32 v9, 31, v0
	v_and_b32_e32 v2, 0x1fffff00, v14
	v_lshrrev_b32_e32 v145, 5, v1
	s_ashr_i32 s3, s2, 31
	s_add_i32 s25, s19, s19
	v_lshrrev_b32_e32 v9, 27, v9
	s_lshr_b32 s3, s3, 29
	v_lshlrev_b32_e32 v161, 6, v145
	s_add_i32 s2, s2, s3
	s_add_i32 s26, s26, s25
	v_dual_mov_b32 v86, 0 :: v_dual_add_nc_u32 v9, v0, v9
	v_mov_b32_e32 v87, 0
	v_lshlrev_b32_e32 v147, 9, v145
	v_subrev_nc_u32_e32 v164, 64, v161
	s_delay_alu instid0(VALU_DEP_4) | instskip(SKIP_1) | instid1(VALU_DEP_4)
	v_dual_mov_b32 v97, v3 :: v_dual_and_b32 v10, 0xffffffe0, v9
	v_ashrrev_i32_e32 v135, 5, v9
	v_dual_mov_b32 v96, v2 :: v_dual_add_nc_u32 v149, 0xfffffe00, v147
	v_mov_b32_e32 v80, v86
	s_delay_alu instid0(VALU_DEP_4) | instskip(NEXT) | instid1(VALU_DEP_4)
	v_sub_nc_u32_e32 v144, v0, v10
	v_dual_mov_b32 v182, 1 :: v_dual_lshlrev_b32 v9, 12, v135
	s_delay_alu instid0(VALU_DEP_4)
	v_ashrrev_i32_e32 v160, 31, v149
	v_ashrrev_i32_e32 v167, 31, v164
	s_waitcnt vmcnt(0) lgkmcnt(0)
	v_dual_mov_b32 v81, v87 :: v_dual_and_b32 v8, 1, v8
	v_lshl_add_u32 v146, v144, 4, v9
	v_lshl_add_u32 v9, v145, 12, 0xfffff000
	s_ashr_i32 s3, s2, 31
	s_ashr_i32 s2, s2, 4
	s_lshr_b32 s3, s3, 28
	s_ashr_i32 s27, s26, 31
	v_ashrrev_i32_e32 v10, 31, v9
	v_add_co_u32 v150, s7, 0x1000, v9
	v_lshl_add_u32 v9, v145, 10, 0xfffffc00
	s_add_i32 s2, s2, s3
	s_delay_alu instid0(VALU_DEP_3) | instskip(SKIP_1) | instid1(VALU_DEP_3)
	v_add_co_ci_u32_e64 v151, s7, 0, v10, s7
	v_add_co_u32 v162, s7, 0x200, v149
	v_ashrrev_i32_e32 v10, 31, v9
	v_add_co_ci_u32_e64 v163, s7, 0, v160, s7
	v_add_co_u32 v165, s7, 0x400, v9
	s_delay_alu instid0(VALU_DEP_1) | instskip(SKIP_1) | instid1(VALU_DEP_1)
	v_add_co_ci_u32_e64 v166, s7, 0, v10, s7
	v_add_co_u32 v176, s7, v164, 64
	v_add_co_ci_u32_e64 v177, s7, 0, v167, s7
	v_cmp_eq_u32_e64 s7, 1, v8
	v_lshlrev_b32_e32 v8, 11, v135
	s_ashr_i32 s28, s2, 4
	s_cmp_gt_i32 s19, 2
	v_mad_i64_i32 v[84:85], null, v2, s19, 0
	s_delay_alu instid0(VALU_DEP_2)
	v_sub_nc_u32_e32 v178, v146, v8
	v_lshl_add_u32 v8, v145, 11, 0xfffff800
	s_cselect_b32 s29, -1, 0
	s_add_i32 s13, s19, 1
	s_xor_b32 vcc_hi, s7, -1
	s_cmp_le_i32 s19, s13
	v_ashrrev_i32_e32 v9, 31, v8
	s_cselect_b32 s14, s19, 0
	v_cmp_eq_u64_e64 s10, 0, v[70:71]
	s_sub_i32 s31, s13, s14
	v_add_co_u32 v180, s13, 0x800, v8
	v_cmp_ne_u64_e64 s11, 0, v[70:71]
	v_ashrrev_i32_e32 v134, 31, v133
	v_cmp_eq_u32_e64 s2, 32, v1
	v_cmp_ne_u32_e64 s3, 32, v1
	v_cmp_ne_u32_e64 s4, v132, v1
	v_cmp_gt_i32_e64 s5, 1, v144
	v_cmp_lt_i32_e64 s6, v144, v17
	v_ashrrev_i32_e32 v148, 31, v146
	v_cmp_le_i32_e64 s12, v144, v17
	v_ashrrev_i32_e32 v179, 31, v178
	v_add_co_ci_u32_e64 v181, s13, 0, v9, s13
	s_ashr_i32 s14, s31, 31
	s_add_i32 s34, s19, -2
	s_xor_b32 s16, vcc_lo, -1
	s_sub_i32 s35, 0, s19
.LBB6_51:                               ; =>This Loop Header: Depth=1
                                        ;     Child Loop BB6_59 Depth 2
                                        ;       Child Loop BB6_68 Depth 3
                                        ;       Child Loop BB6_97 Depth 3
	;; [unrolled: 1-line block ×9, first 2 shown]
                                        ;     Child Loop BB6_225 Depth 2
                                        ;       Child Loop BB6_231 Depth 3
                                        ;       Child Loop BB6_260 Depth 3
	;; [unrolled: 1-line block ×3, first 2 shown]
                                        ;     Child Loop BB6_308 Depth 2
                                        ;       Child Loop BB6_310 Depth 3
                                        ;         Child Loop BB6_319 Depth 4
                                        ;         Child Loop BB6_349 Depth 4
	;; [unrolled: 1-line block ×9, first 2 shown]
                                        ;       Child Loop BB6_1162 Depth 3
                                        ;         Child Loop BB6_1168 Depth 4
                                        ;         Child Loop BB6_1200 Depth 4
	;; [unrolled: 1-line block ×3, first 2 shown]
                                        ;     Child Loop BB6_1249 Depth 2
                                        ;       Child Loop BB6_1258 Depth 3
                                        ;       Child Loop BB6_1288 Depth 3
	;; [unrolled: 1-line block ×5, first 2 shown]
                                        ;         Child Loop BB6_1823 Depth 4
                                        ;       Child Loop BB6_1837 Depth 3
                                        ;       Child Loop BB6_2032 Depth 3
                                        ;         Child Loop BB6_2045 Depth 4
                                        ;       Child Loop BB6_2062 Depth 3
                                        ;       Child Loop BB6_2452 Depth 3
	;; [unrolled: 1-line block ×6, first 2 shown]
                                        ;     Child Loop BB6_2824 Depth 2
                                        ;       Child Loop BB6_2830 Depth 3
                                        ;       Child Loop BB6_2860 Depth 3
	;; [unrolled: 1-line block ×3, first 2 shown]
                                        ;     Child Loop BB6_2908 Depth 2
                                        ;       Child Loop BB6_2910 Depth 3
                                        ;         Child Loop BB6_2919 Depth 4
                                        ;         Child Loop BB6_2949 Depth 4
	;; [unrolled: 1-line block ×5, first 2 shown]
                                        ;           Child Loop BB6_3004 Depth 5
                                        ;         Child Loop BB6_3015 Depth 4
                                        ;         Child Loop BB6_3021 Depth 4
                                        ;           Child Loop BB6_3022 Depth 5
                                        ;         Child Loop BB6_3036 Depth 4
                                        ;         Child Loop BB6_3042 Depth 4
	;; [unrolled: 1-line block ×6, first 2 shown]
                                        ;       Child Loop BB6_3117 Depth 3
                                        ;         Child Loop BB6_3123 Depth 4
                                        ;         Child Loop BB6_3155 Depth 4
                                        ;         Child Loop BB6_3182 Depth 4
                                        ;     Child Loop BB6_3204 Depth 2
                                        ;       Child Loop BB6_3213 Depth 3
                                        ;       Child Loop BB6_3240 Depth 3
	;; [unrolled: 1-line block ×9, first 2 shown]
                                        ;     Child Loop BB6_3366 Depth 2
                                        ;       Child Loop BB6_3372 Depth 3
                                        ;       Child Loop BB6_3399 Depth 3
	;; [unrolled: 1-line block ×3, first 2 shown]
	v_sub_co_u32 v98, vcc_lo, v4, v86
	v_sub_co_ci_u32_e32 v99, vcc_lo, v5, v87, vcc_lo
	s_mov_b32 s30, exec_lo
	s_delay_alu instid0(VALU_DEP_1)
	v_cmpx_lt_i64_e64 v[98:99], v[84:85]
	s_cbranch_execz .LBB6_57
; %bb.52:                               ;   in Loop: Header=BB6_51 Depth=1
	v_add_co_u32 v2, vcc_lo, s22, v98
	v_add_co_ci_u32_e32 v10, vcc_lo, s23, v99, vcc_lo
	v_mov_b32_e32 v8, v3
	s_delay_alu instid0(VALU_DEP_2) | instskip(NEXT) | instid1(VALU_DEP_1)
	v_or_b32_e32 v9, s21, v10
	v_cmp_ne_u64_e32 vcc_lo, 0, v[8:9]
                                        ; implicit-def: $vgpr8_vgpr9
	s_and_saveexec_b32 s13, vcc_lo
	s_delay_alu instid0(SALU_CYCLE_1)
	s_xor_b32 s36, exec_lo, s13
	s_cbranch_execz .LBB6_54
; %bb.53:                               ;   in Loop: Header=BB6_51 Depth=1
	s_mov_b32 s38, s16
	s_add_u32 s16, s19, s21
	s_mov_b32 s37, s14
	s_mov_b32 s14, s21
	;; [unrolled: 1-line block ×3, first 2 shown]
	s_addc_u32 s17, s21, s21
	s_delay_alu instid0(SALU_CYCLE_1) | instskip(NEXT) | instid1(SALU_CYCLE_1)
	s_xor_b64 s[16:17], s[16:17], s[14:15]
	v_cvt_f32_u32_e32 v8, s16
	v_cvt_f32_u32_e32 v9, s17
	s_sub_u32 s13, 0, s16
	s_subb_u32 s39, 0, s17
	s_delay_alu instid0(VALU_DEP_1) | instskip(NEXT) | instid1(VALU_DEP_1)
	v_fmac_f32_e32 v8, 0x4f800000, v9
	v_rcp_f32_e32 v8, v8
	s_waitcnt_depctr 0xfff
	v_mul_f32_e32 v8, 0x5f7ffffc, v8
	s_delay_alu instid0(VALU_DEP_1) | instskip(NEXT) | instid1(VALU_DEP_1)
	v_mul_f32_e32 v9, 0x2f800000, v8
	v_trunc_f32_e32 v9, v9
	s_delay_alu instid0(VALU_DEP_1) | instskip(SKIP_1) | instid1(VALU_DEP_2)
	v_fmac_f32_e32 v8, 0xcf800000, v9
	v_cvt_u32_f32_e32 v9, v9
	v_cvt_u32_f32_e32 v8, v8
	s_delay_alu instid0(VALU_DEP_2) | instskip(NEXT) | instid1(VALU_DEP_2)
	v_mul_lo_u32 v11, s13, v9
	v_mul_hi_u32 v12, s13, v8
	v_mul_lo_u32 v13, s39, v8
	s_delay_alu instid0(VALU_DEP_2) | instskip(SKIP_1) | instid1(VALU_DEP_2)
	v_add_nc_u32_e32 v11, v12, v11
	v_mul_lo_u32 v12, s13, v8
	v_add_nc_u32_e32 v11, v11, v13
	s_delay_alu instid0(VALU_DEP_2) | instskip(NEXT) | instid1(VALU_DEP_2)
	v_mul_hi_u32 v13, v8, v12
	v_mul_lo_u32 v14, v8, v11
	v_mul_hi_u32 v15, v8, v11
	v_mul_hi_u32 v16, v9, v12
	v_mul_lo_u32 v12, v9, v12
	v_mul_hi_u32 v17, v9, v11
	v_mul_lo_u32 v11, v9, v11
	v_add_co_u32 v13, vcc_lo, v13, v14
	v_add_co_ci_u32_e32 v14, vcc_lo, 0, v15, vcc_lo
	s_delay_alu instid0(VALU_DEP_2) | instskip(NEXT) | instid1(VALU_DEP_2)
	v_add_co_u32 v12, vcc_lo, v13, v12
	v_add_co_ci_u32_e32 v12, vcc_lo, v14, v16, vcc_lo
	v_add_co_ci_u32_e32 v13, vcc_lo, 0, v17, vcc_lo
	v_ashrrev_i32_e32 v16, 31, v10
	s_delay_alu instid0(VALU_DEP_3) | instskip(NEXT) | instid1(VALU_DEP_3)
	v_add_co_u32 v11, vcc_lo, v12, v11
	v_add_co_ci_u32_e32 v12, vcc_lo, 0, v13, vcc_lo
	s_delay_alu instid0(VALU_DEP_2) | instskip(NEXT) | instid1(VALU_DEP_2)
	v_add_co_u32 v8, vcc_lo, v8, v11
	v_add_co_ci_u32_e32 v9, vcc_lo, v9, v12, vcc_lo
	s_delay_alu instid0(VALU_DEP_2) | instskip(SKIP_1) | instid1(VALU_DEP_3)
	v_mul_hi_u32 v11, s13, v8
	v_mul_lo_u32 v13, s39, v8
	v_mul_lo_u32 v12, s13, v9
	s_delay_alu instid0(VALU_DEP_1) | instskip(SKIP_1) | instid1(VALU_DEP_2)
	v_add_nc_u32_e32 v11, v11, v12
	v_mul_lo_u32 v12, s13, v8
	v_add_nc_u32_e32 v11, v11, v13
	s_delay_alu instid0(VALU_DEP_2) | instskip(NEXT) | instid1(VALU_DEP_2)
	v_mul_hi_u32 v13, v8, v12
	v_mul_lo_u32 v14, v8, v11
	v_mul_hi_u32 v15, v8, v11
	v_mul_hi_u32 v17, v9, v12
	v_mul_lo_u32 v12, v9, v12
	v_mul_hi_u32 v18, v9, v11
	v_mul_lo_u32 v11, v9, v11
	v_add_co_u32 v13, vcc_lo, v13, v14
	v_add_co_ci_u32_e32 v14, vcc_lo, 0, v15, vcc_lo
	s_delay_alu instid0(VALU_DEP_2) | instskip(NEXT) | instid1(VALU_DEP_2)
	v_add_co_u32 v12, vcc_lo, v13, v12
	v_add_co_ci_u32_e32 v12, vcc_lo, v14, v17, vcc_lo
	v_add_co_ci_u32_e32 v13, vcc_lo, 0, v18, vcc_lo
	v_add_co_u32 v2, vcc_lo, v2, v16
	v_add_co_ci_u32_e32 v10, vcc_lo, v10, v16, vcc_lo
	s_delay_alu instid0(VALU_DEP_4) | instskip(NEXT) | instid1(VALU_DEP_4)
	v_add_co_u32 v11, vcc_lo, v12, v11
	v_add_co_ci_u32_e32 v12, vcc_lo, 0, v13, vcc_lo
	s_delay_alu instid0(VALU_DEP_4) | instskip(NEXT) | instid1(VALU_DEP_3)
	v_xor_b32_e32 v2, v2, v16
	v_add_co_u32 v13, vcc_lo, v8, v11
	s_delay_alu instid0(VALU_DEP_3) | instskip(SKIP_1) | instid1(VALU_DEP_3)
	v_add_co_ci_u32_e32 v14, vcc_lo, v9, v12, vcc_lo
	v_xor_b32_e32 v15, v10, v16
	v_mul_hi_u32 v17, v2, v13
	s_delay_alu instid0(VALU_DEP_3) | instskip(NEXT) | instid1(VALU_DEP_3)
	v_mad_u64_u32 v[8:9], null, v2, v14, 0
	v_mad_u64_u32 v[10:11], null, v15, v13, 0
	;; [unrolled: 1-line block ×3, first 2 shown]
	s_delay_alu instid0(VALU_DEP_3) | instskip(NEXT) | instid1(VALU_DEP_4)
	v_add_co_u32 v8, vcc_lo, v17, v8
	v_add_co_ci_u32_e32 v9, vcc_lo, 0, v9, vcc_lo
	s_delay_alu instid0(VALU_DEP_2) | instskip(NEXT) | instid1(VALU_DEP_2)
	v_add_co_u32 v8, vcc_lo, v8, v10
	v_add_co_ci_u32_e32 v8, vcc_lo, v9, v11, vcc_lo
	v_add_co_ci_u32_e32 v9, vcc_lo, 0, v13, vcc_lo
	s_delay_alu instid0(VALU_DEP_2) | instskip(NEXT) | instid1(VALU_DEP_2)
	v_add_co_u32 v10, vcc_lo, v8, v12
	v_add_co_ci_u32_e32 v11, vcc_lo, 0, v9, vcc_lo
	s_delay_alu instid0(VALU_DEP_2) | instskip(SKIP_1) | instid1(VALU_DEP_3)
	v_mul_lo_u32 v12, s17, v10
	v_mad_u64_u32 v[8:9], null, s16, v10, 0
	v_mul_lo_u32 v13, s16, v11
	s_delay_alu instid0(VALU_DEP_2) | instskip(NEXT) | instid1(VALU_DEP_2)
	v_sub_co_u32 v2, vcc_lo, v2, v8
	v_add3_u32 v9, v9, v13, v12
	s_delay_alu instid0(VALU_DEP_1) | instskip(NEXT) | instid1(VALU_DEP_1)
	v_sub_nc_u32_e32 v12, v15, v9
	v_subrev_co_ci_u32_e64 v8, s13, s17, v12, vcc_lo
	v_add_co_u32 v12, s13, v10, 2
	s_delay_alu instid0(VALU_DEP_1) | instskip(SKIP_3) | instid1(VALU_DEP_3)
	v_add_co_ci_u32_e64 v13, s13, 0, v11, s13
	v_sub_co_u32 v14, s13, v2, s16
	v_sub_co_ci_u32_e32 v9, vcc_lo, v15, v9, vcc_lo
	v_subrev_co_ci_u32_e64 v8, s13, 0, v8, s13
	v_cmp_le_u32_e32 vcc_lo, s16, v14
	s_delay_alu instid0(VALU_DEP_3) | instskip(SKIP_1) | instid1(VALU_DEP_4)
	v_cmp_eq_u32_e64 s13, s17, v9
	v_cndmask_b32_e64 v14, 0, -1, vcc_lo
	v_cmp_le_u32_e32 vcc_lo, s17, v8
	v_cndmask_b32_e64 v15, 0, -1, vcc_lo
	v_cmp_le_u32_e32 vcc_lo, s16, v2
	s_mov_b32 s16, s38
	v_cndmask_b32_e64 v2, 0, -1, vcc_lo
	v_cmp_le_u32_e32 vcc_lo, s17, v9
	v_cndmask_b32_e64 v17, 0, -1, vcc_lo
	v_cmp_eq_u32_e32 vcc_lo, s17, v8
	s_delay_alu instid0(VALU_DEP_2) | instskip(SKIP_3) | instid1(VALU_DEP_3)
	v_cndmask_b32_e64 v2, v17, v2, s13
	v_cndmask_b32_e32 v8, v15, v14, vcc_lo
	v_add_co_u32 v14, vcc_lo, v10, 1
	v_add_co_ci_u32_e32 v15, vcc_lo, 0, v11, vcc_lo
	v_cmp_ne_u32_e32 vcc_lo, 0, v8
	s_delay_alu instid0(VALU_DEP_2) | instskip(SKIP_3) | instid1(VALU_DEP_3)
	v_dual_cndmask_b32 v8, v15, v13 :: v_dual_cndmask_b32 v9, v14, v12
	v_cmp_ne_u32_e32 vcc_lo, 0, v2
	v_xor_b32_e32 v2, s14, v16
	s_mov_b32 s14, s37
	v_dual_cndmask_b32 v8, v11, v8 :: v_dual_cndmask_b32 v9, v10, v9
	v_xor_b32_e32 v10, s15, v16
	s_delay_alu instid0(VALU_DEP_2) | instskip(NEXT) | instid1(VALU_DEP_2)
	v_xor_b32_e32 v9, v9, v2
	v_xor_b32_e32 v11, v8, v10
	s_delay_alu instid0(VALU_DEP_2) | instskip(NEXT) | instid1(VALU_DEP_2)
	v_sub_co_u32 v8, vcc_lo, v9, v2
	v_sub_co_ci_u32_e32 v9, vcc_lo, v11, v10, vcc_lo
                                        ; implicit-def: $vgpr2
.LBB6_54:                               ;   in Loop: Header=BB6_51 Depth=1
	s_and_not1_saveexec_b32 s13, s36
	s_cbranch_execz .LBB6_56
; %bb.55:                               ;   in Loop: Header=BB6_51 Depth=1
	v_cvt_f32_u32_e32 v8, s19
	s_delay_alu instid0(VALU_DEP_1) | instskip(SKIP_2) | instid1(VALU_DEP_1)
	v_rcp_iflag_f32_e32 v8, v8
	s_waitcnt_depctr 0xfff
	v_mul_f32_e32 v8, 0x4f7ffffe, v8
	v_cvt_u32_f32_e32 v8, v8
	s_delay_alu instid0(VALU_DEP_1) | instskip(NEXT) | instid1(VALU_DEP_1)
	v_mul_lo_u32 v9, s35, v8
	v_mul_hi_u32 v9, v8, v9
	s_delay_alu instid0(VALU_DEP_1) | instskip(NEXT) | instid1(VALU_DEP_1)
	v_add_nc_u32_e32 v8, v8, v9
	v_mul_hi_u32 v8, v2, v8
	s_delay_alu instid0(VALU_DEP_1) | instskip(NEXT) | instid1(VALU_DEP_1)
	v_mul_lo_u32 v9, v8, s19
	v_sub_nc_u32_e32 v2, v2, v9
	s_delay_alu instid0(VALU_DEP_1) | instskip(SKIP_1) | instid1(VALU_DEP_2)
	v_subrev_nc_u32_e32 v10, s19, v2
	v_cmp_le_u32_e32 vcc_lo, s19, v2
	v_dual_cndmask_b32 v2, v2, v10 :: v_dual_add_nc_u32 v9, 1, v8
	s_delay_alu instid0(VALU_DEP_1) | instskip(NEXT) | instid1(VALU_DEP_2)
	v_cndmask_b32_e32 v8, v8, v9, vcc_lo
	v_cmp_le_u32_e32 vcc_lo, s19, v2
	s_delay_alu instid0(VALU_DEP_2) | instskip(NEXT) | instid1(VALU_DEP_1)
	v_add_nc_u32_e32 v9, 1, v8
	v_cndmask_b32_e32 v2, v8, v9, vcc_lo
	s_delay_alu instid0(VALU_DEP_1)
	v_dual_mov_b32 v9, v3 :: v_dual_mov_b32 v8, v2
.LBB6_56:                               ;   in Loop: Header=BB6_51 Depth=1
	s_or_b32 exec_lo, exec_lo, s13
	s_delay_alu instid0(VALU_DEP_1) | instskip(NEXT) | instid1(VALU_DEP_2)
	v_add_co_u32 v2, vcc_lo, v8, 7
	v_add_co_ci_u32_e32 v97, vcc_lo, 0, v9, vcc_lo
	s_delay_alu instid0(VALU_DEP_2)
	v_and_b32_e32 v96, -8, v2
.LBB6_57:                               ;   in Loop: Header=BB6_51 Depth=1
	s_or_b32 exec_lo, exec_lo, s30
	s_delay_alu instid0(VALU_DEP_2) | instskip(NEXT) | instid1(VALU_DEP_2)
	v_mul_lo_u32 v2, v97, s26
	v_mul_lo_u32 v8, v96, s27
	v_mad_u64_u32 v[11:12], null, v96, s26, 0
	v_mov_b32_e32 v10, 0
	s_mov_b32 s17, 0
	s_delay_alu instid0(VALU_DEP_2) | instskip(NEXT) | instid1(VALU_DEP_3)
	v_add3_u32 v12, v12, v8, v2
	v_sub_co_u32 v8, vcc_lo, v98, v11
	s_delay_alu instid0(VALU_DEP_2) | instskip(NEXT) | instid1(VALU_DEP_1)
	v_sub_co_ci_u32_e32 v9, vcc_lo, v99, v12, vcc_lo
	v_cmp_lt_i64_e32 vcc_lo, v[96:97], v[8:9]
	v_cndmask_b32_e32 v8, v8, v96, vcc_lo
	v_add_co_u32 v100, vcc_lo, v86, v28
	v_add_co_ci_u32_e32 v101, vcc_lo, v87, v29, vcc_lo
	s_delay_alu instid0(VALU_DEP_3) | instskip(NEXT) | instid1(VALU_DEP_1)
	v_max_i32_e32 v20, 0, v8
	v_add_nc_u32_e32 v2, 31, v20
	s_delay_alu instid0(VALU_DEP_1) | instskip(NEXT) | instid1(VALU_DEP_1)
	v_lshrrev_b32_e32 v2, 1, v2
	v_and_b32_e32 v9, 0x3ffffff0, v2
	v_cmp_lt_i32_e32 vcc_lo, 0, v8
	v_mov_b32_e32 v2, 0
	s_delay_alu instid0(VALU_DEP_3) | instskip(SKIP_1) | instid1(SALU_CYCLE_1)
	v_max_i32_e32 v8, s28, v9
	s_and_b32 s13, s16, vcc_lo
	s_and_saveexec_b32 s15, s13
	s_cbranch_execz .LBB6_223
; %bb.58:                               ;   in Loop: Header=BB6_51 Depth=1
	v_lshlrev_b64 v[12:13], 1, v[11:12]
	v_mov_b32_e32 v10, 0
	s_mov_b32 s36, 1
	s_mov_b32 s30, -1
.LBB6_59:                               ;   Parent Loop BB6_51 Depth=1
                                        ; =>  This Loop Header: Depth=2
                                        ;       Child Loop BB6_68 Depth 3
                                        ;       Child Loop BB6_97 Depth 3
	;; [unrolled: 1-line block ×9, first 2 shown]
	s_and_saveexec_b32 s13, s0
	s_cbranch_execz .LBB6_62
; %bb.60:                               ;   in Loop: Header=BB6_59 Depth=2
	s_cbranch_execnz .LBB6_3496
; %bb.61:                               ;   in Loop: Header=BB6_59 Depth=2
	ds_load_b64 v[14:15], v0
	v_lshlrev_b64 v[16:17], 1, v[100:101]
	v_ashrrev_i32_e32 v11, 31, v10
	s_waitcnt lgkmcnt(0)
	s_delay_alu instid0(VALU_DEP_2) | instskip(NEXT) | instid1(VALU_DEP_3)
	v_add_co_u32 v2, vcc_lo, v14, v16
	v_add_co_ci_u32_e32 v9, vcc_lo, v15, v17, vcc_lo
	s_delay_alu instid0(VALU_DEP_3) | instskip(NEXT) | instid1(VALU_DEP_3)
	v_lshlrev_b64 v[14:15], 1, v[10:11]
	v_add_co_u32 v2, vcc_lo, v2, v12
	s_delay_alu instid0(VALU_DEP_3) | instskip(NEXT) | instid1(VALU_DEP_2)
	v_add_co_ci_u32_e32 v9, vcc_lo, v9, v13, vcc_lo
	v_add_co_u32 v14, vcc_lo, v2, v14
	s_delay_alu instid0(VALU_DEP_2)
	v_add_co_ci_u32_e32 v15, vcc_lo, v9, v15, vcc_lo
	v_mov_b32_e32 v2, v3
	ds_store_b64 v0, v[14:15]
	ds_store_b64 v0, v[2:3]
.LBB6_62:                               ;   in Loop: Header=BB6_59 Depth=2
	s_or_b32 exec_lo, exec_lo, s13
	v_and_b32_e32 v2, 8, v30
	s_mov_b32 s37, -1
	s_mov_b32 s13, exec_lo
	s_delay_alu instid0(VALU_DEP_1)
	v_cmpx_ne_u32_e32 0, v2
	s_cbranch_execz .LBB6_76
; %bb.63:                               ;   in Loop: Header=BB6_59 Depth=2
	v_add_co_u32 v16, vcc_lo, v82, 8
	v_add_co_ci_u32_e32 v17, vcc_lo, 0, v83, vcc_lo
	v_add_co_u32 v14, vcc_lo, v66, 2
	v_add_co_ci_u32_e32 v15, vcc_lo, 0, v67, vcc_lo
	v_mov_b32_e32 v2, 1
	s_mov_b32 s37, exec_lo
	s_delay_alu instid0(VALU_DEP_2)
	v_cmpx_lt_u64_e64 v[16:17], v[14:15]
	s_cbranch_execz .LBB6_75
; %bb.64:                               ;   in Loop: Header=BB6_59 Depth=2
	v_mov_b32_e32 v2, 0
	s_mov_b32 s38, 0
                                        ; implicit-def: $sgpr39
	s_branch .LBB6_68
.LBB6_65:                               ;   in Loop: Header=BB6_68 Depth=3
	s_or_b32 exec_lo, exec_lo, s43
	v_mov_b32_e32 v9, 0
	s_or_not1_b32 s42, s42, exec_lo
.LBB6_66:                               ;   in Loop: Header=BB6_68 Depth=3
	s_or_b32 exec_lo, exec_lo, s41
	s_delay_alu instid0(VALU_DEP_1) | instskip(SKIP_2) | instid1(SALU_CYCLE_1)
	v_mov_b32_e32 v2, v9
	s_and_not1_b32 vcc_lo, s39, exec_lo
	s_and_b32 s39, s42, exec_lo
	s_or_b32 s39, vcc_lo, s39
.LBB6_67:                               ;   in Loop: Header=BB6_68 Depth=3
	s_or_b32 exec_lo, exec_lo, s40
	s_waitcnt vmcnt(0) lgkmcnt(0)
	v_add_co_u32 v16, vcc_lo, v82, 8
	v_add_co_ci_u32_e32 v17, vcc_lo, 0, v83, vcc_lo
	s_xor_b32 s40, s39, -1
	s_delay_alu instid0(VALU_DEP_1) | instskip(SKIP_1) | instid1(SALU_CYCLE_1)
	v_cmp_ge_u64_e32 vcc_lo, v[16:17], v[14:15]
	s_or_b32 vcc_lo, s40, vcc_lo
	s_and_b32 vcc_lo, exec_lo, vcc_lo
	s_delay_alu instid0(SALU_CYCLE_1) | instskip(NEXT) | instid1(SALU_CYCLE_1)
	s_or_b32 s38, vcc_lo, s38
	s_and_not1_b32 exec_lo, exec_lo, s38
	s_cbranch_execz .LBB6_74
.LBB6_68:                               ;   Parent Loop BB6_51 Depth=1
                                        ;     Parent Loop BB6_59 Depth=2
                                        ; =>    This Inner Loop Header: Depth=3
	s_sleep 1
	flat_load_b64 v[82:83], v[64:65] glc
	v_and_b32_e32 v9, 64, v30
	s_and_not1_b32 s39, s39, exec_lo
	s_mov_b32 s40, exec_lo
	s_delay_alu instid0(VALU_DEP_1)
	v_cmpx_eq_u32_e32 0, v9
	s_cbranch_execz .LBB6_67
; %bb.69:                               ;   in Loop: Header=BB6_68 Depth=3
	v_add_nc_u32_e32 v9, 1, v2
	s_mov_b32 s42, -1
	s_mov_b32 s41, exec_lo
	v_cmpx_lt_i32_e32 0x270e, v2
	s_cbranch_execz .LBB6_66
; %bb.70:                               ;   in Loop: Header=BB6_68 Depth=3
	s_cbranch_execnz .LBB6_3518
; %bb.71:                               ;   in Loop: Header=BB6_68 Depth=3
	ds_load_b64 v[16:17], v0
	s_mov_b32 s43, exec_lo
	s_waitcnt vmcnt(0) lgkmcnt(0)
	s_waitcnt_vscnt null, 0x0
	flat_load_b32 v2, v[16:17] glc
	s_waitcnt vmcnt(0) lgkmcnt(0)
	buffer_gl1_inv
	buffer_gl0_inv
	v_cmpx_ne_u32_e32 0, v2
	s_cbranch_execz .LBB6_65
; %bb.72:                               ;   in Loop: Header=BB6_68 Depth=3
	ds_store_b32 v0, v2
	s_cbranch_execnz .LBB6_3537
; %bb.73:                               ;   in Loop: Header=BB6_68 Depth=3
	v_or_b32_e32 v30, 64, v30
	s_xor_b32 s42, exec_lo, -1
	s_branch .LBB6_65
.LBB6_74:                               ;   in Loop: Header=BB6_59 Depth=2
	s_or_b32 exec_lo, exec_lo, s38
	v_and_b32_e32 v2, 8, v30
.LBB6_75:                               ;   in Loop: Header=BB6_59 Depth=2
	s_or_b32 exec_lo, exec_lo, s37
	s_delay_alu instid0(VALU_DEP_1)
	v_cmp_eq_u32_e32 vcc_lo, 0, v2
	;;#ASMSTART
	s_wakeup
	;;#ASMEND
	s_or_not1_b32 s37, vcc_lo, exec_lo
.LBB6_76:                               ;   in Loop: Header=BB6_59 Depth=2
	s_or_b32 exec_lo, exec_lo, s13
	v_sub_nc_u32_e32 v2, v20, v10
	s_xor_b32 vcc_lo, s37, -1
	s_delay_alu instid0(VALU_DEP_1)
	v_min_i32_e32 v8, v8, v2
	s_and_saveexec_b32 s13, vcc_lo
	s_cbranch_execz .LBB6_84
; %bb.77:                               ;   in Loop: Header=BB6_59 Depth=2
	v_and_b32_e32 v2, 0x100, v30
	s_mov_b32 s38, 0
	s_mov_b32 s37, exec_lo
                                        ; implicit-def: $vgpr16_vgpr17
	s_delay_alu instid0(VALU_DEP_1)
	v_cmpx_ne_u32_e32 0, v2
	s_xor_b32 s37, exec_lo, s37
                                        ; implicit-def: $vgpr14_vgpr15
	s_cbranch_execnz .LBB6_92
; %bb.78:                               ;   in Loop: Header=BB6_59 Depth=2
	s_and_not1_saveexec_b32 vcc_lo, s37
	s_cbranch_execnz .LBB6_95
.LBB6_79:                               ;   in Loop: Header=BB6_59 Depth=2
	s_or_b32 exec_lo, exec_lo, vcc_lo
	s_and_saveexec_b32 vcc_lo, s38
.LBB6_80:                               ;   in Loop: Header=BB6_59 Depth=2
	v_mul_lo_u32 v2, v3, v133
	v_mul_lo_u32 v9, v14, v134
	v_mad_u64_u32 v[16:17], null, v14, v133, 0
	s_delay_alu instid0(VALU_DEP_1)
	v_add3_u32 v17, v17, v9, v2
.LBB6_81:                               ;   in Loop: Header=BB6_59 Depth=2
	s_or_b32 exec_lo, exec_lo, vcc_lo
	s_delay_alu instid0(VALU_DEP_1) | instskip(SKIP_2) | instid1(VALU_DEP_2)
	v_lshlrev_b64 v[14:15], 1, v[16:17]
	v_and_b32_e32 v2, 0x2000, v30
	s_mov_b32 s37, exec_lo
	v_add_co_u32 v14, vcc_lo, v68, v14
	s_delay_alu instid0(VALU_DEP_3)
	v_add_co_ci_u32_e32 v15, vcc_lo, v69, v15, vcc_lo
	ds_store_b64 v0, v[14:15] offset:784
	v_cmpx_ne_u32_e32 0, v2
	s_cbranch_execz .LBB6_83
; %bb.82:                               ;   in Loop: Header=BB6_59 Depth=2
	ds_load_b64 v[14:15], v0 offset:584
	s_waitcnt lgkmcnt(0)
	v_add_co_u32 v14, vcc_lo, v14, 1
	v_add_co_ci_u32_e32 v15, vcc_lo, 0, v15, vcc_lo
	ds_store_b64 v0, v[14:15] offset:584
.LBB6_83:                               ;   in Loop: Header=BB6_59 Depth=2
	s_or_b32 exec_lo, exec_lo, s37
	v_add_co_u32 v66, vcc_lo, v66, 2
	v_add_co_ci_u32_e32 v67, vcc_lo, 0, v67, vcc_lo
.LBB6_84:                               ;   in Loop: Header=BB6_59 Depth=2
	s_or_b32 exec_lo, exec_lo, s13
	s_and_saveexec_b32 s13, s3
	s_cbranch_execz .LBB6_110
; %bb.85:                               ;   in Loop: Header=BB6_59 Depth=2
	s_and_saveexec_b32 vcc_lo, s4
	s_delay_alu instid0(SALU_CYCLE_1)
	s_xor_b32 s37, exec_lo, vcc_lo
	s_cbranch_execz .LBB6_107
; %bb.86:                               ;   in Loop: Header=BB6_59 Depth=2
	s_and_saveexec_b32 s38, s1
	s_cbranch_execz .LBB6_106
; %bb.87:                               ;   in Loop: Header=BB6_59 Depth=2
	s_mov_b32 s40, exec_lo
	s_mov_b32 s39, exec_lo
	v_mbcnt_lo_u32_b32 v2, s40, 0
	s_waitcnt lgkmcnt(0)
	s_waitcnt_vscnt null, 0x0
	buffer_gl1_inv
	buffer_gl0_inv
	v_cmpx_eq_u32_e32 0, v2
	s_cbranch_execz .LBB6_89
; %bb.88:                               ;   in Loop: Header=BB6_59 Depth=2
	s_bcnt1_i32_b32 vcc_lo, s40
	s_delay_alu instid0(SALU_CYCLE_1)
	v_mov_b32_e32 v2, vcc_lo
	ds_add_u64 v0, v[2:3]
	s_cbranch_execnz .LBB6_3563
.LBB6_89:                               ;   in Loop: Header=BB6_59 Depth=2
	s_or_b32 exec_lo, exec_lo, s39
	s_cbranch_execnz .LBB6_3543
; %bb.90:                               ;   in Loop: Header=BB6_59 Depth=2
	ds_load_b64 v[14:15], v0
	v_add_co_u32 v80, vcc_lo, v80, v145
	v_add_co_ci_u32_e32 v81, vcc_lo, 0, v81, vcc_lo
	s_mov_b32 s39, exec_lo
	s_waitcnt lgkmcnt(0)
	s_delay_alu instid0(VALU_DEP_1)
	v_cmpx_lt_u64_e64 v[14:15], v[80:81]
	s_cbranch_execz .LBB6_105
; %bb.91:                               ;   in Loop: Header=BB6_59 Depth=2
	s_mov_b32 s40, 0
	s_mov_b32 s43, 0
                                        ; implicit-def: $sgpr41
                                        ; implicit-def: $sgpr42
	s_branch .LBB6_97
.LBB6_92:                               ;   in Loop: Header=BB6_59 Depth=2
	v_and_b32_e32 v14, 7, v66
	v_ashrrev_i32_e32 v9, 31, v8
	s_mov_b32 s38, -1
	s_mov_b32 s39, exec_lo
	s_delay_alu instid0(VALU_DEP_2) | instskip(NEXT) | instid1(VALU_DEP_2)
	v_mad_u64_u32 v[18:19], null, v14, 24, v[6:7]
	v_lshlrev_b64 v[15:16], 1, v[8:9]
	flat_load_b32 v2, v[18:19]
	flat_store_b64 v[18:19], v[15:16] offset:8
                                        ; implicit-def: $vgpr16_vgpr17
	s_waitcnt vmcnt(0) lgkmcnt(1)
	v_cmpx_eq_u32_e32 1, v2
	s_cbranch_execz .LBB6_94
; %bb.93:                               ;   in Loop: Header=BB6_59 Depth=2
	flat_load_b32 v14, v[18:19] offset:4 glc
	s_xor_b32 s38, exec_lo, -1
	s_waitcnt vmcnt(0) lgkmcnt(0)
	v_ashrrev_i32_e32 v15, 31, v14
	s_delay_alu instid0(VALU_DEP_1)
	v_lshrrev_b64 v[16:17], 1, v[14:15]
                                        ; implicit-def: $vgpr14_vgpr15
.LBB6_94:                               ;   in Loop: Header=BB6_59 Depth=2
	s_or_b32 exec_lo, exec_lo, s39
	s_delay_alu instid0(SALU_CYCLE_1)
	s_and_b32 s38, s38, exec_lo
	s_and_not1_saveexec_b32 vcc_lo, s37
	s_cbranch_execz .LBB6_79
.LBB6_95:                               ;   in Loop: Header=BB6_59 Depth=2
	v_and_b32_e32 v14, 7, v66
	s_or_b32 s38, s38, exec_lo
                                        ; implicit-def: $vgpr16_vgpr17
	s_or_b32 exec_lo, exec_lo, vcc_lo
	s_and_saveexec_b32 vcc_lo, s38
	s_cbranch_execnz .LBB6_80
	s_branch .LBB6_81
.LBB6_96:                               ;   in Loop: Header=BB6_97 Depth=3
	s_or_b32 exec_lo, exec_lo, s45
	s_delay_alu instid0(SALU_CYCLE_1) | instskip(NEXT) | instid1(SALU_CYCLE_1)
	s_and_b32 vcc_lo, exec_lo, vcc_lo
	s_or_b32 s40, vcc_lo, s40
	s_and_not1_b32 vcc_lo, s41, exec_lo
	s_and_b32 s41, s42, exec_lo
	s_delay_alu instid0(SALU_CYCLE_1)
	s_or_b32 s41, vcc_lo, s41
	s_and_not1_b32 exec_lo, exec_lo, s40
	s_cbranch_execz .LBB6_103
.LBB6_97:                               ;   Parent Loop BB6_51 Depth=1
                                        ;     Parent Loop BB6_59 Depth=2
                                        ; =>    This Inner Loop Header: Depth=3
	s_add_i32 s43, s43, 1
                                        ; implicit-def: $sgpr45
	s_delay_alu instid0(SALU_CYCLE_1) | instskip(SKIP_1) | instid1(SALU_CYCLE_1)
	s_cmpk_lg_i32 s43, 0x2710
	s_cselect_b32 s44, -1, 0
	s_and_b32 vcc_lo, exec_lo, s44
	s_cbranch_vccz .LBB6_101
.LBB6_98:                               ;   in Loop: Header=BB6_97 Depth=3
	s_and_not1_b32 s42, s42, exec_lo
	s_and_b32 s45, s45, exec_lo
	s_mov_b32 vcc_lo, -1
	s_or_b32 s42, s42, s45
	s_and_saveexec_b32 s45, s44
	s_cbranch_execz .LBB6_96
; %bb.99:                               ;   in Loop: Header=BB6_97 Depth=3
	s_sleep 1
	s_cbranch_execnz .LBB6_3591
; %bb.100:                              ;   in Loop: Header=BB6_97 Depth=3
	ds_load_b64 v[14:15], v0
	s_and_not1_b32 s42, s42, exec_lo
	s_waitcnt lgkmcnt(0)
	v_cmp_ge_u64_e32 vcc_lo, v[14:15], v[80:81]
	s_or_not1_b32 vcc_lo, vcc_lo, exec_lo
	s_branch .LBB6_96
.LBB6_101:                              ;   in Loop: Header=BB6_97 Depth=3
	s_cbranch_execnz .LBB6_3597
; %bb.102:                              ;   in Loop: Header=BB6_97 Depth=3
	ds_load_b64 v[14:15], v0
	s_and_not1_b32 s44, s44, exec_lo
	s_mov_b32 s43, 0
	s_mov_b32 s45, -1
	s_waitcnt lgkmcnt(0)
	flat_load_b32 v2, v[14:15] glc
	s_waitcnt vmcnt(0) lgkmcnt(0)
	buffer_gl1_inv
	buffer_gl0_inv
	v_cmp_eq_u32_e32 vcc_lo, 0, v2
	s_and_b32 vcc_lo, vcc_lo, exec_lo
	s_delay_alu instid0(SALU_CYCLE_1)
	s_or_b32 s44, s44, vcc_lo
	s_branch .LBB6_98
.LBB6_103:                              ;   in Loop: Header=BB6_59 Depth=2
	s_or_b32 exec_lo, exec_lo, s40
	s_and_saveexec_b32 vcc_lo, s41
	s_delay_alu instid0(SALU_CYCLE_1)
	s_xor_b32 vcc_lo, exec_lo, vcc_lo
	s_cbranch_execz .LBB6_105
; %bb.104:                              ;   in Loop: Header=BB6_59 Depth=2
	ds_store_b32 v0, v182
	s_cbranch_execnz .LBB6_3807
.LBB6_105:                              ;   in Loop: Header=BB6_59 Depth=2
	s_or_b32 exec_lo, exec_lo, s39
	;;#ASMSTART
	s_wakeup
	;;#ASMEND
.LBB6_106:                              ;   in Loop: Header=BB6_59 Depth=2
	s_or_b32 exec_lo, exec_lo, s38
.LBB6_107:                              ;   in Loop: Header=BB6_59 Depth=2
	s_and_not1_saveexec_b32 vcc_lo, s37
	s_cbranch_execz .LBB6_109
; %bb.108:                              ;   in Loop: Header=BB6_59 Depth=2
	s_waitcnt lgkmcnt(0)
	s_waitcnt_vscnt null, 0x0
	buffer_gl1_inv
	buffer_gl0_inv
	s_barrier
.LBB6_109:                              ;   in Loop: Header=BB6_59 Depth=2
	s_or_b32 exec_lo, exec_lo, vcc_lo
.LBB6_110:                              ;   in Loop: Header=BB6_59 Depth=2
	s_delay_alu instid0(SALU_CYCLE_1)
	s_or_b32 exec_lo, exec_lo, s13
	s_cbranch_execnz .LBB6_3494
; %bb.111:                              ;   in Loop: Header=BB6_59 Depth=2
	ds_load_b32 v11, v0
	v_and_b32_e32 v2, 0x4000, v30
	s_xor_b32 s13, s2, -1
	s_delay_alu instid0(VALU_DEP_1) | instskip(SKIP_1) | instid1(SALU_CYCLE_1)
	v_cmp_ne_u32_e32 vcc_lo, 0, v2
	s_and_b32 vcc_lo, s13, vcc_lo
	s_and_saveexec_b32 s13, vcc_lo
	s_cbranch_execz .LBB6_133
; %bb.112:                              ;   in Loop: Header=BB6_59 Depth=2
	s_and_saveexec_b32 vcc_lo, s4
	s_delay_alu instid0(SALU_CYCLE_1)
	s_xor_b32 s37, exec_lo, vcc_lo
	s_cbranch_execz .LBB6_130
; %bb.113:                              ;   in Loop: Header=BB6_59 Depth=2
	s_and_saveexec_b32 s38, s1
	s_cbranch_execz .LBB6_129
; %bb.114:                              ;   in Loop: Header=BB6_59 Depth=2
	s_mov_b32 s40, exec_lo
	s_mov_b32 s39, exec_lo
	v_mbcnt_lo_u32_b32 v2, s40, 0
	s_waitcnt lgkmcnt(0)
	s_waitcnt_vscnt null, 0x0
	buffer_gl1_inv
	buffer_gl0_inv
	v_cmpx_eq_u32_e32 0, v2
	s_cbranch_execz .LBB6_116
; %bb.115:                              ;   in Loop: Header=BB6_59 Depth=2
	s_bcnt1_i32_b32 vcc_lo, s40
	s_delay_alu instid0(SALU_CYCLE_1)
	v_mov_b32_e32 v2, vcc_lo
	ds_add_u64 v0, v[2:3]
	s_cbranch_execnz .LBB6_3589
.LBB6_116:                              ;   in Loop: Header=BB6_59 Depth=2
	s_or_b32 exec_lo, exec_lo, s39
	s_cbranch_execnz .LBB6_3577
; %bb.117:                              ;   in Loop: Header=BB6_59 Depth=2
	ds_load_b64 v[14:15], v0
	v_add_co_u32 v80, vcc_lo, v80, v145
	v_add_co_ci_u32_e32 v81, vcc_lo, 0, v81, vcc_lo
	s_mov_b32 s39, exec_lo
	s_waitcnt lgkmcnt(0)
	s_delay_alu instid0(VALU_DEP_1)
	v_cmpx_lt_u64_e64 v[14:15], v[80:81]
	s_cbranch_execz .LBB6_128
; %bb.118:                              ;   in Loop: Header=BB6_59 Depth=2
	s_mov_b32 s40, 0
	s_mov_b32 s43, 0
                                        ; implicit-def: $sgpr41
                                        ; implicit-def: $sgpr42
	s_branch .LBB6_120
.LBB6_119:                              ;   in Loop: Header=BB6_120 Depth=3
	s_or_b32 exec_lo, exec_lo, s45
	s_delay_alu instid0(SALU_CYCLE_1) | instskip(NEXT) | instid1(SALU_CYCLE_1)
	s_and_b32 vcc_lo, exec_lo, vcc_lo
	s_or_b32 s40, vcc_lo, s40
	s_and_not1_b32 vcc_lo, s41, exec_lo
	s_and_b32 s41, s42, exec_lo
	s_delay_alu instid0(SALU_CYCLE_1)
	s_or_b32 s41, vcc_lo, s41
	s_and_not1_b32 exec_lo, exec_lo, s40
	s_cbranch_execz .LBB6_126
.LBB6_120:                              ;   Parent Loop BB6_51 Depth=1
                                        ;     Parent Loop BB6_59 Depth=2
                                        ; =>    This Inner Loop Header: Depth=3
	s_add_i32 s43, s43, 1
                                        ; implicit-def: $sgpr45
	s_delay_alu instid0(SALU_CYCLE_1) | instskip(SKIP_1) | instid1(SALU_CYCLE_1)
	s_cmpk_lg_i32 s43, 0x2710
	s_cselect_b32 s44, -1, 0
	s_and_b32 vcc_lo, exec_lo, s44
	s_cbranch_vccz .LBB6_124
.LBB6_121:                              ;   in Loop: Header=BB6_120 Depth=3
	s_and_not1_b32 s42, s42, exec_lo
	s_and_b32 s45, s45, exec_lo
	s_mov_b32 vcc_lo, -1
	s_or_b32 s42, s42, s45
	s_and_saveexec_b32 s45, s44
	s_cbranch_execz .LBB6_119
; %bb.122:                              ;   in Loop: Header=BB6_120 Depth=3
	s_sleep 1
	s_cbranch_execnz .LBB6_3631
; %bb.123:                              ;   in Loop: Header=BB6_120 Depth=3
	ds_load_b64 v[14:15], v0
	s_and_not1_b32 s42, s42, exec_lo
	s_waitcnt lgkmcnt(0)
	v_cmp_ge_u64_e32 vcc_lo, v[14:15], v[80:81]
	s_or_not1_b32 vcc_lo, vcc_lo, exec_lo
	s_branch .LBB6_119
.LBB6_124:                              ;   in Loop: Header=BB6_120 Depth=3
	s_cbranch_execnz .LBB6_3649
; %bb.125:                              ;   in Loop: Header=BB6_120 Depth=3
	ds_load_b64 v[14:15], v0
	s_and_not1_b32 s44, s44, exec_lo
	s_mov_b32 s43, 0
	s_mov_b32 s45, -1
	s_waitcnt lgkmcnt(0)
	flat_load_b32 v2, v[14:15] glc
	s_waitcnt vmcnt(0) lgkmcnt(0)
	buffer_gl1_inv
	buffer_gl0_inv
	v_cmp_eq_u32_e32 vcc_lo, 0, v2
	s_and_b32 vcc_lo, vcc_lo, exec_lo
	s_delay_alu instid0(SALU_CYCLE_1)
	s_or_b32 s44, s44, vcc_lo
	s_branch .LBB6_121
.LBB6_126:                              ;   in Loop: Header=BB6_59 Depth=2
	s_or_b32 exec_lo, exec_lo, s40
	s_and_saveexec_b32 vcc_lo, s41
	s_delay_alu instid0(SALU_CYCLE_1)
	s_xor_b32 vcc_lo, exec_lo, vcc_lo
	s_cbranch_execz .LBB6_128
; %bb.127:                              ;   in Loop: Header=BB6_59 Depth=2
	ds_store_b32 v0, v182
	s_cbranch_execnz .LBB6_3861
.LBB6_128:                              ;   in Loop: Header=BB6_59 Depth=2
	s_or_b32 exec_lo, exec_lo, s39
	;;#ASMSTART
	s_wakeup
	;;#ASMEND
.LBB6_129:                              ;   in Loop: Header=BB6_59 Depth=2
	s_or_b32 exec_lo, exec_lo, s38
.LBB6_130:                              ;   in Loop: Header=BB6_59 Depth=2
	s_and_not1_saveexec_b32 vcc_lo, s37
	s_cbranch_execz .LBB6_132
; %bb.131:                              ;   in Loop: Header=BB6_59 Depth=2
	s_waitcnt lgkmcnt(0)
	s_waitcnt_vscnt null, 0x0
	buffer_gl1_inv
	buffer_gl0_inv
	s_barrier
.LBB6_132:                              ;   in Loop: Header=BB6_59 Depth=2
	s_or_b32 exec_lo, exec_lo, vcc_lo
.LBB6_133:                              ;   in Loop: Header=BB6_59 Depth=2
	s_delay_alu instid0(SALU_CYCLE_1)
	s_or_b32 exec_lo, exec_lo, s13
	s_cbranch_execnz .LBB6_3520
; %bb.134:                              ;   in Loop: Header=BB6_59 Depth=2
	ds_load_b64 v[14:15], v0
	v_mov_b32_e32 v9, 0
	s_waitcnt lgkmcnt(0)
	v_cmp_eq_u64_e32 vcc_lo, 0, v[14:15]
	s_or_b32 s13, vcc_lo, vcc_lo
	s_delay_alu instid0(SALU_CYCLE_1)
	s_and_b32 vcc_lo, exec_lo, s13
	s_cbranch_vccnz .LBB6_169
; %bb.135:                              ;   in Loop: Header=BB6_59 Depth=2
	s_mov_b32 s37, s35
	s_mov_b32 s35, s14
	s_mov_b32 s13, -1
	s_and_saveexec_b32 s14, s5
	s_cbranch_execz .LBB6_137
; %bb.136:                              ;   in Loop: Header=BB6_59 Depth=2
	ds_load_b32 v2, v0 offset:720
	s_waitcnt lgkmcnt(0)
	v_and_b32_e32 v2, 15, v2
	s_delay_alu instid0(VALU_DEP_1)
	v_cmp_eq_u32_e32 vcc_lo, 0, v2
	s_or_not1_b32 s13, vcc_lo, exec_lo
.LBB6_137:                              ;   in Loop: Header=BB6_59 Depth=2
	s_or_b32 exec_lo, exec_lo, s14
	s_and_saveexec_b32 s14, s6
	s_cbranch_execz .LBB6_139
; %bb.138:                              ;   in Loop: Header=BB6_59 Depth=2
	ds_load_b32 v2, v0 offset:784
	s_waitcnt lgkmcnt(0)
	v_and_b32_e32 v2, 15, v2
	s_delay_alu instid0(VALU_DEP_1) | instskip(SKIP_3) | instid1(SALU_CYCLE_1)
	v_cmp_eq_u32_e32 vcc_lo, 0, v2
	s_and_b32 vcc_lo, s13, vcc_lo
	s_and_not1_b32 s13, s13, exec_lo
	s_and_b32 vcc_lo, vcc_lo, exec_lo
	s_or_b32 s13, s13, vcc_lo
.LBB6_139:                              ;   in Loop: Header=BB6_59 Depth=2
	s_or_b32 exec_lo, exec_lo, s14
	v_cmp_eq_u32_e32 vcc_lo, 0, v11
	s_xor_b32 s13, s13, -1
	v_mov_b32_e32 v11, 0
	v_cndmask_b32_e64 v2, 0, 1, s13
	;;#ASMSTART
	;;#ASMEND
	v_cndmask_b32_e32 v9, 0, v8, vcc_lo
	s_delay_alu instid0(VALU_DEP_2) | instskip(SKIP_1) | instid1(VALU_DEP_2)
	v_cmp_ne_u32_e32 vcc_lo, 0, v2
	s_mov_b32 s13, -1
	v_lshlrev_b32_e32 v2, 1, v9
	s_cbranch_vccz .LBB6_141
; %bb.140:                              ;   in Loop: Header=BB6_59 Depth=2
	v_mov_b32_e32 v18, v0
	v_mov_b32_e32 v22, v135
	s_branch .LBB6_156
.LBB6_141:                              ;   in Loop: Header=BB6_59 Depth=2
	s_delay_alu instid0(VALU_DEP_1) | instskip(SKIP_1) | instid1(VALU_DEP_1)
	v_ashrrev_i32_e32 v11, 31, v2
	s_mov_b32 s13, exec_lo
	v_lshrrev_b32_e32 v11, 20, v11
	s_delay_alu instid0(VALU_DEP_1) | instskip(NEXT) | instid1(VALU_DEP_1)
	v_add_nc_u32_e32 v11, v2, v11
	v_ashrrev_i32_e32 v11, 12, v11
	s_delay_alu instid0(VALU_DEP_1) | instskip(NEXT) | instid1(VALU_DEP_1)
	v_sub_nc_u32_e32 v19, v11, v135
	v_cmpx_lt_i32_e32 0, v19
	s_cbranch_execz .LBB6_146
; %bb.142:                              ;   in Loop: Header=BB6_59 Depth=2
	s_cbranch_execnz .LBB6_3601
; %bb.143:                              ;   in Loop: Header=BB6_59 Depth=2
	ds_load_b64 v[14:15], v0
	s_mov_b32 s14, 0
	s_waitcnt lgkmcnt(0)
	v_dual_mov_b32 v17, v15 :: v_dual_mov_b32 v16, v14
.LBB6_144:                              ;   Parent Loop BB6_51 Depth=1
                                        ;     Parent Loop BB6_59 Depth=2
                                        ; =>    This Inner Loop Header: Depth=3
	s_delay_alu instid0(VALU_DEP_1) | instskip(NEXT) | instid1(VALU_DEP_2)
	v_add_co_u32 v25, vcc_lo, v146, v16
	v_add_co_ci_u32_e32 v26, vcc_lo, v148, v17, vcc_lo
	v_sub_nc_u32_e32 v19, v19, v145
	s_clause 0x7
	global_load_b128 v[21:24], v[25:26], off slc dlc
	global_load_b128 v[32:35], v[25:26], off offset:512 slc dlc
	global_load_b128 v[36:39], v[25:26], off offset:1024 slc dlc
	;; [unrolled: 1-line block ×7, first 2 shown]
	v_add_co_u32 v25, vcc_lo, v146, v14
	v_add_co_ci_u32_e32 v26, vcc_lo, v148, v15, vcc_lo
	v_add_co_u32 v16, vcc_lo, v16, v150
	v_add_co_ci_u32_e32 v17, vcc_lo, v17, v151, vcc_lo
	v_add_co_u32 v14, vcc_lo, v14, v150
	v_add_co_ci_u32_e32 v15, vcc_lo, v15, v151, vcc_lo
	v_cmp_gt_i32_e32 vcc_lo, 1, v19
	s_waitcnt vmcnt(7)
	global_store_b128 v[25:26], v[21:24], off glc slc dlc
	s_waitcnt vmcnt(6)
	global_store_b128 v[25:26], v[32:35], off offset:512 glc slc dlc
	s_waitcnt vmcnt(5)
	global_store_b128 v[25:26], v[36:39], off offset:1024 glc slc dlc
	s_waitcnt vmcnt(4)
	global_store_b128 v[25:26], v[48:51], off offset:1536 glc slc dlc
	s_waitcnt vmcnt(3)
	global_store_b128 v[25:26], v[112:115], off offset:2048 glc slc dlc
	s_waitcnt vmcnt(2)
	global_store_b128 v[25:26], v[116:119], off offset:2560 glc slc dlc
	s_waitcnt vmcnt(1)
	global_store_b128 v[25:26], v[128:131], off offset:3072 glc slc dlc
	s_waitcnt vmcnt(0)
	global_store_b128 v[25:26], v[40:43], off offset:3584 glc slc dlc
	s_or_b32 s14, vcc_lo, s14
	s_delay_alu instid0(SALU_CYCLE_1)
	s_and_not1_b32 exec_lo, exec_lo, s14
	s_cbranch_execnz .LBB6_144
; %bb.145:                              ;   in Loop: Header=BB6_59 Depth=2
	s_or_b32 exec_lo, exec_lo, s14
.LBB6_146:                              ;   in Loop: Header=BB6_59 Depth=2
	s_delay_alu instid0(SALU_CYCLE_1) | instskip(SKIP_3) | instid1(VALU_DEP_1)
	s_or_b32 exec_lo, exec_lo, s13
	v_dual_mov_b32 v11, 0 :: v_dual_lshlrev_b32 v16, 12, v11
	s_mov_b32 s13, 0
	s_mov_b32 s38, exec_lo
                                        ; implicit-def: $vgpr18
                                        ; implicit-def: $vgpr22
	v_cmpx_ne_u32_e64 v2, v16
	s_cbranch_execz .LBB6_155
; %bb.147:                              ;   in Loop: Header=BB6_59 Depth=2
	v_lshlrev_b32_e32 v11, 5, v19
	v_sub_nc_u32_e32 v15, v2, v16
	s_mov_b32 s39, exec_lo
	s_delay_alu instid0(VALU_DEP_2) | instskip(NEXT) | instid1(VALU_DEP_2)
	v_sub_nc_u32_e32 v11, v144, v11
	v_ashrrev_i32_e32 v17, 31, v15
	s_delay_alu instid0(VALU_DEP_2) | instskip(NEXT) | instid1(VALU_DEP_2)
	v_ashrrev_i32_e32 v14, 31, v11
	v_lshrrev_b32_e32 v17, 23, v17
	s_delay_alu instid0(VALU_DEP_2) | instskip(NEXT) | instid1(VALU_DEP_2)
	v_lshrrev_b32_e32 v14, 27, v14
	v_add_nc_u32_e32 v22, v15, v17
	s_delay_alu instid0(VALU_DEP_2) | instskip(NEXT) | instid1(VALU_DEP_2)
	v_add_nc_u32_e32 v14, v11, v14
	v_and_b32_e32 v17, 0xfffffe00, v22
	v_ashrrev_i32_e32 v22, 9, v22
	s_delay_alu instid0(VALU_DEP_3) | instskip(NEXT) | instid1(VALU_DEP_3)
	v_and_b32_e32 v18, 0xffffffe0, v14
	v_sub_nc_u32_e32 v21, v15, v17
	v_ashrrev_i32_e32 v14, 5, v14
	s_delay_alu instid0(VALU_DEP_3) | instskip(NEXT) | instid1(VALU_DEP_3)
	v_sub_nc_u32_e32 v19, v11, v18
	v_cmp_lt_i32_e32 vcc_lo, 15, v21
	s_delay_alu instid0(VALU_DEP_2) | instskip(SKIP_1) | instid1(VALU_DEP_2)
	v_lshlrev_b32_e32 v11, 4, v19
	v_add_co_ci_u32_e64 v22, s13, 0, v22, vcc_lo
	v_lshl_add_u32 v18, v14, 9, v11
	s_delay_alu instid0(VALU_DEP_2) | instskip(NEXT) | instid1(VALU_DEP_2)
	v_sub_nc_u32_e32 v23, v22, v14
	v_sub_nc_u32_e32 v11, v15, v18
	s_delay_alu instid0(VALU_DEP_1)
	v_cmpx_lt_i32_e32 15, v11
	s_cbranch_execz .LBB6_152
; %bb.148:                              ;   in Loop: Header=BB6_59 Depth=2
	s_cbranch_execnz .LBB6_3667
; %bb.149:                              ;   in Loop: Header=BB6_59 Depth=2
	ds_load_b64 v[14:15], v0
	v_add_nc_u32_e32 v18, v18, v16
	s_mov_b32 s40, 0
	s_delay_alu instid0(VALU_DEP_1)
	v_ashrrev_i32_e32 v22, 31, v18
.LBB6_150:                              ;   Parent Loop BB6_51 Depth=1
                                        ;     Parent Loop BB6_59 Depth=2
                                        ; =>    This Inner Loop Header: Depth=3
	s_waitcnt lgkmcnt(0)
	v_add_co_u32 v32, s13, v14, v18
	s_delay_alu instid0(VALU_DEP_1)
	v_add_co_ci_u32_e64 v33, s13, v15, v22, s13
	v_sub_nc_u32_e32 v11, v11, v147
	v_add_co_u32 v18, s14, v18, v162
	global_load_b128 v[24:27], v[32:33], off slc dlc
	v_sub_nc_u32_e32 v23, v23, v145
	v_cmp_gt_i32_e64 s13, 16, v11
	v_add_co_ci_u32_e64 v22, s14, v22, v163, s14
	s_delay_alu instid0(VALU_DEP_2)
	s_or_b32 s40, s13, s40
	s_waitcnt vmcnt(0)
	global_store_b128 v[32:33], v[24:27], off glc slc dlc
	s_and_not1_b32 exec_lo, exec_lo, s40
	s_cbranch_execnz .LBB6_150
; %bb.151:                              ;   in Loop: Header=BB6_59 Depth=2
	s_or_b32 exec_lo, exec_lo, s40
.LBB6_152:                              ;   in Loop: Header=BB6_59 Depth=2
	s_delay_alu instid0(SALU_CYCLE_1) | instskip(SKIP_3) | instid1(VALU_DEP_1)
	s_or_b32 exec_lo, exec_lo, s39
	v_dual_mov_b32 v11, 0 :: v_dual_and_b32 v14, 14, v2
	s_mov_b32 s14, 0
	s_mov_b32 s39, exec_lo
                                        ; implicit-def: $vgpr18
                                        ; implicit-def: $vgpr22
	v_cndmask_b32_e32 v2, v21, v14, vcc_lo
	s_delay_alu instid0(VALU_DEP_1)
	v_cmpx_ne_u32_e32 0, v2
; %bb.153:                              ;   in Loop: Header=BB6_59 Depth=2
	v_cmp_lt_i32_e64 s13, 0, v23
	v_sub_nc_u32_e32 v14, v21, v14
	s_mov_b32 s14, exec_lo
	s_delay_alu instid0(VALU_DEP_2) | instskip(NEXT) | instid1(VALU_DEP_1)
	v_cndmask_b32_e64 v11, 0, v145, s13
	v_sub_nc_u32_e32 v11, v11, v23
	s_delay_alu instid0(VALU_DEP_1) | instskip(NEXT) | instid1(VALU_DEP_1)
	v_lshl_add_u32 v18, v11, 5, v19
	v_ashrrev_i32_e32 v11, 31, v18
	s_delay_alu instid0(VALU_DEP_1) | instskip(NEXT) | instid1(VALU_DEP_1)
	v_lshrrev_b32_e32 v11, 27, v11
	v_dual_cndmask_b32 v14, 0, v14 :: v_dual_add_nc_u32 v15, v18, v11
	s_delay_alu instid0(VALU_DEP_1) | instskip(NEXT) | instid1(VALU_DEP_2)
	v_add3_u32 v11, v17, v16, v14
	v_ashrrev_i32_e32 v22, 5, v15
; %bb.154:                              ;   in Loop: Header=BB6_59 Depth=2
	s_or_b32 exec_lo, exec_lo, s39
	s_delay_alu instid0(SALU_CYCLE_1)
	s_and_b32 s13, s14, exec_lo
.LBB6_155:                              ;   in Loop: Header=BB6_59 Depth=2
	s_or_b32 exec_lo, exec_lo, s38
.LBB6_156:                              ;   in Loop: Header=BB6_59 Depth=2
	s_and_saveexec_b32 s14, s13
	s_cbranch_execz .LBB6_168
; %bb.157:                              ;   in Loop: Header=BB6_59 Depth=2
	v_ashrrev_i32_e32 v14, 31, v2
	s_mov_b32 s13, exec_lo
	s_delay_alu instid0(VALU_DEP_1) | instskip(NEXT) | instid1(VALU_DEP_1)
	v_lshrrev_b32_e32 v14, 22, v14
	v_add_nc_u32_e32 v14, v2, v14
	s_delay_alu instid0(VALU_DEP_1) | instskip(NEXT) | instid1(VALU_DEP_1)
	v_ashrrev_i32_e32 v21, 10, v14
	v_sub_nc_u32_e32 v19, v21, v22
	s_delay_alu instid0(VALU_DEP_1)
	v_cmpx_lt_i32_e32 0, v19
	s_cbranch_execz .LBB6_162
; %bb.158:                              ;   in Loop: Header=BB6_59 Depth=2
	s_cbranch_execnz .LBB6_3595
; %bb.159:                              ;   in Loop: Header=BB6_59 Depth=2
	v_ashrrev_i32_e32 v14, 31, v18
	s_mov_b32 s38, 0
	s_delay_alu instid0(VALU_DEP_1) | instskip(NEXT) | instid1(VALU_DEP_1)
	v_lshrrev_b32_e32 v14, 27, v14
	v_add_nc_u32_e32 v14, v18, v14
	s_delay_alu instid0(VALU_DEP_1) | instskip(SKIP_3) | instid1(VALU_DEP_1)
	v_and_b32_e32 v16, 0x7fffffe0, v14
	ds_load_b64 v[14:15], v0
	v_lshlrev_b32_e32 v17, 10, v22
	v_sub_nc_u32_e32 v16, v18, v16
	v_lshlrev_b32_e32 v16, 1, v16
	s_delay_alu instid0(VALU_DEP_1) | instskip(NEXT) | instid1(VALU_DEP_1)
	v_add3_u32 v22, v16, v11, v17
	v_ashrrev_i32_e32 v23, 31, v22
	s_waitcnt lgkmcnt(0)
	v_dual_mov_b32 v17, v15 :: v_dual_mov_b32 v16, v14
.LBB6_160:                              ;   Parent Loop BB6_51 Depth=1
                                        ;     Parent Loop BB6_59 Depth=2
                                        ; =>    This Inner Loop Header: Depth=3
	s_delay_alu instid0(VALU_DEP_1) | instskip(NEXT) | instid1(VALU_DEP_2)
	v_add_co_u32 v24, vcc_lo, v22, v16
	v_add_co_ci_u32_e32 v25, vcc_lo, v23, v17, vcc_lo
	v_sub_nc_u32_e32 v19, v19, v145
	s_clause 0xf
	flat_load_u16 v26, v[24:25] slc dlc
	flat_load_u16 v27, v[24:25] offset:64 slc dlc
	flat_load_u16 v32, v[24:25] offset:128 slc dlc
	;; [unrolled: 1-line block ×15, first 2 shown]
	v_add_co_u32 v24, vcc_lo, v22, v14
	v_add_co_ci_u32_e32 v25, vcc_lo, v23, v15, vcc_lo
	v_add_co_u32 v16, vcc_lo, v16, v165
	v_add_co_ci_u32_e32 v17, vcc_lo, v17, v166, vcc_lo
	;; [unrolled: 2-line block ×3, first 2 shown]
	v_cmp_gt_i32_e32 vcc_lo, 1, v19
	s_waitcnt vmcnt(15) lgkmcnt(15)
	flat_store_b16 v[24:25], v26 glc slc dlc
	s_waitcnt vmcnt(14) lgkmcnt(15)
	flat_store_b16 v[24:25], v27 offset:64 glc slc dlc
	s_waitcnt vmcnt(13) lgkmcnt(15)
	flat_store_b16 v[24:25], v32 offset:128 glc slc dlc
	;; [unrolled: 2-line block ×15, first 2 shown]
	s_or_b32 s38, vcc_lo, s38
	s_delay_alu instid0(SALU_CYCLE_1)
	s_and_not1_b32 exec_lo, exec_lo, s38
	s_cbranch_execnz .LBB6_160
; %bb.161:                              ;   in Loop: Header=BB6_59 Depth=2
	s_or_b32 exec_lo, exec_lo, s38
.LBB6_162:                              ;   in Loop: Header=BB6_59 Depth=2
	s_delay_alu instid0(SALU_CYCLE_1) | instskip(SKIP_2) | instid1(VALU_DEP_1)
	s_or_b32 exec_lo, exec_lo, s13
	v_lshlrev_b32_e32 v14, 10, v21
	s_mov_b32 s38, exec_lo
	v_cmpx_ne_u32_e64 v2, v14
	s_cbranch_execz .LBB6_167
; %bb.163:                              ;   in Loop: Header=BB6_59 Depth=2
	v_ashrrev_i32_e32 v15, 31, v18
	v_lshlrev_b32_e32 v16, 5, v19
	s_delay_alu instid0(VALU_DEP_2) | instskip(NEXT) | instid1(VALU_DEP_1)
	v_lshrrev_b32_e32 v15, 27, v15
	v_add_nc_u32_e32 v15, v18, v15
	s_delay_alu instid0(VALU_DEP_1) | instskip(NEXT) | instid1(VALU_DEP_1)
	v_and_b32_e32 v15, 0xffffffe0, v15
	v_sub_nc_u32_e32 v15, v18, v15
	s_delay_alu instid0(VALU_DEP_1) | instskip(NEXT) | instid1(VALU_DEP_1)
	v_sub_nc_u32_e32 v15, v15, v16
	v_ashrrev_i32_e32 v16, 31, v15
	s_delay_alu instid0(VALU_DEP_1) | instskip(NEXT) | instid1(VALU_DEP_1)
	v_lshrrev_b32_e32 v16, 27, v16
	v_add_nc_u32_e32 v16, v15, v16
	s_delay_alu instid0(VALU_DEP_1) | instskip(SKIP_1) | instid1(VALU_DEP_2)
	v_and_b32_e32 v17, 0x7fffffe0, v16
	v_lshlrev_b32_e32 v16, 1, v16
	v_sub_nc_u32_e32 v15, v15, v17
	s_delay_alu instid0(VALU_DEP_2) | instskip(NEXT) | instid1(VALU_DEP_2)
	v_and_b32_e32 v16, 0xffffffc0, v16
	v_lshlrev_b32_e32 v15, 1, v15
	s_delay_alu instid0(VALU_DEP_1) | instskip(NEXT) | instid1(VALU_DEP_1)
	v_add3_u32 v16, v16, v15, v14
	v_sub_nc_u32_e32 v2, v2, v16
	s_delay_alu instid0(VALU_DEP_1)
	v_cmp_lt_i32_e32 vcc_lo, 1, v2
	s_and_b32 exec_lo, exec_lo, vcc_lo
	s_cbranch_execz .LBB6_167
; %bb.164:                              ;   in Loop: Header=BB6_59 Depth=2
	s_cbranch_execnz .LBB6_3659
; %bb.165:                              ;   in Loop: Header=BB6_59 Depth=2
	ds_load_b64 v[14:15], v0
	v_add_nc_u32_e32 v11, v16, v11
	s_mov_b32 s39, 0
	s_delay_alu instid0(VALU_DEP_1)
	v_ashrrev_i32_e32 v16, 31, v11
.LBB6_166:                              ;   Parent Loop BB6_51 Depth=1
                                        ;     Parent Loop BB6_59 Depth=2
                                        ; =>    This Inner Loop Header: Depth=3
	s_waitcnt lgkmcnt(0)
	v_add_co_u32 v17, vcc_lo, v14, v11
	s_delay_alu instid0(VALU_DEP_2)
	v_add_co_ci_u32_e32 v18, vcc_lo, v15, v16, vcc_lo
	v_sub_nc_u32_e32 v2, v2, v161
	v_add_co_u32 v11, s13, v11, v176
	flat_load_u16 v19, v[17:18] slc dlc
	v_add_co_ci_u32_e64 v16, s13, v16, v177, s13
	v_cmp_gt_i32_e32 vcc_lo, 2, v2
	s_or_b32 s39, vcc_lo, s39
	s_waitcnt vmcnt(0) lgkmcnt(0)
	flat_store_b16 v[17:18], v19 glc slc dlc
	s_and_not1_b32 exec_lo, exec_lo, s39
	s_cbranch_execnz .LBB6_166
.LBB6_167:                              ;   in Loop: Header=BB6_59 Depth=2
	s_or_b32 exec_lo, exec_lo, s38
.LBB6_168:                              ;   in Loop: Header=BB6_59 Depth=2
	s_delay_alu instid0(SALU_CYCLE_1)
	s_or_b32 exec_lo, exec_lo, s14
	s_mov_b32 s14, s35
	s_mov_b32 s35, s37
.LBB6_169:                              ;   in Loop: Header=BB6_59 Depth=2
	s_and_saveexec_b32 s13, s3
	s_cbranch_execz .LBB6_191
; %bb.170:                              ;   in Loop: Header=BB6_59 Depth=2
	s_and_saveexec_b32 vcc_lo, s4
	s_delay_alu instid0(SALU_CYCLE_1)
	s_xor_b32 s37, exec_lo, vcc_lo
	s_cbranch_execz .LBB6_188
; %bb.171:                              ;   in Loop: Header=BB6_59 Depth=2
	s_and_saveexec_b32 s38, s1
	s_cbranch_execz .LBB6_187
; %bb.172:                              ;   in Loop: Header=BB6_59 Depth=2
	s_mov_b32 s40, exec_lo
	s_mov_b32 s39, exec_lo
	v_mbcnt_lo_u32_b32 v2, s40, 0
	s_waitcnt lgkmcnt(0)
	s_waitcnt_vscnt null, 0x0
	buffer_gl1_inv
	buffer_gl0_inv
	v_cmpx_eq_u32_e32 0, v2
	s_cbranch_execz .LBB6_174
; %bb.173:                              ;   in Loop: Header=BB6_59 Depth=2
	s_bcnt1_i32_b32 vcc_lo, s40
	s_delay_alu instid0(SALU_CYCLE_1)
	v_mov_b32_e32 v2, vcc_lo
	ds_add_u64 v0, v[2:3]
	s_cbranch_execnz .LBB6_3633
.LBB6_174:                              ;   in Loop: Header=BB6_59 Depth=2
	s_or_b32 exec_lo, exec_lo, s39
	s_cbranch_execnz .LBB6_3609
; %bb.175:                              ;   in Loop: Header=BB6_59 Depth=2
	ds_load_b64 v[14:15], v0
	v_add_co_u32 v80, vcc_lo, v80, v145
	v_add_co_ci_u32_e32 v81, vcc_lo, 0, v81, vcc_lo
	s_mov_b32 s39, exec_lo
	s_waitcnt lgkmcnt(0)
	s_delay_alu instid0(VALU_DEP_1)
	v_cmpx_lt_u64_e64 v[14:15], v[80:81]
	s_cbranch_execz .LBB6_186
; %bb.176:                              ;   in Loop: Header=BB6_59 Depth=2
	s_mov_b32 s40, 0
	s_mov_b32 s43, 0
                                        ; implicit-def: $sgpr41
                                        ; implicit-def: $sgpr42
	s_branch .LBB6_178
.LBB6_177:                              ;   in Loop: Header=BB6_178 Depth=3
	s_or_b32 exec_lo, exec_lo, s45
	s_delay_alu instid0(SALU_CYCLE_1) | instskip(NEXT) | instid1(SALU_CYCLE_1)
	s_and_b32 vcc_lo, exec_lo, vcc_lo
	s_or_b32 s40, vcc_lo, s40
	s_and_not1_b32 vcc_lo, s41, exec_lo
	s_and_b32 s41, s42, exec_lo
	s_delay_alu instid0(SALU_CYCLE_1)
	s_or_b32 s41, vcc_lo, s41
	s_and_not1_b32 exec_lo, exec_lo, s40
	s_cbranch_execz .LBB6_184
.LBB6_178:                              ;   Parent Loop BB6_51 Depth=1
                                        ;     Parent Loop BB6_59 Depth=2
                                        ; =>    This Inner Loop Header: Depth=3
	s_add_i32 s43, s43, 1
                                        ; implicit-def: $sgpr45
	s_delay_alu instid0(SALU_CYCLE_1) | instskip(SKIP_1) | instid1(SALU_CYCLE_1)
	s_cmpk_lg_i32 s43, 0x2710
	s_cselect_b32 s44, -1, 0
	s_and_b32 vcc_lo, exec_lo, s44
	s_cbranch_vccz .LBB6_182
.LBB6_179:                              ;   in Loop: Header=BB6_178 Depth=3
	s_and_not1_b32 s42, s42, exec_lo
	s_and_b32 s45, s45, exec_lo
	s_mov_b32 vcc_lo, -1
	s_or_b32 s42, s42, s45
	s_and_saveexec_b32 s45, s44
	s_cbranch_execz .LBB6_177
; %bb.180:                              ;   in Loop: Header=BB6_178 Depth=3
	s_sleep 1
	s_cbranch_execnz .LBB6_3685
; %bb.181:                              ;   in Loop: Header=BB6_178 Depth=3
	ds_load_b64 v[14:15], v0
	s_and_not1_b32 s42, s42, exec_lo
	s_waitcnt lgkmcnt(0)
	v_cmp_ge_u64_e32 vcc_lo, v[14:15], v[80:81]
	s_or_not1_b32 vcc_lo, vcc_lo, exec_lo
	s_branch .LBB6_177
.LBB6_182:                              ;   in Loop: Header=BB6_178 Depth=3
	s_cbranch_execnz .LBB6_3695
; %bb.183:                              ;   in Loop: Header=BB6_178 Depth=3
	ds_load_b64 v[14:15], v0
	s_and_not1_b32 s44, s44, exec_lo
	s_mov_b32 s43, 0
	s_mov_b32 s45, -1
	s_waitcnt lgkmcnt(0)
	flat_load_b32 v2, v[14:15] glc
	s_waitcnt vmcnt(0) lgkmcnt(0)
	buffer_gl1_inv
	buffer_gl0_inv
	v_cmp_eq_u32_e32 vcc_lo, 0, v2
	s_and_b32 vcc_lo, vcc_lo, exec_lo
	s_delay_alu instid0(SALU_CYCLE_1)
	s_or_b32 s44, s44, vcc_lo
	s_branch .LBB6_179
.LBB6_184:                              ;   in Loop: Header=BB6_59 Depth=2
	s_or_b32 exec_lo, exec_lo, s40
	s_and_saveexec_b32 vcc_lo, s41
	s_delay_alu instid0(SALU_CYCLE_1)
	s_xor_b32 vcc_lo, exec_lo, vcc_lo
	s_cbranch_execz .LBB6_186
; %bb.185:                              ;   in Loop: Header=BB6_59 Depth=2
	ds_store_b32 v0, v182
	s_cbranch_execnz .LBB6_3909
.LBB6_186:                              ;   in Loop: Header=BB6_59 Depth=2
	s_or_b32 exec_lo, exec_lo, s39
	;;#ASMSTART
	s_wakeup
	;;#ASMEND
.LBB6_187:                              ;   in Loop: Header=BB6_59 Depth=2
	s_or_b32 exec_lo, exec_lo, s38
.LBB6_188:                              ;   in Loop: Header=BB6_59 Depth=2
	s_and_not1_saveexec_b32 vcc_lo, s37
	s_cbranch_execz .LBB6_190
; %bb.189:                              ;   in Loop: Header=BB6_59 Depth=2
	s_waitcnt lgkmcnt(0)
	s_waitcnt_vscnt null, 0x0
	buffer_gl1_inv
	buffer_gl0_inv
	s_barrier
.LBB6_190:                              ;   in Loop: Header=BB6_59 Depth=2
	s_or_b32 exec_lo, exec_lo, vcc_lo
.LBB6_191:                              ;   in Loop: Header=BB6_59 Depth=2
	s_delay_alu instid0(SALU_CYCLE_1) | instskip(SKIP_1) | instid1(SALU_CYCLE_1)
	s_or_b32 exec_lo, exec_lo, s13
                                        ; implicit-def: $vgpr2
	s_and_saveexec_b32 s13, s7
	s_xor_b32 s37, exec_lo, s13
	s_cbranch_execz .LBB6_195
; %bb.192:                              ;   in Loop: Header=BB6_59 Depth=2
	v_and_b32_e32 v2, 16, v30
	v_cmp_lt_i32_e32 vcc_lo, 0, v9
	s_delay_alu instid0(VALU_DEP_2) | instskip(SKIP_1) | instid1(VALU_DEP_2)
	v_cmp_ne_u32_e64 s13, 0, v2
	v_and_b32_e32 v2, 16, v30
	s_and_b32 vcc_lo, s13, vcc_lo
	s_delay_alu instid0(SALU_CYCLE_1)
	s_and_saveexec_b32 s13, vcc_lo
	s_cbranch_execz .LBB6_194
; %bb.193:                              ;   in Loop: Header=BB6_59 Depth=2
	v_mov_b32_e32 v2, 1
	s_waitcnt lgkmcnt(0)
	s_waitcnt_vscnt null, 0x0
	buffer_gl1_inv
	buffer_gl0_inv
.LBB6_194:                              ;   in Loop: Header=BB6_59 Depth=2
	s_or_b32 exec_lo, exec_lo, s13
.LBB6_195:                              ;   in Loop: Header=BB6_59 Depth=2
	s_and_not1_saveexec_b32 s13, s37
	s_cbranch_execz .LBB6_217
; %bb.196:                              ;   in Loop: Header=BB6_59 Depth=2
	s_and_saveexec_b32 vcc_lo, s4
	s_delay_alu instid0(SALU_CYCLE_1)
	s_xor_b32 s37, exec_lo, vcc_lo
	s_cbranch_execz .LBB6_214
; %bb.197:                              ;   in Loop: Header=BB6_59 Depth=2
	s_and_saveexec_b32 s38, s1
	s_cbranch_execz .LBB6_213
; %bb.198:                              ;   in Loop: Header=BB6_59 Depth=2
	s_mov_b32 s40, exec_lo
	s_mov_b32 s39, exec_lo
	v_mbcnt_lo_u32_b32 v2, s40, 0
	;;#ASMSTART
	s_waitcnt lgkmcnt(0) vmcnt(0)
	;;#ASMEND
	s_delay_alu instid0(VALU_DEP_1)
	v_cmpx_eq_u32_e32 0, v2
	s_cbranch_execz .LBB6_200
; %bb.199:                              ;   in Loop: Header=BB6_59 Depth=2
	s_bcnt1_i32_b32 vcc_lo, s40
	s_delay_alu instid0(SALU_CYCLE_1)
	v_mov_b32_e32 v2, vcc_lo
	ds_add_u64 v0, v[2:3]
	s_cbranch_execnz .LBB6_3641
.LBB6_200:                              ;   in Loop: Header=BB6_59 Depth=2
	s_or_b32 exec_lo, exec_lo, s39
	s_cbranch_execnz .LBB6_3615
; %bb.201:                              ;   in Loop: Header=BB6_59 Depth=2
	ds_load_b64 v[14:15], v0
	v_add_co_u32 v80, vcc_lo, v80, v145
	v_add_co_ci_u32_e32 v81, vcc_lo, 0, v81, vcc_lo
	s_mov_b32 s39, exec_lo
	s_waitcnt lgkmcnt(0)
	s_delay_alu instid0(VALU_DEP_1)
	v_cmpx_lt_u64_e64 v[14:15], v[80:81]
	s_cbranch_execz .LBB6_212
; %bb.202:                              ;   in Loop: Header=BB6_59 Depth=2
	s_mov_b32 s40, 0
	s_mov_b32 s43, 0
                                        ; implicit-def: $sgpr41
                                        ; implicit-def: $sgpr42
	s_branch .LBB6_204
.LBB6_203:                              ;   in Loop: Header=BB6_204 Depth=3
	s_or_b32 exec_lo, exec_lo, s45
	s_delay_alu instid0(SALU_CYCLE_1) | instskip(NEXT) | instid1(SALU_CYCLE_1)
	s_and_b32 vcc_lo, exec_lo, vcc_lo
	s_or_b32 s40, vcc_lo, s40
	s_and_not1_b32 vcc_lo, s41, exec_lo
	s_and_b32 s41, s42, exec_lo
	s_delay_alu instid0(SALU_CYCLE_1)
	s_or_b32 s41, vcc_lo, s41
	s_and_not1_b32 exec_lo, exec_lo, s40
	s_cbranch_execz .LBB6_210
.LBB6_204:                              ;   Parent Loop BB6_51 Depth=1
                                        ;     Parent Loop BB6_59 Depth=2
                                        ; =>    This Inner Loop Header: Depth=3
	s_add_i32 s43, s43, 1
                                        ; implicit-def: $sgpr45
	s_delay_alu instid0(SALU_CYCLE_1) | instskip(SKIP_1) | instid1(SALU_CYCLE_1)
	s_cmpk_lg_i32 s43, 0x2710
	s_cselect_b32 s44, -1, 0
	s_and_b32 vcc_lo, exec_lo, s44
	s_cbranch_vccz .LBB6_208
.LBB6_205:                              ;   in Loop: Header=BB6_204 Depth=3
	s_and_not1_b32 s42, s42, exec_lo
	s_and_b32 s45, s45, exec_lo
	s_mov_b32 vcc_lo, -1
	s_or_b32 s42, s42, s45
	s_and_saveexec_b32 s45, s44
	s_cbranch_execz .LBB6_203
; %bb.206:                              ;   in Loop: Header=BB6_204 Depth=3
	s_sleep 1
	s_cbranch_execnz .LBB6_3689
; %bb.207:                              ;   in Loop: Header=BB6_204 Depth=3
	ds_load_b64 v[14:15], v0
	s_and_not1_b32 s42, s42, exec_lo
	s_waitcnt lgkmcnt(0)
	v_cmp_ge_u64_e32 vcc_lo, v[14:15], v[80:81]
	s_or_not1_b32 vcc_lo, vcc_lo, exec_lo
	s_branch .LBB6_203
.LBB6_208:                              ;   in Loop: Header=BB6_204 Depth=3
	s_cbranch_execnz .LBB6_3707
; %bb.209:                              ;   in Loop: Header=BB6_204 Depth=3
	ds_load_b64 v[14:15], v0
	s_and_not1_b32 s44, s44, exec_lo
	s_mov_b32 s43, 0
	s_mov_b32 s45, -1
	s_waitcnt lgkmcnt(0)
	s_waitcnt_vscnt null, 0x0
	flat_load_b32 v2, v[14:15] glc
	s_waitcnt vmcnt(0) lgkmcnt(0)
	buffer_gl1_inv
	buffer_gl0_inv
	v_cmp_eq_u32_e32 vcc_lo, 0, v2
	s_and_b32 vcc_lo, vcc_lo, exec_lo
	s_delay_alu instid0(SALU_CYCLE_1)
	s_or_b32 s44, s44, vcc_lo
	s_branch .LBB6_205
.LBB6_210:                              ;   in Loop: Header=BB6_59 Depth=2
	s_or_b32 exec_lo, exec_lo, s40
	s_and_saveexec_b32 vcc_lo, s41
	s_delay_alu instid0(SALU_CYCLE_1)
	s_xor_b32 vcc_lo, exec_lo, vcc_lo
	s_cbranch_execz .LBB6_212
; %bb.211:                              ;   in Loop: Header=BB6_59 Depth=2
	ds_store_b32 v0, v182
	s_cbranch_execnz .LBB6_3913
.LBB6_212:                              ;   in Loop: Header=BB6_59 Depth=2
	s_or_b32 exec_lo, exec_lo, s39
	;;#ASMSTART
	s_wakeup
	;;#ASMEND
.LBB6_213:                              ;   in Loop: Header=BB6_59 Depth=2
	s_or_b32 exec_lo, exec_lo, s38
.LBB6_214:                              ;   in Loop: Header=BB6_59 Depth=2
	s_and_not1_saveexec_b32 vcc_lo, s37
	s_cbranch_execz .LBB6_216
; %bb.215:                              ;   in Loop: Header=BB6_59 Depth=2
	;;#ASMSTART
	s_waitcnt lgkmcnt(0) vmcnt(0)
	;;#ASMEND
	s_waitcnt lgkmcnt(0)
	s_waitcnt_vscnt null, 0x0
	s_barrier
.LBB6_216:                              ;   in Loop: Header=BB6_59 Depth=2
	s_or_b32 exec_lo, exec_lo, vcc_lo
	v_and_b32_e32 v2, 16, v30
.LBB6_217:                              ;   in Loop: Header=BB6_59 Depth=2
	s_or_b32 exec_lo, exec_lo, s13
	s_delay_alu instid0(SALU_CYCLE_1) | instskip(NEXT) | instid1(VALU_DEP_1)
	s_mov_b32 s13, exec_lo
	v_cmpx_ne_u32_e32 0, v2
	s_cbranch_execz .LBB6_221
; %bb.218:                              ;   in Loop: Header=BB6_59 Depth=2
	s_and_saveexec_b32 vcc_lo, s11
	s_cbranch_execz .LBB6_220
; %bb.219:                              ;   in Loop: Header=BB6_59 Depth=2
	s_waitcnt lgkmcnt(0)
	s_waitcnt_vscnt null, 0x0
	flat_store_b32 v[70:71], v182
.LBB6_220:                              ;   in Loop: Header=BB6_59 Depth=2
	s_or_b32 exec_lo, exec_lo, vcc_lo
	v_add_co_u32 v66, vcc_lo, v66, 2
	v_add_co_ci_u32_e32 v67, vcc_lo, 0, v67, vcc_lo
	s_waitcnt lgkmcnt(0)
	s_waitcnt_vscnt null, 0x0
	flat_store_b64 v[64:65], v[66:67]
.LBB6_221:                              ;   in Loop: Header=BB6_59 Depth=2
	s_or_b32 exec_lo, exec_lo, s13
	v_add_nc_u32_e32 v10, v8, v10
	s_xor_b32 s13, s30, -1
	v_mov_b32_e32 v2, s36
	s_mov_b32 s30, 0
	s_mov_b32 s36, 2
	v_cmp_ge_i32_e32 vcc_lo, v10, v20
	s_or_b32 s13, s13, vcc_lo
	s_delay_alu instid0(SALU_CYCLE_1) | instskip(NEXT) | instid1(SALU_CYCLE_1)
	s_and_b32 s13, exec_lo, s13
	s_or_b32 s17, s13, s17
	s_delay_alu instid0(SALU_CYCLE_1)
	s_and_not1_b32 exec_lo, exec_lo, s17
	s_cbranch_execnz .LBB6_59
; %bb.222:                              ;   in Loop: Header=BB6_51 Depth=1
	s_or_b32 exec_lo, exec_lo, s17
.LBB6_223:                              ;   in Loop: Header=BB6_51 Depth=1
	s_delay_alu instid0(SALU_CYCLE_1) | instskip(NEXT) | instid1(SALU_CYCLE_1)
	s_or_b32 exec_lo, exec_lo, s15
	s_mov_b32 s15, exec_lo
	v_cmpx_gt_i32_e32 2, v2
	s_cbranch_execz .LBB6_306
; %bb.224:                              ;   in Loop: Header=BB6_51 Depth=1
	v_cmp_eq_u32_e64 s13, 0, v2
	s_mov_b32 s17, 0
.LBB6_225:                              ;   Parent Loop BB6_51 Depth=1
                                        ; =>  This Loop Header: Depth=2
                                        ;       Child Loop BB6_231 Depth 3
                                        ;       Child Loop BB6_260 Depth 3
	;; [unrolled: 1-line block ×3, first 2 shown]
	v_and_b32_e32 v2, 8, v30
	s_mov_b32 s36, -1
	s_mov_b32 s30, exec_lo
	s_delay_alu instid0(VALU_DEP_1)
	v_cmpx_ne_u32_e32 0, v2
	s_cbranch_execz .LBB6_239
; %bb.226:                              ;   in Loop: Header=BB6_225 Depth=2
	v_add_co_u32 v13, vcc_lo, v82, 8
	v_add_co_ci_u32_e32 v14, vcc_lo, 0, v83, vcc_lo
	v_add_co_u32 v11, vcc_lo, v66, 2
	v_add_co_ci_u32_e32 v12, vcc_lo, 0, v67, vcc_lo
	v_mov_b32_e32 v2, 1
	s_mov_b32 s36, exec_lo
	s_delay_alu instid0(VALU_DEP_2)
	v_cmpx_lt_u64_e64 v[13:14], v[11:12]
	s_cbranch_execz .LBB6_238
; %bb.227:                              ;   in Loop: Header=BB6_225 Depth=2
	v_mov_b32_e32 v2, 0
	s_mov_b32 s37, 0
                                        ; implicit-def: $sgpr38
	s_branch .LBB6_231
.LBB6_228:                              ;   in Loop: Header=BB6_231 Depth=3
	s_or_b32 exec_lo, exec_lo, s42
	v_mov_b32_e32 v9, 0
	s_or_not1_b32 s41, s41, exec_lo
.LBB6_229:                              ;   in Loop: Header=BB6_231 Depth=3
	s_or_b32 exec_lo, exec_lo, s40
	s_delay_alu instid0(VALU_DEP_1) | instskip(SKIP_2) | instid1(SALU_CYCLE_1)
	v_mov_b32_e32 v2, v9
	s_and_not1_b32 vcc_lo, s38, exec_lo
	s_and_b32 s38, s41, exec_lo
	s_or_b32 s38, vcc_lo, s38
.LBB6_230:                              ;   in Loop: Header=BB6_231 Depth=3
	s_or_b32 exec_lo, exec_lo, s39
	s_waitcnt vmcnt(0) lgkmcnt(0)
	v_add_co_u32 v13, vcc_lo, v82, 8
	v_add_co_ci_u32_e32 v14, vcc_lo, 0, v83, vcc_lo
	s_xor_b32 s39, s38, -1
	s_delay_alu instid0(VALU_DEP_1) | instskip(SKIP_1) | instid1(SALU_CYCLE_1)
	v_cmp_ge_u64_e32 vcc_lo, v[13:14], v[11:12]
	s_or_b32 vcc_lo, s39, vcc_lo
	s_and_b32 vcc_lo, exec_lo, vcc_lo
	s_delay_alu instid0(SALU_CYCLE_1) | instskip(NEXT) | instid1(SALU_CYCLE_1)
	s_or_b32 s37, vcc_lo, s37
	s_and_not1_b32 exec_lo, exec_lo, s37
	s_cbranch_execz .LBB6_237
.LBB6_231:                              ;   Parent Loop BB6_51 Depth=1
                                        ;     Parent Loop BB6_225 Depth=2
                                        ; =>    This Inner Loop Header: Depth=3
	s_sleep 1
	flat_load_b64 v[82:83], v[64:65] glc
	v_and_b32_e32 v9, 64, v30
	s_and_not1_b32 s38, s38, exec_lo
	s_mov_b32 s39, exec_lo
	s_delay_alu instid0(VALU_DEP_1)
	v_cmpx_eq_u32_e32 0, v9
	s_cbranch_execz .LBB6_230
; %bb.232:                              ;   in Loop: Header=BB6_231 Depth=3
	v_add_nc_u32_e32 v9, 1, v2
	s_mov_b32 s41, -1
	s_mov_b32 s40, exec_lo
	v_cmpx_lt_i32_e32 0x270e, v2
	s_cbranch_execz .LBB6_229
; %bb.233:                              ;   in Loop: Header=BB6_231 Depth=3
	s_cbranch_execnz .LBB6_3514
; %bb.234:                              ;   in Loop: Header=BB6_231 Depth=3
	ds_load_b64 v[13:14], v0
	s_mov_b32 s42, exec_lo
	s_waitcnt vmcnt(0) lgkmcnt(0)
	s_waitcnt_vscnt null, 0x0
	flat_load_b32 v2, v[13:14] glc
	s_waitcnt vmcnt(0) lgkmcnt(0)
	buffer_gl1_inv
	buffer_gl0_inv
	v_cmpx_ne_u32_e32 0, v2
	s_cbranch_execz .LBB6_228
; %bb.235:                              ;   in Loop: Header=BB6_231 Depth=3
	ds_store_b32 v0, v2
	s_cbranch_execnz .LBB6_3526
; %bb.236:                              ;   in Loop: Header=BB6_231 Depth=3
	v_or_b32_e32 v30, 64, v30
	s_xor_b32 s41, exec_lo, -1
	s_branch .LBB6_228
.LBB6_237:                              ;   in Loop: Header=BB6_225 Depth=2
	s_or_b32 exec_lo, exec_lo, s37
	v_and_b32_e32 v2, 8, v30
.LBB6_238:                              ;   in Loop: Header=BB6_225 Depth=2
	s_or_b32 exec_lo, exec_lo, s36
	s_delay_alu instid0(VALU_DEP_1)
	v_cmp_eq_u32_e32 vcc_lo, 0, v2
	;;#ASMSTART
	s_wakeup
	;;#ASMEND
	s_or_not1_b32 s36, vcc_lo, exec_lo
.LBB6_239:                              ;   in Loop: Header=BB6_225 Depth=2
	s_or_b32 exec_lo, exec_lo, s30
	v_sub_nc_u32_e32 v2, v20, v10
	s_xor_b32 s13, s13, -1
	s_delay_alu instid0(SALU_CYCLE_1) | instskip(NEXT) | instid1(SALU_CYCLE_1)
	s_and_b32 s13, exec_lo, s13
	s_or_b32 s17, s13, s17
	s_delay_alu instid0(VALU_DEP_1) | instskip(SKIP_1) | instid1(SALU_CYCLE_1)
	v_min_i32_e32 v8, v8, v2
	s_xor_b32 vcc_lo, s36, -1
	s_and_saveexec_b32 s13, vcc_lo
	s_cbranch_execz .LBB6_247
; %bb.240:                              ;   in Loop: Header=BB6_225 Depth=2
	v_and_b32_e32 v2, 0x100, v30
	s_mov_b32 s36, 0
	s_mov_b32 s30, exec_lo
                                        ; implicit-def: $vgpr13_vgpr14
	s_delay_alu instid0(VALU_DEP_1)
	v_cmpx_ne_u32_e32 0, v2
	s_xor_b32 s30, exec_lo, s30
                                        ; implicit-def: $vgpr11_vgpr12
	s_cbranch_execnz .LBB6_255
; %bb.241:                              ;   in Loop: Header=BB6_225 Depth=2
	s_and_not1_saveexec_b32 vcc_lo, s30
	s_cbranch_execnz .LBB6_258
.LBB6_242:                              ;   in Loop: Header=BB6_225 Depth=2
	s_or_b32 exec_lo, exec_lo, vcc_lo
	s_and_saveexec_b32 vcc_lo, s36
.LBB6_243:                              ;   in Loop: Header=BB6_225 Depth=2
	v_mul_lo_u32 v2, v3, v133
	v_mul_lo_u32 v9, v11, v134
	v_mad_u64_u32 v[13:14], null, v11, v133, 0
	s_delay_alu instid0(VALU_DEP_1)
	v_add3_u32 v14, v14, v9, v2
.LBB6_244:                              ;   in Loop: Header=BB6_225 Depth=2
	s_or_b32 exec_lo, exec_lo, vcc_lo
	s_delay_alu instid0(VALU_DEP_1) | instskip(SKIP_2) | instid1(VALU_DEP_2)
	v_lshlrev_b64 v[11:12], 1, v[13:14]
	v_and_b32_e32 v2, 0x2000, v30
	s_mov_b32 s30, exec_lo
	v_add_co_u32 v11, vcc_lo, v68, v11
	s_delay_alu instid0(VALU_DEP_3)
	v_add_co_ci_u32_e32 v12, vcc_lo, v69, v12, vcc_lo
	ds_store_b64 v0, v[11:12] offset:784
	v_cmpx_ne_u32_e32 0, v2
	s_cbranch_execz .LBB6_246
; %bb.245:                              ;   in Loop: Header=BB6_225 Depth=2
	ds_load_b64 v[11:12], v0 offset:584
	s_waitcnt lgkmcnt(0)
	v_add_co_u32 v11, vcc_lo, v11, 1
	v_add_co_ci_u32_e32 v12, vcc_lo, 0, v12, vcc_lo
	ds_store_b64 v0, v[11:12] offset:584
.LBB6_246:                              ;   in Loop: Header=BB6_225 Depth=2
	s_or_b32 exec_lo, exec_lo, s30
	v_add_co_u32 v66, vcc_lo, v66, 2
	v_add_co_ci_u32_e32 v67, vcc_lo, 0, v67, vcc_lo
.LBB6_247:                              ;   in Loop: Header=BB6_225 Depth=2
	s_or_b32 exec_lo, exec_lo, s13
	s_and_saveexec_b32 s13, s3
	s_cbranch_execz .LBB6_273
; %bb.248:                              ;   in Loop: Header=BB6_225 Depth=2
	s_and_saveexec_b32 vcc_lo, s4
	s_delay_alu instid0(SALU_CYCLE_1)
	s_xor_b32 s30, exec_lo, vcc_lo
	s_cbranch_execz .LBB6_270
; %bb.249:                              ;   in Loop: Header=BB6_225 Depth=2
	s_and_saveexec_b32 s36, s1
	s_cbranch_execz .LBB6_269
; %bb.250:                              ;   in Loop: Header=BB6_225 Depth=2
	s_mov_b32 s38, exec_lo
	s_mov_b32 s37, exec_lo
	v_mbcnt_lo_u32_b32 v2, s38, 0
	s_waitcnt lgkmcnt(0)
	s_waitcnt_vscnt null, 0x0
	buffer_gl1_inv
	buffer_gl0_inv
	v_cmpx_eq_u32_e32 0, v2
	s_cbranch_execz .LBB6_252
; %bb.251:                              ;   in Loop: Header=BB6_225 Depth=2
	s_bcnt1_i32_b32 vcc_lo, s38
	s_delay_alu instid0(SALU_CYCLE_1)
	v_mov_b32_e32 v2, vcc_lo
	ds_add_u64 v0, v[2:3]
	s_cbranch_execnz .LBB6_3557
.LBB6_252:                              ;   in Loop: Header=BB6_225 Depth=2
	s_or_b32 exec_lo, exec_lo, s37
	s_cbranch_execnz .LBB6_3539
; %bb.253:                              ;   in Loop: Header=BB6_225 Depth=2
	ds_load_b64 v[11:12], v0
	v_add_co_u32 v80, vcc_lo, v80, v145
	v_add_co_ci_u32_e32 v81, vcc_lo, 0, v81, vcc_lo
	s_mov_b32 s37, exec_lo
	s_waitcnt lgkmcnt(0)
	s_delay_alu instid0(VALU_DEP_1)
	v_cmpx_lt_u64_e64 v[11:12], v[80:81]
	s_cbranch_execz .LBB6_268
; %bb.254:                              ;   in Loop: Header=BB6_225 Depth=2
	s_mov_b32 s38, 0
	s_mov_b32 s41, 0
                                        ; implicit-def: $sgpr39
                                        ; implicit-def: $sgpr40
	s_branch .LBB6_260
.LBB6_255:                              ;   in Loop: Header=BB6_225 Depth=2
	v_and_b32_e32 v11, 7, v66
	v_ashrrev_i32_e32 v9, 31, v8
	s_mov_b32 s36, -1
	s_mov_b32 s37, exec_lo
	s_delay_alu instid0(VALU_DEP_2) | instskip(NEXT) | instid1(VALU_DEP_2)
	v_mad_u64_u32 v[15:16], null, v11, 24, v[6:7]
	v_lshlrev_b64 v[12:13], 1, v[8:9]
	flat_load_b32 v2, v[15:16]
	flat_store_b64 v[15:16], v[12:13] offset:8
                                        ; implicit-def: $vgpr13_vgpr14
	s_waitcnt vmcnt(0) lgkmcnt(1)
	v_cmpx_eq_u32_e32 1, v2
	s_cbranch_execz .LBB6_257
; %bb.256:                              ;   in Loop: Header=BB6_225 Depth=2
	flat_load_b32 v11, v[15:16] offset:4 glc
	s_xor_b32 s36, exec_lo, -1
	s_waitcnt vmcnt(0) lgkmcnt(0)
	v_ashrrev_i32_e32 v12, 31, v11
	s_delay_alu instid0(VALU_DEP_1)
	v_lshrrev_b64 v[13:14], 1, v[11:12]
                                        ; implicit-def: $vgpr11_vgpr12
.LBB6_257:                              ;   in Loop: Header=BB6_225 Depth=2
	s_or_b32 exec_lo, exec_lo, s37
	s_delay_alu instid0(SALU_CYCLE_1)
	s_and_b32 s36, s36, exec_lo
	s_and_not1_saveexec_b32 vcc_lo, s30
	s_cbranch_execz .LBB6_242
.LBB6_258:                              ;   in Loop: Header=BB6_225 Depth=2
	v_and_b32_e32 v11, 7, v66
	s_or_b32 s36, s36, exec_lo
                                        ; implicit-def: $vgpr13_vgpr14
	s_or_b32 exec_lo, exec_lo, vcc_lo
	s_and_saveexec_b32 vcc_lo, s36
	s_cbranch_execnz .LBB6_243
	s_branch .LBB6_244
.LBB6_259:                              ;   in Loop: Header=BB6_260 Depth=3
	s_or_b32 exec_lo, exec_lo, s43
	s_delay_alu instid0(SALU_CYCLE_1) | instskip(NEXT) | instid1(SALU_CYCLE_1)
	s_and_b32 vcc_lo, exec_lo, vcc_lo
	s_or_b32 s38, vcc_lo, s38
	s_and_not1_b32 vcc_lo, s39, exec_lo
	s_and_b32 s39, s40, exec_lo
	s_delay_alu instid0(SALU_CYCLE_1)
	s_or_b32 s39, vcc_lo, s39
	s_and_not1_b32 exec_lo, exec_lo, s38
	s_cbranch_execz .LBB6_266
.LBB6_260:                              ;   Parent Loop BB6_51 Depth=1
                                        ;     Parent Loop BB6_225 Depth=2
                                        ; =>    This Inner Loop Header: Depth=3
	s_add_i32 s41, s41, 1
                                        ; implicit-def: $sgpr43
	s_delay_alu instid0(SALU_CYCLE_1) | instskip(SKIP_1) | instid1(SALU_CYCLE_1)
	s_cmpk_lg_i32 s41, 0x2710
	s_cselect_b32 s42, -1, 0
	s_and_b32 vcc_lo, exec_lo, s42
	s_cbranch_vccz .LBB6_264
.LBB6_261:                              ;   in Loop: Header=BB6_260 Depth=3
	s_and_not1_b32 s40, s40, exec_lo
	s_and_b32 s43, s43, exec_lo
	s_mov_b32 vcc_lo, -1
	s_or_b32 s40, s40, s43
	s_and_saveexec_b32 s43, s42
	s_cbranch_execz .LBB6_259
; %bb.262:                              ;   in Loop: Header=BB6_260 Depth=3
	s_sleep 1
	s_cbranch_execnz .LBB6_3587
; %bb.263:                              ;   in Loop: Header=BB6_260 Depth=3
	ds_load_b64 v[11:12], v0
	s_and_not1_b32 s40, s40, exec_lo
	s_waitcnt lgkmcnt(0)
	v_cmp_ge_u64_e32 vcc_lo, v[11:12], v[80:81]
	s_or_not1_b32 vcc_lo, vcc_lo, exec_lo
	s_branch .LBB6_259
.LBB6_264:                              ;   in Loop: Header=BB6_260 Depth=3
	s_cbranch_execnz .LBB6_3593
; %bb.265:                              ;   in Loop: Header=BB6_260 Depth=3
	ds_load_b64 v[11:12], v0
	s_and_not1_b32 s42, s42, exec_lo
	s_mov_b32 s41, 0
	s_mov_b32 s43, -1
	s_waitcnt lgkmcnt(0)
	flat_load_b32 v2, v[11:12] glc
	s_waitcnt vmcnt(0) lgkmcnt(0)
	buffer_gl1_inv
	buffer_gl0_inv
	v_cmp_eq_u32_e32 vcc_lo, 0, v2
	s_and_b32 vcc_lo, vcc_lo, exec_lo
	s_delay_alu instid0(SALU_CYCLE_1)
	s_or_b32 s42, s42, vcc_lo
	s_branch .LBB6_261
.LBB6_266:                              ;   in Loop: Header=BB6_225 Depth=2
	s_or_b32 exec_lo, exec_lo, s38
	s_and_saveexec_b32 vcc_lo, s39
	s_delay_alu instid0(SALU_CYCLE_1)
	s_xor_b32 vcc_lo, exec_lo, vcc_lo
	s_cbranch_execz .LBB6_268
; %bb.267:                              ;   in Loop: Header=BB6_225 Depth=2
	ds_store_b32 v0, v182
	s_cbranch_execnz .LBB6_3801
.LBB6_268:                              ;   in Loop: Header=BB6_225 Depth=2
	s_or_b32 exec_lo, exec_lo, s37
	;;#ASMSTART
	s_wakeup
	;;#ASMEND
.LBB6_269:                              ;   in Loop: Header=BB6_225 Depth=2
	s_or_b32 exec_lo, exec_lo, s36
.LBB6_270:                              ;   in Loop: Header=BB6_225 Depth=2
	s_and_not1_saveexec_b32 vcc_lo, s30
	s_cbranch_execz .LBB6_272
; %bb.271:                              ;   in Loop: Header=BB6_225 Depth=2
	s_waitcnt lgkmcnt(0)
	s_waitcnt_vscnt null, 0x0
	buffer_gl1_inv
	buffer_gl0_inv
	s_barrier
.LBB6_272:                              ;   in Loop: Header=BB6_225 Depth=2
	s_or_b32 exec_lo, exec_lo, vcc_lo
.LBB6_273:                              ;   in Loop: Header=BB6_225 Depth=2
	s_delay_alu instid0(SALU_CYCLE_1) | instskip(SKIP_1) | instid1(SALU_CYCLE_1)
	s_or_b32 exec_lo, exec_lo, s13
                                        ; implicit-def: $vgpr2
	s_and_saveexec_b32 s13, s7
	s_xor_b32 s30, exec_lo, s13
	s_cbranch_execz .LBB6_278
; %bb.274:                              ;   in Loop: Header=BB6_225 Depth=2
	s_cbranch_execnz .LBB6_3512
; %bb.275:                              ;   in Loop: Header=BB6_225 Depth=2
	ds_load_b32 v2, v0
	v_cmp_lt_i32_e32 vcc_lo, 0, v8
	s_waitcnt lgkmcnt(0)
	v_readfirstlane_b32 s13, v2
	v_and_b32_e32 v2, 16, v30
	s_delay_alu instid0(VALU_DEP_2) | instskip(NEXT) | instid1(VALU_DEP_1)
	s_cmp_eq_u32 s13, 0
	v_cmp_ne_u32_e64 s13, 0, v2
	s_cselect_b32 s36, -1, 0
	v_and_b32_e32 v2, 16, v30
	s_and_b32 vcc_lo, vcc_lo, s36
	s_delay_alu instid0(VALU_DEP_2) | instid1(SALU_CYCLE_1)
	s_and_b32 vcc_lo, s13, vcc_lo
	s_delay_alu instid0(SALU_CYCLE_1)
	s_and_saveexec_b32 s13, vcc_lo
	s_cbranch_execz .LBB6_277
; %bb.276:                              ;   in Loop: Header=BB6_225 Depth=2
	v_mov_b32_e32 v2, 1
	s_waitcnt_vscnt null, 0x0
	buffer_gl1_inv
	buffer_gl0_inv
.LBB6_277:                              ;   in Loop: Header=BB6_225 Depth=2
	s_or_b32 exec_lo, exec_lo, s13
.LBB6_278:                              ;   in Loop: Header=BB6_225 Depth=2
	s_and_not1_saveexec_b32 s13, s30
	s_cbranch_execz .LBB6_300
; %bb.279:                              ;   in Loop: Header=BB6_225 Depth=2
	s_and_saveexec_b32 vcc_lo, s4
	s_delay_alu instid0(SALU_CYCLE_1)
	s_xor_b32 s30, exec_lo, vcc_lo
	s_cbranch_execz .LBB6_297
; %bb.280:                              ;   in Loop: Header=BB6_225 Depth=2
	s_and_saveexec_b32 s36, s1
	s_cbranch_execz .LBB6_296
; %bb.281:                              ;   in Loop: Header=BB6_225 Depth=2
	s_mov_b32 s38, exec_lo
	s_mov_b32 s37, exec_lo
	v_mbcnt_lo_u32_b32 v2, s38, 0
	;;#ASMSTART
	s_waitcnt lgkmcnt(0) vmcnt(0)
	;;#ASMEND
	s_delay_alu instid0(VALU_DEP_1)
	v_cmpx_eq_u32_e32 0, v2
	s_cbranch_execz .LBB6_283
; %bb.282:                              ;   in Loop: Header=BB6_225 Depth=2
	s_bcnt1_i32_b32 vcc_lo, s38
	s_delay_alu instid0(SALU_CYCLE_1)
	v_mov_b32_e32 v2, vcc_lo
	ds_add_u64 v0, v[2:3]
	s_cbranch_execnz .LBB6_3575
.LBB6_283:                              ;   in Loop: Header=BB6_225 Depth=2
	s_or_b32 exec_lo, exec_lo, s37
	s_cbranch_execnz .LBB6_3553
; %bb.284:                              ;   in Loop: Header=BB6_225 Depth=2
	ds_load_b64 v[11:12], v0
	v_add_co_u32 v80, vcc_lo, v80, v145
	v_add_co_ci_u32_e32 v81, vcc_lo, 0, v81, vcc_lo
	s_mov_b32 s37, exec_lo
	s_waitcnt lgkmcnt(0)
	s_delay_alu instid0(VALU_DEP_1)
	v_cmpx_lt_u64_e64 v[11:12], v[80:81]
	s_cbranch_execz .LBB6_295
; %bb.285:                              ;   in Loop: Header=BB6_225 Depth=2
	s_mov_b32 s38, 0
	s_mov_b32 s41, 0
                                        ; implicit-def: $sgpr39
                                        ; implicit-def: $sgpr40
	s_branch .LBB6_287
.LBB6_286:                              ;   in Loop: Header=BB6_287 Depth=3
	s_or_b32 exec_lo, exec_lo, s43
	s_delay_alu instid0(SALU_CYCLE_1) | instskip(NEXT) | instid1(SALU_CYCLE_1)
	s_and_b32 vcc_lo, exec_lo, vcc_lo
	s_or_b32 s38, vcc_lo, s38
	s_and_not1_b32 vcc_lo, s39, exec_lo
	s_and_b32 s39, s40, exec_lo
	s_delay_alu instid0(SALU_CYCLE_1)
	s_or_b32 s39, vcc_lo, s39
	s_and_not1_b32 exec_lo, exec_lo, s38
	s_cbranch_execz .LBB6_293
.LBB6_287:                              ;   Parent Loop BB6_51 Depth=1
                                        ;     Parent Loop BB6_225 Depth=2
                                        ; =>    This Inner Loop Header: Depth=3
	s_add_i32 s41, s41, 1
                                        ; implicit-def: $sgpr43
	s_delay_alu instid0(SALU_CYCLE_1) | instskip(SKIP_1) | instid1(SALU_CYCLE_1)
	s_cmpk_lg_i32 s41, 0x2710
	s_cselect_b32 s42, -1, 0
	s_and_b32 vcc_lo, exec_lo, s42
	s_cbranch_vccz .LBB6_291
.LBB6_288:                              ;   in Loop: Header=BB6_287 Depth=3
	s_and_not1_b32 s40, s40, exec_lo
	s_and_b32 s43, s43, exec_lo
	s_mov_b32 vcc_lo, -1
	s_or_b32 s40, s40, s43
	s_and_saveexec_b32 s43, s42
	s_cbranch_execz .LBB6_286
; %bb.289:                              ;   in Loop: Header=BB6_287 Depth=3
	s_sleep 1
	s_cbranch_execnz .LBB6_3599
; %bb.290:                              ;   in Loop: Header=BB6_287 Depth=3
	ds_load_b64 v[11:12], v0
	s_and_not1_b32 s40, s40, exec_lo
	s_waitcnt lgkmcnt(0)
	v_cmp_ge_u64_e32 vcc_lo, v[11:12], v[80:81]
	s_or_not1_b32 vcc_lo, vcc_lo, exec_lo
	s_branch .LBB6_286
.LBB6_291:                              ;   in Loop: Header=BB6_287 Depth=3
	s_cbranch_execnz .LBB6_3611
; %bb.292:                              ;   in Loop: Header=BB6_287 Depth=3
	ds_load_b64 v[11:12], v0
	s_and_not1_b32 s42, s42, exec_lo
	s_mov_b32 s41, 0
	s_mov_b32 s43, -1
	s_waitcnt lgkmcnt(0)
	s_waitcnt_vscnt null, 0x0
	flat_load_b32 v2, v[11:12] glc
	s_waitcnt vmcnt(0) lgkmcnt(0)
	buffer_gl1_inv
	buffer_gl0_inv
	v_cmp_eq_u32_e32 vcc_lo, 0, v2
	s_and_b32 vcc_lo, vcc_lo, exec_lo
	s_delay_alu instid0(SALU_CYCLE_1)
	s_or_b32 s42, s42, vcc_lo
	s_branch .LBB6_288
.LBB6_293:                              ;   in Loop: Header=BB6_225 Depth=2
	s_or_b32 exec_lo, exec_lo, s38
	s_and_saveexec_b32 vcc_lo, s39
	s_delay_alu instid0(SALU_CYCLE_1)
	s_xor_b32 vcc_lo, exec_lo, vcc_lo
	s_cbranch_execz .LBB6_295
; %bb.294:                              ;   in Loop: Header=BB6_225 Depth=2
	ds_store_b32 v0, v182
	s_cbranch_execnz .LBB6_3819
.LBB6_295:                              ;   in Loop: Header=BB6_225 Depth=2
	s_or_b32 exec_lo, exec_lo, s37
	;;#ASMSTART
	s_wakeup
	;;#ASMEND
.LBB6_296:                              ;   in Loop: Header=BB6_225 Depth=2
	s_or_b32 exec_lo, exec_lo, s36
.LBB6_297:                              ;   in Loop: Header=BB6_225 Depth=2
	s_and_not1_saveexec_b32 vcc_lo, s30
	s_cbranch_execz .LBB6_299
; %bb.298:                              ;   in Loop: Header=BB6_225 Depth=2
	;;#ASMSTART
	s_waitcnt lgkmcnt(0) vmcnt(0)
	;;#ASMEND
	s_waitcnt lgkmcnt(0)
	s_waitcnt_vscnt null, 0x0
	s_barrier
.LBB6_299:                              ;   in Loop: Header=BB6_225 Depth=2
	s_or_b32 exec_lo, exec_lo, vcc_lo
	v_and_b32_e32 v2, 16, v30
.LBB6_300:                              ;   in Loop: Header=BB6_225 Depth=2
	s_or_b32 exec_lo, exec_lo, s13
	s_delay_alu instid0(SALU_CYCLE_1) | instskip(NEXT) | instid1(VALU_DEP_1)
	s_mov_b32 s13, exec_lo
	v_cmpx_ne_u32_e32 0, v2
	s_cbranch_execz .LBB6_304
; %bb.301:                              ;   in Loop: Header=BB6_225 Depth=2
	s_and_saveexec_b32 vcc_lo, s11
	s_cbranch_execz .LBB6_303
; %bb.302:                              ;   in Loop: Header=BB6_225 Depth=2
	s_waitcnt lgkmcnt(0)
	s_waitcnt_vscnt null, 0x0
	flat_store_b32 v[70:71], v182
.LBB6_303:                              ;   in Loop: Header=BB6_225 Depth=2
	s_or_b32 exec_lo, exec_lo, vcc_lo
	v_add_co_u32 v66, vcc_lo, v66, 2
	v_add_co_ci_u32_e32 v67, vcc_lo, 0, v67, vcc_lo
	s_waitcnt lgkmcnt(0)
	s_waitcnt_vscnt null, 0x0
	flat_store_b64 v[64:65], v[66:67]
.LBB6_304:                              ;   in Loop: Header=BB6_225 Depth=2
	s_or_b32 exec_lo, exec_lo, s13
	v_add_nc_u32_e32 v10, v8, v10
	s_mov_b32 s13, 0
	s_and_not1_b32 exec_lo, exec_lo, s17
	s_cbranch_execnz .LBB6_225
; %bb.305:                              ;   in Loop: Header=BB6_51 Depth=1
	s_or_b32 exec_lo, exec_lo, s17
.LBB6_306:                              ;   in Loop: Header=BB6_51 Depth=1
	s_delay_alu instid0(SALU_CYCLE_1) | instskip(NEXT) | instid1(SALU_CYCLE_1)
	s_or_b32 exec_lo, exec_lo, s15
	s_and_not1_b32 vcc_lo, exec_lo, s29
                                        ; implicit-def: $vgpr56 : SGPR spill to VGPR lane
	s_cbranch_vccnz .LBB6_1247
; %bb.307:                              ;   in Loop: Header=BB6_51 Depth=1
	s_mov_b32 s17, 2
.LBB6_308:                              ;   Parent Loop BB6_51 Depth=1
                                        ; =>  This Loop Header: Depth=2
                                        ;       Child Loop BB6_310 Depth 3
                                        ;         Child Loop BB6_319 Depth 4
                                        ;         Child Loop BB6_349 Depth 4
                                        ;         Child Loop BB6_372 Depth 4
                                        ;         Child Loop BB6_400 Depth 4
                                        ;         Child Loop BB6_790 Depth 4
                                        ;         Child Loop BB6_896 Depth 4
                                        ;         Child Loop BB6_1094 Depth 4
                                        ;         Child Loop BB6_1115 Depth 4
                                        ;         Child Loop BB6_1141 Depth 4
                                        ;       Child Loop BB6_1162 Depth 3
                                        ;         Child Loop BB6_1168 Depth 4
                                        ;         Child Loop BB6_1200 Depth 4
	;; [unrolled: 1-line block ×3, first 2 shown]
	s_delay_alu instid0(SALU_CYCLE_1) | instskip(SKIP_3) | instid1(SALU_CYCLE_1)
	s_sub_i32 s13, s25, s17
	v_mov_b32_e32 v112, 0
	s_cmp_le_i32 s19, s13
	s_cselect_b32 s15, s19, 0
	s_sub_i32 s13, s13, s15
	s_delay_alu instid0(SALU_CYCLE_1) | instskip(SKIP_4) | instid1(VALU_DEP_1)
	s_ashr_i32 s15, s13, 31
	v_mul_lo_u32 v2, v97, s13
	v_mad_u64_u32 v[8:9], null, v96, s13, 0
	v_mul_lo_u32 v10, v96, s15
	s_mov_b32 s15, 0
	v_add3_u32 v9, v9, v10, v2
	s_delay_alu instid0(VALU_DEP_3) | instskip(NEXT) | instid1(VALU_DEP_2)
	v_sub_co_u32 v10, vcc_lo, v98, v8
	v_sub_co_ci_u32_e32 v11, vcc_lo, v99, v9, vcc_lo
	s_delay_alu instid0(VALU_DEP_1) | instskip(SKIP_1) | instid1(VALU_DEP_1)
	v_cmp_lt_i64_e32 vcc_lo, v[96:97], v[10:11]
	v_cndmask_b32_e32 v10, v10, v96, vcc_lo
	v_max_i32_e32 v130, 0, v10
	s_delay_alu instid0(VALU_DEP_1) | instskip(NEXT) | instid1(VALU_DEP_1)
	v_add_nc_u32_e32 v2, 31, v130
	v_lshrrev_b32_e32 v2, 1, v2
	s_delay_alu instid0(VALU_DEP_1) | instskip(SKIP_2) | instid1(VALU_DEP_3)
	v_and_b32_e32 v11, 0x3ffffff0, v2
	v_cmp_lt_i32_e32 vcc_lo, 0, v10
	v_mov_b32_e32 v2, 0
	v_max_i32_e32 v102, s28, v11
	s_and_b32 s13, s16, vcc_lo
	s_delay_alu instid0(SALU_CYCLE_1)
	s_and_saveexec_b32 s30, s13
	s_cbranch_execz .LBB6_1160
; %bb.309:                              ;   in Loop: Header=BB6_308 Depth=2
	v_lshlrev_b64 v[114:115], 1, v[8:9]
	v_mov_b32_e32 v112, 0
	s_mov_b32 s37, 1
	s_mov_b32 s36, -1
.LBB6_310:                              ;   Parent Loop BB6_51 Depth=1
                                        ;     Parent Loop BB6_308 Depth=2
                                        ; =>    This Loop Header: Depth=3
                                        ;         Child Loop BB6_319 Depth 4
                                        ;         Child Loop BB6_349 Depth 4
                                        ;         Child Loop BB6_372 Depth 4
                                        ;         Child Loop BB6_400 Depth 4
                                        ;         Child Loop BB6_790 Depth 4
                                        ;         Child Loop BB6_896 Depth 4
                                        ;         Child Loop BB6_1094 Depth 4
                                        ;         Child Loop BB6_1115 Depth 4
                                        ;         Child Loop BB6_1141 Depth 4
	s_and_saveexec_b32 s13, s0
	s_cbranch_execz .LBB6_313
; %bb.311:                              ;   in Loop: Header=BB6_310 Depth=3
	s_cbranch_execnz .LBB6_3522
; %bb.312:                              ;   in Loop: Header=BB6_310 Depth=3
	ds_load_b64 v[8:9], v0
	v_lshlrev_b64 v[10:11], 1, v[100:101]
	v_ashrrev_i32_e32 v113, 31, v112
	s_waitcnt lgkmcnt(0)
	s_delay_alu instid0(VALU_DEP_2) | instskip(NEXT) | instid1(VALU_DEP_3)
	v_add_co_u32 v2, vcc_lo, v8, v10
	v_add_co_ci_u32_e32 v10, vcc_lo, v9, v11, vcc_lo
	s_delay_alu instid0(VALU_DEP_3) | instskip(NEXT) | instid1(VALU_DEP_3)
	v_lshlrev_b64 v[8:9], 1, v[112:113]
	v_add_co_u32 v2, vcc_lo, v2, v114
	s_delay_alu instid0(VALU_DEP_3) | instskip(NEXT) | instid1(VALU_DEP_2)
	v_add_co_ci_u32_e32 v10, vcc_lo, v10, v115, vcc_lo
	v_add_co_u32 v8, vcc_lo, v2, v8
	s_delay_alu instid0(VALU_DEP_2)
	v_add_co_ci_u32_e32 v9, vcc_lo, v10, v9, vcc_lo
	v_mov_b32_e32 v2, v3
	ds_store_b64 v0, v[8:9]
	ds_store_b64 v0, v[2:3]
.LBB6_313:                              ;   in Loop: Header=BB6_310 Depth=3
	s_or_b32 exec_lo, exec_lo, s13
	v_and_b32_e32 v2, 12, v30
	s_mov_b32 s38, -1
	s_mov_b32 s13, exec_lo
	s_delay_alu instid0(VALU_DEP_1)
	v_cmpx_ne_u32_e32 0, v2
	v_writelane_b32 v56, s15, 8
	v_writelane_b32 v56, s36, 9
	;; [unrolled: 1-line block ×3, first 2 shown]
	s_cbranch_execz .LBB6_327
; %bb.314:                              ;   in Loop: Header=BB6_310 Depth=3
	v_and_b32_e32 v2, 8, v30
	s_delay_alu instid0(VALU_DEP_1) | instskip(SKIP_3) | instid1(VALU_DEP_1)
	v_add_co_u32 v10, vcc_lo, v82, v2
	v_add_co_ci_u32_e32 v11, vcc_lo, 0, v83, vcc_lo
	v_add_co_u32 v8, vcc_lo, v66, 2
	v_add_co_ci_u32_e32 v9, vcc_lo, 0, v67, vcc_lo
	v_cmp_lt_u64_e32 vcc_lo, v[10:11], v[8:9]
	v_mov_b32_e32 v10, 1
	s_and_saveexec_b32 s15, vcc_lo
	s_cbranch_execz .LBB6_326
; %bb.315:                              ;   in Loop: Header=BB6_310 Depth=3
	v_mov_b32_e32 v10, 0
	s_mov_b32 s36, 0
                                        ; implicit-def: $sgpr37
	s_branch .LBB6_319
.LBB6_316:                              ;   in Loop: Header=BB6_319 Depth=4
	s_or_b32 exec_lo, exec_lo, s41
	v_mov_b32_e32 v11, 0
	s_or_not1_b32 s40, s40, exec_lo
.LBB6_317:                              ;   in Loop: Header=BB6_319 Depth=4
	s_or_b32 exec_lo, exec_lo, s39
	s_delay_alu instid0(VALU_DEP_1) | instskip(SKIP_2) | instid1(SALU_CYCLE_1)
	v_mov_b32_e32 v10, v11
	s_and_not1_b32 vcc_lo, s37, exec_lo
	s_and_b32 s37, s40, exec_lo
	s_or_b32 s37, vcc_lo, s37
.LBB6_318:                              ;   in Loop: Header=BB6_319 Depth=4
	s_or_b32 exec_lo, exec_lo, s38
	s_waitcnt vmcnt(0) lgkmcnt(0)
	v_add_co_u32 v11, vcc_lo, v82, v2
	v_add_co_ci_u32_e32 v12, vcc_lo, 0, v83, vcc_lo
	s_xor_b32 s38, s37, -1
	s_delay_alu instid0(VALU_DEP_1) | instskip(SKIP_1) | instid1(SALU_CYCLE_1)
	v_cmp_ge_u64_e32 vcc_lo, v[11:12], v[8:9]
	s_or_b32 vcc_lo, s38, vcc_lo
	s_and_b32 vcc_lo, exec_lo, vcc_lo
	s_delay_alu instid0(SALU_CYCLE_1) | instskip(NEXT) | instid1(SALU_CYCLE_1)
	s_or_b32 s36, vcc_lo, s36
	s_and_not1_b32 exec_lo, exec_lo, s36
	s_cbranch_execz .LBB6_325
.LBB6_319:                              ;   Parent Loop BB6_51 Depth=1
                                        ;     Parent Loop BB6_308 Depth=2
                                        ;       Parent Loop BB6_310 Depth=3
                                        ; =>      This Inner Loop Header: Depth=4
	s_sleep 1
	flat_load_b64 v[82:83], v[64:65] glc
	v_and_b32_e32 v11, 64, v30
	s_and_not1_b32 s37, s37, exec_lo
	s_mov_b32 s38, exec_lo
	s_delay_alu instid0(VALU_DEP_1)
	v_cmpx_eq_u32_e32 0, v11
	s_cbranch_execz .LBB6_318
; %bb.320:                              ;   in Loop: Header=BB6_319 Depth=4
	v_add_nc_u32_e32 v11, 1, v10
	s_mov_b32 s40, -1
	s_mov_b32 s39, exec_lo
	v_cmpx_lt_i32_e32 0x270e, v10
	s_cbranch_execz .LBB6_317
; %bb.321:                              ;   in Loop: Header=BB6_319 Depth=4
	s_cbranch_execnz .LBB6_3555
; %bb.322:                              ;   in Loop: Header=BB6_319 Depth=4
	ds_load_b64 v[10:11], v0
	s_mov_b32 s41, exec_lo
	s_waitcnt vmcnt(0) lgkmcnt(0)
	s_waitcnt_vscnt null, 0x0
	flat_load_b32 v10, v[10:11] glc
	s_waitcnt vmcnt(0) lgkmcnt(0)
	buffer_gl1_inv
	buffer_gl0_inv
	v_cmpx_ne_u32_e32 0, v10
	s_cbranch_execz .LBB6_316
; %bb.323:                              ;   in Loop: Header=BB6_319 Depth=4
	ds_store_b32 v0, v10
	s_cbranch_execnz .LBB6_3605
; %bb.324:                              ;   in Loop: Header=BB6_319 Depth=4
	v_or_b32_e32 v30, 64, v30
	s_xor_b32 s40, exec_lo, -1
	s_branch .LBB6_316
.LBB6_325:                              ;   in Loop: Header=BB6_310 Depth=3
	s_or_b32 exec_lo, exec_lo, s36
	v_and_b32_e32 v10, 12, v30
.LBB6_326:                              ;   in Loop: Header=BB6_310 Depth=3
	s_or_b32 exec_lo, exec_lo, s15
	s_delay_alu instid0(VALU_DEP_1)
	v_cmp_eq_u32_e32 vcc_lo, 0, v10
	;;#ASMSTART
	s_wakeup
	;;#ASMEND
	s_or_not1_b32 s38, vcc_lo, exec_lo
.LBB6_327:                              ;   in Loop: Header=BB6_310 Depth=3
	s_or_b32 exec_lo, exec_lo, s13
	v_sub_nc_u32_e32 v2, v130, v112
	s_xor_b32 s13, s38, -1
	s_delay_alu instid0(VALU_DEP_1)
	v_min_i32_e32 v102, v102, v2
	s_and_saveexec_b32 s15, s13
	s_cbranch_execz .LBB6_340
; %bb.328:                              ;   in Loop: Header=BB6_310 Depth=3
	v_and_b32_e32 v2, 0x108, v30
	s_delay_alu instid0(VALU_DEP_1) | instskip(SKIP_2) | instid1(SALU_CYCLE_1)
	v_cmp_ne_u32_e32 vcc_lo, 0x108, v2
	v_and_b32_e32 v2, 7, v66
	s_and_saveexec_b32 s13, vcc_lo
	s_xor_b32 s13, exec_lo, s13
	s_delay_alu instid0(SALU_CYCLE_1)
	s_and_not1_saveexec_b32 s13, s13
	s_cbranch_execz .LBB6_330
; %bb.329:                              ;   in Loop: Header=BB6_310 Depth=3
	v_ashrrev_i32_e32 v103, 31, v102
	v_mad_u64_u32 v[8:9], null, v2, 24, v[6:7]
	s_delay_alu instid0(VALU_DEP_2)
	v_lshlrev_b64 v[10:11], 1, v[102:103]
	flat_store_b64 v[8:9], v[10:11] offset:8
.LBB6_330:                              ;   in Loop: Header=BB6_310 Depth=3
	s_or_b32 exec_lo, exec_lo, s13
	v_and_b32_e32 v8, 0x100, v30
	s_mov_b32 s13, -1
	s_delay_alu instid0(VALU_DEP_1)
	v_cmp_ne_u32_e32 vcc_lo, 0, v8
                                        ; implicit-def: $vgpr8_vgpr9
	s_and_saveexec_b32 s36, vcc_lo
	s_cbranch_execnz .LBB6_333
; %bb.331:                              ;   in Loop: Header=BB6_310 Depth=3
	s_or_b32 exec_lo, exec_lo, s36
	s_and_saveexec_b32 vcc_lo, s13
	s_cbranch_execnz .LBB6_336
.LBB6_332:                              ;   in Loop: Header=BB6_310 Depth=3
	s_or_b32 exec_lo, exec_lo, vcc_lo
	s_cbranch_execnz .LBB6_3549
	s_branch .LBB6_337
.LBB6_333:                              ;   in Loop: Header=BB6_310 Depth=3
	v_mad_u64_u32 v[10:11], null, v2, 24, v[6:7]
	s_delay_alu instid0(VALU_DEP_1) | instskip(NEXT) | instid1(VALU_DEP_1)
	v_mov_b32_e32 v8, v11
	v_mad_u64_u32 v[11:12], null, v3, 24, v[8:9]
	flat_load_b32 v8, v[10:11]
	s_waitcnt vmcnt(0) lgkmcnt(0)
	v_cmp_ne_u32_e32 vcc_lo, 1, v8
	v_cmp_eq_u32_e64 s13, 1, v8
                                        ; implicit-def: $vgpr8_vgpr9
	s_delay_alu instid0(VALU_DEP_1)
	s_and_saveexec_b32 s37, s13
	s_cbranch_execz .LBB6_335
; %bb.334:                              ;   in Loop: Header=BB6_310 Depth=3
	flat_load_b32 v8, v[10:11] offset:4 glc
	s_waitcnt vmcnt(0) lgkmcnt(0)
	v_ashrrev_i32_e32 v9, 31, v8
	s_delay_alu instid0(VALU_DEP_1)
	v_lshrrev_b64 v[8:9], 1, v[8:9]
.LBB6_335:                              ;   in Loop: Header=BB6_310 Depth=3
	s_or_b32 exec_lo, exec_lo, s37
	s_delay_alu instid0(SALU_CYCLE_1)
	s_or_not1_b32 s13, vcc_lo, exec_lo
	s_or_b32 exec_lo, exec_lo, s36
	s_and_saveexec_b32 vcc_lo, s13
	s_cbranch_execz .LBB6_332
.LBB6_336:                              ;   in Loop: Header=BB6_310 Depth=3
	v_mul_lo_u32 v10, v3, v133
	v_mul_lo_u32 v11, v2, v134
	v_mad_u64_u32 v[8:9], null, v2, v133, 0
	s_delay_alu instid0(VALU_DEP_1)
	v_add3_u32 v9, v9, v11, v10
	s_or_b32 exec_lo, exec_lo, vcc_lo
	s_cbranch_execnz .LBB6_3549
.LBB6_337:                              ;   in Loop: Header=BB6_310 Depth=3
	s_delay_alu instid0(VALU_DEP_1) | instskip(SKIP_2) | instid1(VALU_DEP_2)
	v_lshlrev_b64 v[8:9], 1, v[8:9]
	v_and_b32_e32 v2, 0x2000, v30
	s_mov_b32 s13, exec_lo
	v_add_co_u32 v8, vcc_lo, v68, v8
	s_delay_alu instid0(VALU_DEP_3)
	v_add_co_ci_u32_e32 v9, vcc_lo, v69, v9, vcc_lo
	ds_store_b64 v0, v[8:9]
	v_cmpx_ne_u32_e32 0, v2
	s_cbranch_execz .LBB6_339
; %bb.338:                              ;   in Loop: Header=BB6_310 Depth=3
	ds_load_b64 v[8:9], v0 offset:584
	s_waitcnt lgkmcnt(0)
	v_add_co_u32 v8, vcc_lo, v8, 1
	v_add_co_ci_u32_e32 v9, vcc_lo, 0, v9, vcc_lo
	ds_store_b64 v0, v[8:9] offset:584
.LBB6_339:                              ;   in Loop: Header=BB6_310 Depth=3
	s_or_b32 exec_lo, exec_lo, s13
	v_add_co_u32 v66, vcc_lo, v66, 2
	v_add_co_ci_u32_e32 v67, vcc_lo, 0, v67, vcc_lo
.LBB6_340:                              ;   in Loop: Header=BB6_310 Depth=3
	s_or_b32 exec_lo, exec_lo, s15
	s_and_saveexec_b32 s13, s3
	s_cbranch_execz .LBB6_362
; %bb.341:                              ;   in Loop: Header=BB6_310 Depth=3
	s_and_saveexec_b32 s15, s4
	s_delay_alu instid0(SALU_CYCLE_1)
	s_xor_b32 s15, exec_lo, s15
	s_cbranch_execz .LBB6_359
; %bb.342:                              ;   in Loop: Header=BB6_310 Depth=3
	s_and_saveexec_b32 s36, s1
	s_cbranch_execz .LBB6_358
; %bb.343:                              ;   in Loop: Header=BB6_310 Depth=3
	s_mov_b32 s38, exec_lo
	s_mov_b32 s37, exec_lo
	v_mbcnt_lo_u32_b32 v2, s38, 0
	s_waitcnt lgkmcnt(0)
	s_waitcnt_vscnt null, 0x0
	buffer_gl1_inv
	buffer_gl0_inv
	v_cmpx_eq_u32_e32 0, v2
	s_cbranch_execz .LBB6_345
; %bb.344:                              ;   in Loop: Header=BB6_310 Depth=3
	s_bcnt1_i32_b32 vcc_lo, s38
	s_delay_alu instid0(SALU_CYCLE_1)
	v_mov_b32_e32 v2, vcc_lo
	ds_add_u64 v0, v[2:3]
	s_cbranch_execnz .LBB6_3661
.LBB6_345:                              ;   in Loop: Header=BB6_310 Depth=3
	s_or_b32 exec_lo, exec_lo, s37
	s_cbranch_execnz .LBB6_3627
; %bb.346:                              ;   in Loop: Header=BB6_310 Depth=3
	ds_load_b64 v[8:9], v0
	v_add_co_u32 v80, vcc_lo, v80, v145
	v_add_co_ci_u32_e32 v81, vcc_lo, 0, v81, vcc_lo
	s_mov_b32 s37, exec_lo
	s_waitcnt lgkmcnt(0)
	s_delay_alu instid0(VALU_DEP_1)
	v_cmpx_lt_u64_e64 v[8:9], v[80:81]
	s_cbranch_execz .LBB6_357
; %bb.347:                              ;   in Loop: Header=BB6_310 Depth=3
	s_mov_b32 s38, 0
	s_mov_b32 s41, 0
                                        ; implicit-def: $sgpr39
                                        ; implicit-def: $sgpr40
	s_branch .LBB6_349
.LBB6_348:                              ;   in Loop: Header=BB6_349 Depth=4
	s_or_b32 exec_lo, exec_lo, s43
	s_delay_alu instid0(SALU_CYCLE_1) | instskip(NEXT) | instid1(SALU_CYCLE_1)
	s_and_b32 vcc_lo, exec_lo, vcc_lo
	s_or_b32 s38, vcc_lo, s38
	s_and_not1_b32 vcc_lo, s39, exec_lo
	s_and_b32 s39, s40, exec_lo
	s_delay_alu instid0(SALU_CYCLE_1)
	s_or_b32 s39, vcc_lo, s39
	s_and_not1_b32 exec_lo, exec_lo, s38
	s_cbranch_execz .LBB6_355
.LBB6_349:                              ;   Parent Loop BB6_51 Depth=1
                                        ;     Parent Loop BB6_308 Depth=2
                                        ;       Parent Loop BB6_310 Depth=3
                                        ; =>      This Inner Loop Header: Depth=4
	s_add_i32 s41, s41, 1
                                        ; implicit-def: $sgpr43
	s_delay_alu instid0(SALU_CYCLE_1) | instskip(SKIP_1) | instid1(SALU_CYCLE_1)
	s_cmpk_lg_i32 s41, 0x2710
	s_cselect_b32 s42, -1, 0
	s_and_b32 vcc_lo, exec_lo, s42
	s_cbranch_vccz .LBB6_353
.LBB6_350:                              ;   in Loop: Header=BB6_349 Depth=4
	s_and_not1_b32 s40, s40, exec_lo
	s_and_b32 s43, s43, exec_lo
	s_mov_b32 vcc_lo, -1
	s_or_b32 s40, s40, s43
	s_and_saveexec_b32 s43, s42
	s_cbranch_execz .LBB6_348
; %bb.351:                              ;   in Loop: Header=BB6_349 Depth=4
	s_sleep 1
	s_cbranch_execnz .LBB6_3709
; %bb.352:                              ;   in Loop: Header=BB6_349 Depth=4
	ds_load_b64 v[8:9], v0
	s_and_not1_b32 s40, s40, exec_lo
	s_waitcnt lgkmcnt(0)
	v_cmp_ge_u64_e32 vcc_lo, v[8:9], v[80:81]
	s_or_not1_b32 vcc_lo, vcc_lo, exec_lo
	s_branch .LBB6_348
.LBB6_353:                              ;   in Loop: Header=BB6_349 Depth=4
	s_cbranch_execnz .LBB6_3717
; %bb.354:                              ;   in Loop: Header=BB6_349 Depth=4
	ds_load_b64 v[8:9], v0
	s_and_not1_b32 s42, s42, exec_lo
	s_mov_b32 s41, 0
	s_mov_b32 s43, -1
	s_waitcnt lgkmcnt(0)
	flat_load_b32 v2, v[8:9] glc
	s_waitcnt vmcnt(0) lgkmcnt(0)
	buffer_gl1_inv
	buffer_gl0_inv
	v_cmp_eq_u32_e32 vcc_lo, 0, v2
	s_and_b32 vcc_lo, vcc_lo, exec_lo
	s_delay_alu instid0(SALU_CYCLE_1)
	s_or_b32 s42, s42, vcc_lo
	s_branch .LBB6_350
.LBB6_355:                              ;   in Loop: Header=BB6_310 Depth=3
	s_or_b32 exec_lo, exec_lo, s38
	s_and_saveexec_b32 vcc_lo, s39
	s_delay_alu instid0(SALU_CYCLE_1)
	s_xor_b32 vcc_lo, exec_lo, vcc_lo
	s_cbranch_execz .LBB6_357
; %bb.356:                              ;   in Loop: Header=BB6_310 Depth=3
	ds_store_b32 v0, v182
	s_cbranch_execnz .LBB6_3919
.LBB6_357:                              ;   in Loop: Header=BB6_310 Depth=3
	s_or_b32 exec_lo, exec_lo, s37
	;;#ASMSTART
	s_wakeup
	;;#ASMEND
.LBB6_358:                              ;   in Loop: Header=BB6_310 Depth=3
	s_or_b32 exec_lo, exec_lo, s36
.LBB6_359:                              ;   in Loop: Header=BB6_310 Depth=3
	s_and_not1_saveexec_b32 s15, s15
	s_cbranch_execz .LBB6_361
; %bb.360:                              ;   in Loop: Header=BB6_310 Depth=3
	s_waitcnt lgkmcnt(0)
	s_waitcnt_vscnt null, 0x0
	buffer_gl1_inv
	buffer_gl0_inv
	s_barrier
.LBB6_361:                              ;   in Loop: Header=BB6_310 Depth=3
	s_or_b32 exec_lo, exec_lo, s15
.LBB6_362:                              ;   in Loop: Header=BB6_310 Depth=3
	v_writelane_b32 v56, s31, 3
	v_writelane_b32 v56, s35, 6
	v_writelane_b32 v56, s16, 7
	v_writelane_b32 v56, s34, 5
	v_writelane_b32 v56, s14, 4
	s_or_b32 exec_lo, exec_lo, s13
	s_cbranch_execnz .LBB6_3528
; %bb.363:                              ;   in Loop: Header=BB6_310 Depth=3
	ds_load_b32 v8, v0
	v_and_b32_e32 v2, 0x4000, v30
	s_xor_b32 s13, s2, -1
	s_delay_alu instid0(VALU_DEP_1) | instskip(SKIP_1) | instid1(SALU_CYCLE_1)
	v_cmp_ne_u32_e32 vcc_lo, 0, v2
	s_and_b32 s14, s13, vcc_lo
	s_and_saveexec_b32 s13, s14
	s_cbranch_execz .LBB6_385
; %bb.364:                              ;   in Loop: Header=BB6_310 Depth=3
	s_and_saveexec_b32 s14, s4
	s_delay_alu instid0(SALU_CYCLE_1)
	s_xor_b32 s14, exec_lo, s14
	s_cbranch_execz .LBB6_382
; %bb.365:                              ;   in Loop: Header=BB6_310 Depth=3
	s_and_saveexec_b32 s15, s1
	s_cbranch_execz .LBB6_381
; %bb.366:                              ;   in Loop: Header=BB6_310 Depth=3
	s_mov_b32 s31, exec_lo
	s_mov_b32 s16, exec_lo
	v_mbcnt_lo_u32_b32 v2, s31, 0
	s_waitcnt lgkmcnt(0)
	s_waitcnt_vscnt null, 0x0
	buffer_gl1_inv
	buffer_gl0_inv
	v_cmpx_eq_u32_e32 0, v2
	s_cbranch_execz .LBB6_368
; %bb.367:                              ;   in Loop: Header=BB6_310 Depth=3
	s_bcnt1_i32_b32 vcc_lo, s31
	s_delay_alu instid0(SALU_CYCLE_1)
	v_mov_b32_e32 v2, vcc_lo
	ds_add_u64 v0, v[2:3]
	s_cbranch_execnz .LBB6_3693
.LBB6_368:                              ;   in Loop: Header=BB6_310 Depth=3
	s_or_b32 exec_lo, exec_lo, s16
	s_cbranch_execnz .LBB6_3683
; %bb.369:                              ;   in Loop: Header=BB6_310 Depth=3
	ds_load_b64 v[9:10], v0
	v_add_co_u32 v80, vcc_lo, v80, v145
	v_add_co_ci_u32_e32 v81, vcc_lo, 0, v81, vcc_lo
	s_mov_b32 s16, exec_lo
	s_waitcnt lgkmcnt(0)
	s_delay_alu instid0(VALU_DEP_1)
	v_cmpx_lt_u64_e64 v[9:10], v[80:81]
	s_cbranch_execz .LBB6_380
; %bb.370:                              ;   in Loop: Header=BB6_310 Depth=3
	s_mov_b32 s31, 0
	s_mov_b32 s36, 0
                                        ; implicit-def: $sgpr34
                                        ; implicit-def: $sgpr35
	s_branch .LBB6_372
.LBB6_371:                              ;   in Loop: Header=BB6_372 Depth=4
	s_or_b32 exec_lo, exec_lo, s38
	s_delay_alu instid0(SALU_CYCLE_1) | instskip(NEXT) | instid1(SALU_CYCLE_1)
	s_and_b32 vcc_lo, exec_lo, vcc_lo
	s_or_b32 s31, vcc_lo, s31
	s_and_not1_b32 vcc_lo, s34, exec_lo
	s_and_b32 s34, s35, exec_lo
	s_delay_alu instid0(SALU_CYCLE_1)
	s_or_b32 s34, vcc_lo, s34
	s_and_not1_b32 exec_lo, exec_lo, s31
	s_cbranch_execz .LBB6_378
.LBB6_372:                              ;   Parent Loop BB6_51 Depth=1
                                        ;     Parent Loop BB6_308 Depth=2
                                        ;       Parent Loop BB6_310 Depth=3
                                        ; =>      This Inner Loop Header: Depth=4
	s_add_i32 s36, s36, 1
                                        ; implicit-def: $sgpr38
	s_delay_alu instid0(SALU_CYCLE_1) | instskip(SKIP_1) | instid1(SALU_CYCLE_1)
	s_cmpk_lg_i32 s36, 0x2710
	s_cselect_b32 s37, -1, 0
	s_and_b32 vcc_lo, exec_lo, s37
	s_cbranch_vccz .LBB6_376
.LBB6_373:                              ;   in Loop: Header=BB6_372 Depth=4
	s_and_not1_b32 s35, s35, exec_lo
	s_and_b32 s38, s38, exec_lo
	s_mov_b32 vcc_lo, -1
	s_or_b32 s35, s35, s38
	s_and_saveexec_b32 s38, s37
	s_cbranch_execz .LBB6_371
; %bb.374:                              ;   in Loop: Header=BB6_372 Depth=4
	s_sleep 1
	s_cbranch_execnz .LBB6_3755
; %bb.375:                              ;   in Loop: Header=BB6_372 Depth=4
	ds_load_b64 v[9:10], v0
	s_and_not1_b32 s35, s35, exec_lo
	s_waitcnt lgkmcnt(0)
	v_cmp_ge_u64_e32 vcc_lo, v[9:10], v[80:81]
	s_or_not1_b32 vcc_lo, vcc_lo, exec_lo
	s_branch .LBB6_371
.LBB6_376:                              ;   in Loop: Header=BB6_372 Depth=4
	s_cbranch_execnz .LBB6_3769
; %bb.377:                              ;   in Loop: Header=BB6_372 Depth=4
	ds_load_b64 v[9:10], v0
	s_and_not1_b32 s37, s37, exec_lo
	s_mov_b32 s36, 0
	s_mov_b32 s38, -1
	s_waitcnt lgkmcnt(0)
	flat_load_b32 v2, v[9:10] glc
	s_waitcnt vmcnt(0) lgkmcnt(0)
	buffer_gl1_inv
	buffer_gl0_inv
	v_cmp_eq_u32_e32 vcc_lo, 0, v2
	s_and_b32 vcc_lo, vcc_lo, exec_lo
	s_delay_alu instid0(SALU_CYCLE_1)
	s_or_b32 s37, s37, vcc_lo
	s_branch .LBB6_373
.LBB6_378:                              ;   in Loop: Header=BB6_310 Depth=3
	s_or_b32 exec_lo, exec_lo, s31
	s_and_saveexec_b32 vcc_lo, s34
	s_delay_alu instid0(SALU_CYCLE_1)
	s_xor_b32 vcc_lo, exec_lo, vcc_lo
	s_cbranch_execz .LBB6_380
; %bb.379:                              ;   in Loop: Header=BB6_310 Depth=3
	ds_store_b32 v0, v182
	s_cbranch_execnz .LBB6_3951
.LBB6_380:                              ;   in Loop: Header=BB6_310 Depth=3
	s_or_b32 exec_lo, exec_lo, s16
	;;#ASMSTART
	s_wakeup
	;;#ASMEND
.LBB6_381:                              ;   in Loop: Header=BB6_310 Depth=3
	s_or_b32 exec_lo, exec_lo, s15
.LBB6_382:                              ;   in Loop: Header=BB6_310 Depth=3
	s_and_not1_saveexec_b32 s14, s14
	s_cbranch_execz .LBB6_384
; %bb.383:                              ;   in Loop: Header=BB6_310 Depth=3
	s_waitcnt lgkmcnt(0)
	s_waitcnt_vscnt null, 0x0
	buffer_gl1_inv
	buffer_gl0_inv
	s_barrier
.LBB6_384:                              ;   in Loop: Header=BB6_310 Depth=3
	s_or_b32 exec_lo, exec_lo, s14
.LBB6_385:                              ;   in Loop: Header=BB6_310 Depth=3
	s_delay_alu instid0(SALU_CYCLE_1)
	s_or_b32 exec_lo, exec_lo, s13
	s_cbranch_execnz .LBB6_3571
; %bb.386:                              ;   in Loop: Header=BB6_310 Depth=3
	ds_load_b64 v[9:10], v0
	v_mov_b32_e32 v103, 0
	s_waitcnt lgkmcnt(0)
	v_cmp_eq_u64_e32 vcc_lo, 0, v[9:10]
	s_or_b32 s13, vcc_lo, vcc_lo
	s_delay_alu instid0(SALU_CYCLE_1)
	s_and_b32 vcc_lo, exec_lo, s13
	s_cbranch_vccnz .LBB6_1106
; %bb.387:                              ;   in Loop: Header=BB6_310 Depth=3
	s_cbranch_execnz .LBB6_3625
; %bb.388:                              ;   in Loop: Header=BB6_310 Depth=3
	ds_load_b64 v[9:10], v0
	s_mov_b32 s13, -1
	s_waitcnt lgkmcnt(0)
	v_readfirstlane_b32 s31, v9
	s_and_saveexec_b32 s14, s12
	s_cbranch_execz .LBB6_390
; %bb.389:                              ;   in Loop: Header=BB6_310 Depth=3
	ds_load_b32 v2, v0 offset:720
	s_waitcnt lgkmcnt(0)
	v_and_b32_e32 v2, 15, v2
	s_delay_alu instid0(VALU_DEP_1)
	v_cmp_eq_u32_e32 vcc_lo, 0, v2
	s_or_not1_b32 s13, vcc_lo, exec_lo
.LBB6_390:                              ;   in Loop: Header=BB6_310 Depth=3
	s_or_b32 exec_lo, exec_lo, s14
	s_and_saveexec_b32 s14, s6
	s_cbranch_execz .LBB6_392
; %bb.391:                              ;   in Loop: Header=BB6_310 Depth=3
	ds_load_b32 v2, v0 offset:784
	s_waitcnt lgkmcnt(0)
	v_and_b32_e32 v2, 15, v2
	s_delay_alu instid0(VALU_DEP_1) | instskip(SKIP_3) | instid1(SALU_CYCLE_1)
	v_cmp_eq_u32_e32 vcc_lo, 0, v2
	s_and_b32 s15, s13, vcc_lo
	s_and_not1_b32 s13, s13, exec_lo
	s_and_b32 s15, s15, exec_lo
	s_or_b32 s13, s13, s15
.LBB6_392:                              ;   in Loop: Header=BB6_310 Depth=3
	s_or_b32 exec_lo, exec_lo, s14
	v_cmp_eq_u32_e32 vcc_lo, 0, v8
	s_xor_b32 s13, s13, -1
	v_mov_b32_e32 v14, 0
	v_cndmask_b32_e64 v2, 0, 1, s13
	;;#ASMSTART
	;;#ASMEND
	v_cndmask_b32_e32 v103, 0, v102, vcc_lo
	s_delay_alu instid0(VALU_DEP_2) | instskip(SKIP_1) | instid1(VALU_DEP_2)
	v_cmp_ne_u32_e32 vcc_lo, 0, v2
	s_mov_b32 s13, -1
	v_lshlrev_b32_e32 v2, 1, v103
	s_cbranch_vccz .LBB6_394
; %bb.393:                              ;   in Loop: Header=BB6_310 Depth=3
	v_dual_mov_b32 v15, v0 :: v_dual_mov_b32 v8, v135
	s_branch .LBB6_889
.LBB6_394:                              ;   in Loop: Header=BB6_310 Depth=3
	s_delay_alu instid0(VALU_DEP_1) | instskip(SKIP_1) | instid1(VALU_DEP_1)
	v_ashrrev_i32_e32 v8, 31, v2
	s_mov_b32 s16, exec_lo
	v_lshrrev_b32_e32 v8, 21, v8
	s_delay_alu instid0(VALU_DEP_1) | instskip(NEXT) | instid1(VALU_DEP_1)
	v_add_nc_u32_e32 v8, v2, v8
	v_ashrrev_i32_e32 v131, 11, v8
	s_delay_alu instid0(VALU_DEP_1) | instskip(NEXT) | instid1(VALU_DEP_1)
	v_sub_nc_u32_e32 v113, v131, v135
	v_cmpx_lt_i32_e32 0, v113
	s_cbranch_execz .LBB6_783
; %bb.395:                              ;   in Loop: Header=BB6_310 Depth=3
	s_cbranch_execnz .LBB6_3767
; %bb.396:                              ;   in Loop: Header=BB6_310 Depth=3
	ds_load_b128 v[8:11], v0
	ds_load_b64 v[12:13], v0
	s_bitcmp1_b32 s31, 0
	s_mov_b32 s34, 0
	s_cselect_b32 s35, -1, 0
	s_waitcnt lgkmcnt(1)
	v_add_co_u32 v116, vcc_lo, v8, v178
	v_add_co_ci_u32_e32 v117, vcc_lo, v9, v179, vcc_lo
	v_add_co_u32 v118, vcc_lo, v10, v178
	v_add_co_ci_u32_e32 v119, vcc_lo, v11, v179, vcc_lo
	s_waitcnt lgkmcnt(0)
	v_add_co_u32 v128, vcc_lo, v12, v178
	v_add_co_ci_u32_e32 v129, vcc_lo, v13, v179, vcc_lo
	s_branch .LBB6_400
.LBB6_397:                              ;   in Loop: Header=BB6_400 Depth=4
	s_or_b32 exec_lo, exec_lo, s36
	s_delay_alu instid0(VALU_DEP_1)
	v_mov_b32_e32 v42, v40
.LBB6_398:                              ;   in Loop: Header=BB6_400 Depth=4
	s_or_b32 exec_lo, exec_lo, s15
	s_delay_alu instid0(VALU_DEP_1)
	v_mov_b32_e32 v11, v42
.LBB6_399:                              ;   in Loop: Header=BB6_400 Depth=4
	v_lshlrev_b32_e32 v15, 16, v20
	v_and_b32_e32 v17, 0xffff, v17
	v_lshlrev_b32_e32 v16, 16, v16
	v_and_b32_e32 v20, 0xffff, v35
	;; [unrolled: 2-line block ×3, first 2 shown]
	v_and_b32_e32 v25, 0xffff, v25
	v_lshlrev_b32_e32 v8, 16, v8
	v_or_b32_e32 v20, v16, v20
	v_or3_b32 v16, v15, v17, 0
	v_or_b32_e32 v17, v18, v21
	v_lshlrev_b32_e32 v18, 16, v19
	v_and_b32_e32 v19, 0xffff, v22
	v_lshlrev_b32_e32 v21, 16, v32
	v_lshlrev_b32_e32 v22, 16, v24
	v_and_b32_e32 v24, 0xffff, v51
	v_or3_b32 v15, 0, 0, v20
	v_or3_b32 v18, v18, v19, 0
	;; [unrolled: 1-line block ×3, first 2 shown]
	v_lshlrev_b32_e32 v21, 16, v26
	v_or_b32_e32 v19, v22, v24
	v_and_b32_e32 v22, 0xffff, v33
	v_lshlrev_b32_e32 v24, 16, v27
	v_and_b32_e32 v25, 0xffff, v34
	v_lshlrev_b32_e32 v26, 16, v36
	v_and_b32_e32 v27, 0xffff, v183
	v_or_b32_e32 v21, v21, v22
	v_and_b32_e32 v32, 0xffff, v49
	v_or3_b32 v22, v24, v25, 0
	v_lshlrev_b32_e32 v24, 16, v48
	v_and_b32_e32 v25, 0xffff, v37
	v_or_b32_e32 v26, v26, v27
	v_lshlrev_b32_e32 v27, 16, v50
	v_and_b32_e32 v23, 0xffff, v23
	v_lshlrev_b32_e32 v10, 16, v10
	v_and_b32_e32 v13, 0xffff, v13
	;; [unrolled: 2-line block ×3, first 2 shown]
	v_or3_b32 v25, v24, v25, 0
	v_or3_b32 v24, 0, 0, v26
	v_or_b32_e32 v26, v27, v32
	v_lshlrev_b32_e32 v12, 16, v12
	v_and_b32_e32 v9, 0xffff, v9
	v_or_b32_e32 v8, v8, v23
	v_lshlrev_b32_e32 v11, 16, v11
	v_and_b32_e32 v14, 0xffff, v14
	v_or_b32_e32 v10, v10, v13
	v_add_co_u32 v116, vcc_lo, v116, v180
	v_or3_b32 v27, v33, v34, 0
	v_or3_b32 v26, 0, 0, v26
	v_sub_nc_u32_e32 v113, v113, v145
	v_or3_b32 v19, 0, 0, v19
	v_or3_b32 v21, 0, 0, v21
	v_add_co_ci_u32_e32 v117, vcc_lo, v117, v181, vcc_lo
	v_or3_b32 v17, 0, 0, v17
	v_add_co_u32 v118, vcc_lo, v118, v180
	v_or3_b32 v9, v12, v9, 0
	v_or3_b32 v8, 0, 0, v8
	;; [unrolled: 1-line block ×4, first 2 shown]
	v_add_co_ci_u32_e32 v119, vcc_lo, v119, v181, vcc_lo
	s_clause 0x3
	global_store_b128 v[128:129], v[24:27], off glc slc dlc
	global_store_b128 v[128:129], v[19:22], off offset:512 glc slc dlc
	global_store_b128 v[128:129], v[15:18], off offset:1024 glc slc dlc
	global_store_b128 v[128:129], v[8:11], off offset:1536 glc slc dlc
	v_cmp_gt_i32_e32 vcc_lo, 1, v113
	v_add_co_u32 v128, s13, v128, v180
	s_delay_alu instid0(VALU_DEP_1) | instskip(SKIP_1) | instid1(SALU_CYCLE_1)
	v_add_co_ci_u32_e64 v129, s13, v129, v181, s13
	s_or_b32 s34, vcc_lo, s34
	s_and_not1_b32 exec_lo, exec_lo, s34
	s_cbranch_execz .LBB6_782
.LBB6_400:                              ;   Parent Loop BB6_51 Depth=1
                                        ;     Parent Loop BB6_308 Depth=2
                                        ;       Parent Loop BB6_310 Depth=3
                                        ; =>      This Inner Loop Header: Depth=4
	global_load_b128 v[48:51], v[116:117], off slc dlc
	global_load_b128 v[36:39], v[118:119], off slc dlc
	s_clause 0x2
	global_load_b128 v[32:35], v[116:117], off offset:512 slc dlc
	global_load_b128 v[20:23], v[116:117], off offset:1024 slc dlc
	;; [unrolled: 1-line block ×3, first 2 shown]
	s_clause 0x2
	global_load_b128 v[24:27], v[118:119], off offset:512 slc dlc
	global_load_b128 v[16:19], v[118:119], off offset:1024 slc dlc
	;; [unrolled: 1-line block ×3, first 2 shown]
	s_mov_b32 s15, -1
	s_and_b32 vcc_lo, exec_lo, s35
	s_waitcnt vmcnt(7)
	v_and_b32_e32 v183, 0x7fff, v48
	s_waitcnt vmcnt(6)
	v_and_b32_e32 v40, 0x7fff, v36
	v_perm_b32 v41, v36, v48, 0x5040100
	s_delay_alu instid0(VALU_DEP_3) | instskip(NEXT) | instid1(VALU_DEP_3)
	v_cmp_lt_u16_e64 s13, 0x7c00, v183
	v_cmp_gt_u16_e64 s14, 0x7c01, v40
                                        ; implicit-def: $vgpr183
	s_delay_alu instid0(VALU_DEP_1) | instskip(NEXT) | instid1(SALU_CYCLE_1)
	s_and_b32 s36, s13, s14
	s_xor_b32 s36, s36, -1
	s_cbranch_vccz .LBB6_406
; %bb.401:                              ;   in Loop: Header=BB6_400 Depth=4
	v_mov_b32_e32 v183, v36
	s_and_saveexec_b32 s37, s36
	s_cbranch_execz .LBB6_405
; %bb.402:                              ;   in Loop: Header=BB6_400 Depth=4
	v_mov_b32_e32 v183, v48
	s_or_b32 s15, s13, s14
	s_delay_alu instid0(SALU_CYCLE_1)
	s_and_saveexec_b32 s38, s15
; %bb.403:                              ;   in Loop: Header=BB6_400 Depth=4
	v_lshrrev_b32_e32 v183, 16, v41
	v_cmp_lt_u16_e32 vcc_lo, 0x7c00, v40
	s_delay_alu instid0(VALU_DEP_2) | instskip(NEXT) | instid1(VALU_DEP_1)
	v_cmp_gt_f16_e64 s15, v41, v183
	v_cndmask_b32_e64 v183, v183, v41, s15
	s_and_b32 s15, s13, vcc_lo
	s_delay_alu instid0(VALU_DEP_1) | instid1(SALU_CYCLE_1)
	v_cndmask_b32_e64 v183, v183, 0x7fff, s15
; %bb.404:                              ;   in Loop: Header=BB6_400 Depth=4
	s_or_b32 exec_lo, exec_lo, s38
.LBB6_405:                              ;   in Loop: Header=BB6_400 Depth=4
	s_delay_alu instid0(SALU_CYCLE_1)
	s_or_b32 exec_lo, exec_lo, s37
	s_mov_b32 s15, 0
.LBB6_406:                              ;   in Loop: Header=BB6_400 Depth=4
	s_delay_alu instid0(SALU_CYCLE_1)
	s_and_not1_b32 vcc_lo, exec_lo, s15
	s_cbranch_vccnz .LBB6_412
; %bb.407:                              ;   in Loop: Header=BB6_400 Depth=4
	v_mov_b32_e32 v183, v36
	s_and_saveexec_b32 s15, s36
	s_cbranch_execz .LBB6_411
; %bb.408:                              ;   in Loop: Header=BB6_400 Depth=4
	v_mov_b32_e32 v183, v48
	s_or_b32 s14, s13, s14
	s_delay_alu instid0(SALU_CYCLE_1)
	s_and_saveexec_b32 s36, s14
; %bb.409:                              ;   in Loop: Header=BB6_400 Depth=4
	v_lshrrev_b32_e32 v183, 16, v41
	v_cmp_lt_u16_e32 vcc_lo, 0x7c00, v40
	s_delay_alu instid0(VALU_DEP_2) | instskip(SKIP_1) | instid1(VALU_DEP_1)
	v_cmp_gt_f16_e64 s14, v41, v183
	s_and_b32 s13, s13, vcc_lo
	v_cndmask_b32_e64 v183, v41, v183, s14
	s_delay_alu instid0(VALU_DEP_1)
	v_cndmask_b32_e64 v183, v183, 0x7fff, s13
; %bb.410:                              ;   in Loop: Header=BB6_400 Depth=4
	s_or_b32 exec_lo, exec_lo, s36
.LBB6_411:                              ;   in Loop: Header=BB6_400 Depth=4
	s_delay_alu instid0(SALU_CYCLE_1)
	s_or_b32 exec_lo, exec_lo, s15
.LBB6_412:                              ;   in Loop: Header=BB6_400 Depth=4
	v_mov_b32_e32 v43, v48
	v_mov_b32_e32 v44, v36
	;; [unrolled: 1-line block ×4, first 2 shown]
	s_mov_b32 s15, -1
	v_lshrrev_b32_e32 v40, 16, v43
	v_lshrrev_b32_e32 v42, 16, v44
	s_and_b32 vcc_lo, exec_lo, s35
	s_delay_alu instid0(VALU_DEP_2) | instskip(NEXT) | instid1(VALU_DEP_2)
	v_and_b32_e32 v36, 0x7fff, v40
	v_and_b32_e32 v41, 0x7fff, v42
	v_perm_b32 v37, v44, v43, 0x7060302
	s_delay_alu instid0(VALU_DEP_3) | instskip(NEXT) | instid1(VALU_DEP_3)
	v_cmp_lt_u16_e64 s13, 0x7c00, v36
	v_cmp_gt_u16_e64 s14, 0x7c01, v41
                                        ; implicit-def: $vgpr36
	s_delay_alu instid0(VALU_DEP_1) | instskip(NEXT) | instid1(SALU_CYCLE_1)
	s_and_b32 s36, s13, s14
	s_xor_b32 s36, s36, -1
	s_cbranch_vccz .LBB6_418
; %bb.413:                              ;   in Loop: Header=BB6_400 Depth=4
	v_mov_b32_e32 v36, v42
	s_and_saveexec_b32 s37, s36
	s_cbranch_execz .LBB6_417
; %bb.414:                              ;   in Loop: Header=BB6_400 Depth=4
	v_mov_b32_e32 v36, v40
	s_or_b32 s15, s13, s14
	s_delay_alu instid0(SALU_CYCLE_1)
	s_and_saveexec_b32 s38, s15
; %bb.415:                              ;   in Loop: Header=BB6_400 Depth=4
	v_lshrrev_b32_e32 v36, 16, v37
	v_cmp_lt_u16_e32 vcc_lo, 0x7c00, v41
	s_delay_alu instid0(VALU_DEP_2) | instskip(NEXT) | instid1(VALU_DEP_1)
	v_cmp_gt_f16_e64 s15, v37, v36
	v_cndmask_b32_e64 v36, v36, v37, s15
	s_and_b32 s15, s13, vcc_lo
	s_delay_alu instid0(VALU_DEP_1) | instid1(SALU_CYCLE_1)
	v_cndmask_b32_e64 v36, v36, 0x7fff, s15
; %bb.416:                              ;   in Loop: Header=BB6_400 Depth=4
	s_or_b32 exec_lo, exec_lo, s38
.LBB6_417:                              ;   in Loop: Header=BB6_400 Depth=4
	s_delay_alu instid0(SALU_CYCLE_1)
	s_or_b32 exec_lo, exec_lo, s37
	s_mov_b32 s15, 0
.LBB6_418:                              ;   in Loop: Header=BB6_400 Depth=4
	s_delay_alu instid0(SALU_CYCLE_1)
	s_and_not1_b32 vcc_lo, exec_lo, s15
	s_cbranch_vccnz .LBB6_424
; %bb.419:                              ;   in Loop: Header=BB6_400 Depth=4
	s_and_saveexec_b32 s15, s36
	s_cbranch_execz .LBB6_423
; %bb.420:                              ;   in Loop: Header=BB6_400 Depth=4
	s_or_b32 s14, s13, s14
	s_delay_alu instid0(SALU_CYCLE_1)
	s_and_saveexec_b32 s36, s14
; %bb.421:                              ;   in Loop: Header=BB6_400 Depth=4
	v_lshrrev_b32_e32 v36, 16, v37
	v_cmp_lt_u16_e32 vcc_lo, 0x7c00, v41
	s_delay_alu instid0(VALU_DEP_2) | instskip(SKIP_1) | instid1(VALU_DEP_1)
	v_cmp_gt_f16_e64 s14, v37, v36
	s_and_b32 s13, s13, vcc_lo
	v_cndmask_b32_e64 v36, v37, v36, s14
	s_delay_alu instid0(VALU_DEP_1)
	v_cndmask_b32_e64 v40, v36, 0x7fff, s13
; %bb.422:                              ;   in Loop: Header=BB6_400 Depth=4
	s_or_b32 exec_lo, exec_lo, s36
	s_delay_alu instid0(VALU_DEP_1)
	v_mov_b32_e32 v42, v40
.LBB6_423:                              ;   in Loop: Header=BB6_400 Depth=4
	s_or_b32 exec_lo, exec_lo, s15
	s_delay_alu instid0(VALU_DEP_1)
	v_mov_b32_e32 v36, v42
.LBB6_424:                              ;   in Loop: Header=BB6_400 Depth=4
	v_and_b32_e32 v37, 0x7fff, v48
	v_and_b32_e32 v40, 0x7fff, v49
	v_perm_b32 v41, v49, v48, 0x5040100
	s_mov_b32 s15, -1
	s_and_b32 vcc_lo, exec_lo, s35
	v_cmp_lt_u16_e64 s13, 0x7c00, v37
	v_cmp_gt_u16_e64 s14, 0x7c01, v40
                                        ; implicit-def: $vgpr37
	s_delay_alu instid0(VALU_DEP_1) | instskip(NEXT) | instid1(SALU_CYCLE_1)
	s_and_b32 s36, s13, s14
	s_xor_b32 s36, s36, -1
	s_cbranch_vccz .LBB6_430
; %bb.425:                              ;   in Loop: Header=BB6_400 Depth=4
	v_mov_b32_e32 v37, v49
	s_and_saveexec_b32 s37, s36
	s_cbranch_execz .LBB6_429
; %bb.426:                              ;   in Loop: Header=BB6_400 Depth=4
	v_mov_b32_e32 v37, v48
	s_or_b32 s15, s13, s14
	s_delay_alu instid0(SALU_CYCLE_1)
	s_and_saveexec_b32 s38, s15
; %bb.427:                              ;   in Loop: Header=BB6_400 Depth=4
	v_lshrrev_b32_e32 v37, 16, v41
	v_cmp_lt_u16_e32 vcc_lo, 0x7c00, v40
	s_delay_alu instid0(VALU_DEP_2) | instskip(NEXT) | instid1(VALU_DEP_1)
	v_cmp_gt_f16_e64 s15, v41, v37
	v_cndmask_b32_e64 v37, v37, v41, s15
	s_and_b32 s15, s13, vcc_lo
	s_delay_alu instid0(VALU_DEP_1) | instid1(SALU_CYCLE_1)
	v_cndmask_b32_e64 v37, v37, 0x7fff, s15
; %bb.428:                              ;   in Loop: Header=BB6_400 Depth=4
	s_or_b32 exec_lo, exec_lo, s38
.LBB6_429:                              ;   in Loop: Header=BB6_400 Depth=4
	s_delay_alu instid0(SALU_CYCLE_1)
	s_or_b32 exec_lo, exec_lo, s37
	s_mov_b32 s15, 0
.LBB6_430:                              ;   in Loop: Header=BB6_400 Depth=4
	s_delay_alu instid0(SALU_CYCLE_1)
	s_and_not1_b32 vcc_lo, exec_lo, s15
	s_cbranch_vccnz .LBB6_436
; %bb.431:                              ;   in Loop: Header=BB6_400 Depth=4
	v_mov_b32_e32 v37, v49
	s_and_saveexec_b32 s15, s36
	s_cbranch_execz .LBB6_435
; %bb.432:                              ;   in Loop: Header=BB6_400 Depth=4
	v_mov_b32_e32 v37, v48
	s_or_b32 s14, s13, s14
	s_delay_alu instid0(SALU_CYCLE_1)
	s_and_saveexec_b32 s36, s14
; %bb.433:                              ;   in Loop: Header=BB6_400 Depth=4
	v_lshrrev_b32_e32 v37, 16, v41
	v_cmp_lt_u16_e32 vcc_lo, 0x7c00, v40
	s_delay_alu instid0(VALU_DEP_2) | instskip(SKIP_1) | instid1(VALU_DEP_1)
	v_cmp_gt_f16_e64 s14, v41, v37
	s_and_b32 s13, s13, vcc_lo
	v_cndmask_b32_e64 v37, v41, v37, s14
	s_delay_alu instid0(VALU_DEP_1)
	v_cndmask_b32_e64 v37, v37, 0x7fff, s13
; %bb.434:                              ;   in Loop: Header=BB6_400 Depth=4
	s_or_b32 exec_lo, exec_lo, s36
.LBB6_435:                              ;   in Loop: Header=BB6_400 Depth=4
	s_delay_alu instid0(SALU_CYCLE_1)
	s_or_b32 exec_lo, exec_lo, s15
.LBB6_436:                              ;   in Loop: Header=BB6_400 Depth=4
	v_lshrrev_b32_e32 v40, 16, v48
	v_lshrrev_b32_e32 v42, 16, v49
	v_perm_b32 v49, v49, v48, 0x7060302
	s_mov_b32 s15, -1
	s_and_b32 vcc_lo, exec_lo, s35
	v_and_b32_e32 v43, 0x7fff, v40
	v_and_b32_e32 v41, 0x7fff, v42
                                        ; implicit-def: $vgpr48
	s_delay_alu instid0(VALU_DEP_2) | instskip(NEXT) | instid1(VALU_DEP_2)
	v_cmp_lt_u16_e64 s13, 0x7c00, v43
	v_cmp_gt_u16_e64 s14, 0x7c01, v41
	s_delay_alu instid0(VALU_DEP_1) | instskip(NEXT) | instid1(SALU_CYCLE_1)
	s_and_b32 s36, s13, s14
	s_xor_b32 s36, s36, -1
	s_cbranch_vccz .LBB6_442
; %bb.437:                              ;   in Loop: Header=BB6_400 Depth=4
	v_mov_b32_e32 v48, v42
	s_and_saveexec_b32 s37, s36
	s_cbranch_execz .LBB6_441
; %bb.438:                              ;   in Loop: Header=BB6_400 Depth=4
	v_mov_b32_e32 v48, v40
	s_or_b32 s15, s13, s14
	s_delay_alu instid0(SALU_CYCLE_1)
	s_and_saveexec_b32 s38, s15
; %bb.439:                              ;   in Loop: Header=BB6_400 Depth=4
	v_lshrrev_b32_e32 v48, 16, v49
	v_cmp_lt_u16_e32 vcc_lo, 0x7c00, v41
	s_delay_alu instid0(VALU_DEP_2) | instskip(NEXT) | instid1(VALU_DEP_1)
	v_cmp_gt_f16_e64 s15, v49, v48
	v_cndmask_b32_e64 v48, v48, v49, s15
	s_and_b32 s15, s13, vcc_lo
	s_delay_alu instid0(VALU_DEP_1) | instid1(SALU_CYCLE_1)
	v_cndmask_b32_e64 v48, v48, 0x7fff, s15
; %bb.440:                              ;   in Loop: Header=BB6_400 Depth=4
	s_or_b32 exec_lo, exec_lo, s38
.LBB6_441:                              ;   in Loop: Header=BB6_400 Depth=4
	s_delay_alu instid0(SALU_CYCLE_1)
	s_or_b32 exec_lo, exec_lo, s37
	s_mov_b32 s15, 0
.LBB6_442:                              ;   in Loop: Header=BB6_400 Depth=4
	s_delay_alu instid0(SALU_CYCLE_1)
	s_and_not1_b32 vcc_lo, exec_lo, s15
	s_cbranch_vccnz .LBB6_448
; %bb.443:                              ;   in Loop: Header=BB6_400 Depth=4
	s_and_saveexec_b32 s15, s36
	s_cbranch_execz .LBB6_447
; %bb.444:                              ;   in Loop: Header=BB6_400 Depth=4
	s_or_b32 s14, s13, s14
	s_delay_alu instid0(SALU_CYCLE_1)
	s_and_saveexec_b32 s36, s14
; %bb.445:                              ;   in Loop: Header=BB6_400 Depth=4
	v_lshrrev_b32_e32 v48, 16, v49
	v_cmp_lt_u16_e32 vcc_lo, 0x7c00, v41
	s_delay_alu instid0(VALU_DEP_2) | instskip(SKIP_1) | instid1(VALU_DEP_1)
	v_cmp_gt_f16_e64 s14, v49, v48
	s_and_b32 s13, s13, vcc_lo
	v_cndmask_b32_e64 v48, v49, v48, s14
	s_delay_alu instid0(VALU_DEP_1)
	v_cndmask_b32_e64 v40, v48, 0x7fff, s13
; %bb.446:                              ;   in Loop: Header=BB6_400 Depth=4
	s_or_b32 exec_lo, exec_lo, s36
	s_delay_alu instid0(VALU_DEP_1)
	v_mov_b32_e32 v42, v40
.LBB6_447:                              ;   in Loop: Header=BB6_400 Depth=4
	s_or_b32 exec_lo, exec_lo, s15
	s_delay_alu instid0(VALU_DEP_1)
	v_mov_b32_e32 v48, v42
.LBB6_448:                              ;   in Loop: Header=BB6_400 Depth=4
	v_and_b32_e32 v49, 0x7fff, v50
	v_and_b32_e32 v40, 0x7fff, v38
	v_perm_b32 v41, v38, v50, 0x5040100
	s_mov_b32 s15, -1
	s_and_b32 vcc_lo, exec_lo, s35
	v_cmp_lt_u16_e64 s13, 0x7c00, v49
	v_cmp_gt_u16_e64 s14, 0x7c01, v40
                                        ; implicit-def: $vgpr49
	s_delay_alu instid0(VALU_DEP_1) | instskip(NEXT) | instid1(SALU_CYCLE_1)
	s_and_b32 s36, s13, s14
	s_xor_b32 s36, s36, -1
	s_cbranch_vccz .LBB6_454
; %bb.449:                              ;   in Loop: Header=BB6_400 Depth=4
	v_mov_b32_e32 v49, v38
	s_and_saveexec_b32 s37, s36
	s_cbranch_execz .LBB6_453
; %bb.450:                              ;   in Loop: Header=BB6_400 Depth=4
	v_mov_b32_e32 v49, v50
	s_or_b32 s15, s13, s14
	s_delay_alu instid0(SALU_CYCLE_1)
	s_and_saveexec_b32 s38, s15
; %bb.451:                              ;   in Loop: Header=BB6_400 Depth=4
	v_lshrrev_b32_e32 v49, 16, v41
	v_cmp_lt_u16_e32 vcc_lo, 0x7c00, v40
	s_delay_alu instid0(VALU_DEP_2) | instskip(NEXT) | instid1(VALU_DEP_1)
	v_cmp_gt_f16_e64 s15, v41, v49
	v_cndmask_b32_e64 v49, v49, v41, s15
	s_and_b32 s15, s13, vcc_lo
	s_delay_alu instid0(VALU_DEP_1) | instid1(SALU_CYCLE_1)
	v_cndmask_b32_e64 v49, v49, 0x7fff, s15
; %bb.452:                              ;   in Loop: Header=BB6_400 Depth=4
	s_or_b32 exec_lo, exec_lo, s38
.LBB6_453:                              ;   in Loop: Header=BB6_400 Depth=4
	s_delay_alu instid0(SALU_CYCLE_1)
	s_or_b32 exec_lo, exec_lo, s37
	s_mov_b32 s15, 0
.LBB6_454:                              ;   in Loop: Header=BB6_400 Depth=4
	s_delay_alu instid0(SALU_CYCLE_1)
	s_and_not1_b32 vcc_lo, exec_lo, s15
	s_cbranch_vccnz .LBB6_460
; %bb.455:                              ;   in Loop: Header=BB6_400 Depth=4
	v_mov_b32_e32 v49, v38
	s_and_saveexec_b32 s15, s36
	s_cbranch_execz .LBB6_459
; %bb.456:                              ;   in Loop: Header=BB6_400 Depth=4
	v_mov_b32_e32 v49, v50
	s_or_b32 s14, s13, s14
	s_delay_alu instid0(SALU_CYCLE_1)
	s_and_saveexec_b32 s36, s14
; %bb.457:                              ;   in Loop: Header=BB6_400 Depth=4
	v_lshrrev_b32_e32 v49, 16, v41
	v_cmp_lt_u16_e32 vcc_lo, 0x7c00, v40
	s_delay_alu instid0(VALU_DEP_2) | instskip(SKIP_1) | instid1(VALU_DEP_1)
	v_cmp_gt_f16_e64 s14, v41, v49
	s_and_b32 s13, s13, vcc_lo
	v_cndmask_b32_e64 v49, v41, v49, s14
	s_delay_alu instid0(VALU_DEP_1)
	v_cndmask_b32_e64 v49, v49, 0x7fff, s13
; %bb.458:                              ;   in Loop: Header=BB6_400 Depth=4
	s_or_b32 exec_lo, exec_lo, s36
.LBB6_459:                              ;   in Loop: Header=BB6_400 Depth=4
	s_delay_alu instid0(SALU_CYCLE_1)
	s_or_b32 exec_lo, exec_lo, s15
.LBB6_460:                              ;   in Loop: Header=BB6_400 Depth=4
	v_mov_b32_e32 v43, v50
	v_lshrrev_b32_e32 v42, 16, v38
	s_mov_b32 s15, -1
	s_and_b32 vcc_lo, exec_lo, s35
	s_delay_alu instid0(VALU_DEP_2) | instskip(NEXT) | instid1(VALU_DEP_2)
	v_lshrrev_b32_e32 v40, 16, v43
	v_and_b32_e32 v41, 0x7fff, v42
	s_delay_alu instid0(VALU_DEP_2) | instskip(NEXT) | instid1(VALU_DEP_2)
	v_and_b32_e32 v50, 0x7fff, v40
	v_cmp_gt_u16_e64 s14, 0x7c01, v41
	v_perm_b32 v38, v38, v43, 0x7060302
	s_delay_alu instid0(VALU_DEP_3) | instskip(NEXT) | instid1(VALU_DEP_1)
	v_cmp_lt_u16_e64 s13, 0x7c00, v50
                                        ; implicit-def: $vgpr50
	s_and_b32 s36, s13, s14
	s_delay_alu instid0(SALU_CYCLE_1)
	s_xor_b32 s36, s36, -1
	s_cbranch_vccz .LBB6_466
; %bb.461:                              ;   in Loop: Header=BB6_400 Depth=4
	v_mov_b32_e32 v50, v42
	s_and_saveexec_b32 s37, s36
	s_cbranch_execz .LBB6_465
; %bb.462:                              ;   in Loop: Header=BB6_400 Depth=4
	v_mov_b32_e32 v50, v40
	s_or_b32 s15, s13, s14
	s_delay_alu instid0(SALU_CYCLE_1)
	s_and_saveexec_b32 s38, s15
; %bb.463:                              ;   in Loop: Header=BB6_400 Depth=4
	v_lshrrev_b32_e32 v50, 16, v38
	v_cmp_lt_u16_e32 vcc_lo, 0x7c00, v41
	s_delay_alu instid0(VALU_DEP_2) | instskip(NEXT) | instid1(VALU_DEP_1)
	v_cmp_gt_f16_e64 s15, v38, v50
	v_cndmask_b32_e64 v50, v50, v38, s15
	s_and_b32 s15, s13, vcc_lo
	s_delay_alu instid0(VALU_DEP_1) | instid1(SALU_CYCLE_1)
	v_cndmask_b32_e64 v50, v50, 0x7fff, s15
; %bb.464:                              ;   in Loop: Header=BB6_400 Depth=4
	s_or_b32 exec_lo, exec_lo, s38
.LBB6_465:                              ;   in Loop: Header=BB6_400 Depth=4
	s_delay_alu instid0(SALU_CYCLE_1)
	s_or_b32 exec_lo, exec_lo, s37
	s_mov_b32 s15, 0
.LBB6_466:                              ;   in Loop: Header=BB6_400 Depth=4
	s_delay_alu instid0(SALU_CYCLE_1)
	s_and_not1_b32 vcc_lo, exec_lo, s15
	s_cbranch_vccnz .LBB6_472
; %bb.467:                              ;   in Loop: Header=BB6_400 Depth=4
	s_and_saveexec_b32 s15, s36
	s_cbranch_execz .LBB6_471
; %bb.468:                              ;   in Loop: Header=BB6_400 Depth=4
	s_or_b32 s14, s13, s14
	s_delay_alu instid0(SALU_CYCLE_1)
	s_and_saveexec_b32 s36, s14
; %bb.469:                              ;   in Loop: Header=BB6_400 Depth=4
	v_lshrrev_b32_e32 v50, 16, v38
	v_cmp_lt_u16_e32 vcc_lo, 0x7c00, v41
	s_delay_alu instid0(VALU_DEP_2) | instskip(SKIP_1) | instid1(VALU_DEP_1)
	v_cmp_gt_f16_e64 s14, v38, v50
	s_and_b32 s13, s13, vcc_lo
	v_cndmask_b32_e64 v38, v38, v50, s14
	s_delay_alu instid0(VALU_DEP_1)
	v_cndmask_b32_e64 v40, v38, 0x7fff, s13
; %bb.470:                              ;   in Loop: Header=BB6_400 Depth=4
	s_or_b32 exec_lo, exec_lo, s36
	s_delay_alu instid0(VALU_DEP_1)
	v_mov_b32_e32 v42, v40
.LBB6_471:                              ;   in Loop: Header=BB6_400 Depth=4
	s_or_b32 exec_lo, exec_lo, s15
	s_delay_alu instid0(VALU_DEP_1)
	v_mov_b32_e32 v50, v42
.LBB6_472:                              ;   in Loop: Header=BB6_400 Depth=4
	v_and_b32_e32 v38, 0x7fff, v51
	v_and_b32_e32 v40, 0x7fff, v39
	v_perm_b32 v41, v39, v51, 0x5040100
	s_mov_b32 s15, -1
	s_and_b32 vcc_lo, exec_lo, s35
	v_cmp_lt_u16_e64 s13, 0x7c00, v38
	v_cmp_gt_u16_e64 s14, 0x7c01, v40
                                        ; implicit-def: $vgpr38
	s_delay_alu instid0(VALU_DEP_1) | instskip(NEXT) | instid1(SALU_CYCLE_1)
	s_and_b32 s36, s13, s14
	s_xor_b32 s36, s36, -1
	s_cbranch_vccz .LBB6_478
; %bb.473:                              ;   in Loop: Header=BB6_400 Depth=4
	v_mov_b32_e32 v38, v39
	s_and_saveexec_b32 s37, s36
	s_cbranch_execz .LBB6_477
; %bb.474:                              ;   in Loop: Header=BB6_400 Depth=4
	v_mov_b32_e32 v38, v51
	s_or_b32 s15, s13, s14
	s_delay_alu instid0(SALU_CYCLE_1)
	s_and_saveexec_b32 s38, s15
; %bb.475:                              ;   in Loop: Header=BB6_400 Depth=4
	v_lshrrev_b32_e32 v38, 16, v41
	v_cmp_lt_u16_e32 vcc_lo, 0x7c00, v40
	s_delay_alu instid0(VALU_DEP_2) | instskip(NEXT) | instid1(VALU_DEP_1)
	v_cmp_gt_f16_e64 s15, v41, v38
	v_cndmask_b32_e64 v38, v38, v41, s15
	s_and_b32 s15, s13, vcc_lo
	s_delay_alu instid0(VALU_DEP_1) | instid1(SALU_CYCLE_1)
	v_cndmask_b32_e64 v38, v38, 0x7fff, s15
; %bb.476:                              ;   in Loop: Header=BB6_400 Depth=4
	s_or_b32 exec_lo, exec_lo, s38
.LBB6_477:                              ;   in Loop: Header=BB6_400 Depth=4
	s_delay_alu instid0(SALU_CYCLE_1)
	s_or_b32 exec_lo, exec_lo, s37
	s_mov_b32 s15, 0
.LBB6_478:                              ;   in Loop: Header=BB6_400 Depth=4
	s_delay_alu instid0(SALU_CYCLE_1)
	s_and_not1_b32 vcc_lo, exec_lo, s15
	s_cbranch_vccnz .LBB6_484
; %bb.479:                              ;   in Loop: Header=BB6_400 Depth=4
	v_mov_b32_e32 v38, v39
	s_and_saveexec_b32 s15, s36
	s_cbranch_execz .LBB6_483
; %bb.480:                              ;   in Loop: Header=BB6_400 Depth=4
	v_mov_b32_e32 v38, v51
	s_or_b32 s14, s13, s14
	s_delay_alu instid0(SALU_CYCLE_1)
	s_and_saveexec_b32 s36, s14
; %bb.481:                              ;   in Loop: Header=BB6_400 Depth=4
	v_lshrrev_b32_e32 v38, 16, v41
	v_cmp_lt_u16_e32 vcc_lo, 0x7c00, v40
	s_delay_alu instid0(VALU_DEP_2) | instskip(SKIP_1) | instid1(VALU_DEP_1)
	v_cmp_gt_f16_e64 s14, v41, v38
	s_and_b32 s13, s13, vcc_lo
	v_cndmask_b32_e64 v38, v41, v38, s14
	s_delay_alu instid0(VALU_DEP_1)
	v_cndmask_b32_e64 v38, v38, 0x7fff, s13
; %bb.482:                              ;   in Loop: Header=BB6_400 Depth=4
	s_or_b32 exec_lo, exec_lo, s36
.LBB6_483:                              ;   in Loop: Header=BB6_400 Depth=4
	s_delay_alu instid0(SALU_CYCLE_1)
	s_or_b32 exec_lo, exec_lo, s15
.LBB6_484:                              ;   in Loop: Header=BB6_400 Depth=4
	v_lshrrev_b32_e32 v40, 16, v51
	v_lshrrev_b32_e32 v42, 16, v39
	v_perm_b32 v51, v39, v51, 0x7060302
	s_mov_b32 s15, -1
	s_and_b32 vcc_lo, exec_lo, s35
	v_and_b32_e32 v43, 0x7fff, v40
	v_and_b32_e32 v41, 0x7fff, v42
                                        ; implicit-def: $vgpr39
	s_delay_alu instid0(VALU_DEP_2) | instskip(NEXT) | instid1(VALU_DEP_2)
	v_cmp_lt_u16_e64 s13, 0x7c00, v43
	v_cmp_gt_u16_e64 s14, 0x7c01, v41
	s_delay_alu instid0(VALU_DEP_1) | instskip(NEXT) | instid1(SALU_CYCLE_1)
	s_and_b32 s36, s13, s14
	s_xor_b32 s36, s36, -1
	s_cbranch_vccz .LBB6_490
; %bb.485:                              ;   in Loop: Header=BB6_400 Depth=4
	v_mov_b32_e32 v39, v42
	s_and_saveexec_b32 s37, s36
	s_cbranch_execz .LBB6_489
; %bb.486:                              ;   in Loop: Header=BB6_400 Depth=4
	v_mov_b32_e32 v39, v40
	s_or_b32 s15, s13, s14
	s_delay_alu instid0(SALU_CYCLE_1)
	s_and_saveexec_b32 s38, s15
; %bb.487:                              ;   in Loop: Header=BB6_400 Depth=4
	v_lshrrev_b32_e32 v39, 16, v51
	v_cmp_lt_u16_e32 vcc_lo, 0x7c00, v41
	s_delay_alu instid0(VALU_DEP_2) | instskip(NEXT) | instid1(VALU_DEP_1)
	v_cmp_gt_f16_e64 s15, v51, v39
	v_cndmask_b32_e64 v39, v39, v51, s15
	s_and_b32 s15, s13, vcc_lo
	s_delay_alu instid0(VALU_DEP_1) | instid1(SALU_CYCLE_1)
	v_cndmask_b32_e64 v39, v39, 0x7fff, s15
; %bb.488:                              ;   in Loop: Header=BB6_400 Depth=4
	s_or_b32 exec_lo, exec_lo, s38
.LBB6_489:                              ;   in Loop: Header=BB6_400 Depth=4
	s_delay_alu instid0(SALU_CYCLE_1)
	s_or_b32 exec_lo, exec_lo, s37
	s_mov_b32 s15, 0
.LBB6_490:                              ;   in Loop: Header=BB6_400 Depth=4
	s_delay_alu instid0(SALU_CYCLE_1)
	s_and_not1_b32 vcc_lo, exec_lo, s15
	s_cbranch_vccnz .LBB6_496
; %bb.491:                              ;   in Loop: Header=BB6_400 Depth=4
	s_and_saveexec_b32 s15, s36
	s_cbranch_execz .LBB6_495
; %bb.492:                              ;   in Loop: Header=BB6_400 Depth=4
	s_or_b32 s14, s13, s14
	s_delay_alu instid0(SALU_CYCLE_1)
	s_and_saveexec_b32 s36, s14
; %bb.493:                              ;   in Loop: Header=BB6_400 Depth=4
	v_lshrrev_b32_e32 v39, 16, v51
	v_cmp_lt_u16_e32 vcc_lo, 0x7c00, v41
	s_delay_alu instid0(VALU_DEP_2) | instskip(SKIP_1) | instid1(VALU_DEP_1)
	v_cmp_gt_f16_e64 s14, v51, v39
	s_and_b32 s13, s13, vcc_lo
	v_cndmask_b32_e64 v39, v51, v39, s14
	s_delay_alu instid0(VALU_DEP_1)
	v_cndmask_b32_e64 v40, v39, 0x7fff, s13
; %bb.494:                              ;   in Loop: Header=BB6_400 Depth=4
	s_or_b32 exec_lo, exec_lo, s36
	s_delay_alu instid0(VALU_DEP_1)
	v_mov_b32_e32 v42, v40
.LBB6_495:                              ;   in Loop: Header=BB6_400 Depth=4
	s_or_b32 exec_lo, exec_lo, s15
	s_delay_alu instid0(VALU_DEP_1)
	v_mov_b32_e32 v39, v42
.LBB6_496:                              ;   in Loop: Header=BB6_400 Depth=4
	s_waitcnt vmcnt(5)
	v_and_b32_e32 v51, 0x7fff, v32
	s_waitcnt vmcnt(2)
	v_and_b32_e32 v40, 0x7fff, v24
	v_perm_b32 v41, v24, v32, 0x5040100
	s_mov_b32 s15, -1
	s_and_not1_b32 vcc_lo, exec_lo, s35
	v_cmp_lt_u16_e64 s13, 0x7c00, v51
	v_cmp_gt_u16_e64 s14, 0x7c01, v40
                                        ; implicit-def: $vgpr51
	s_delay_alu instid0(VALU_DEP_1) | instskip(NEXT) | instid1(SALU_CYCLE_1)
	s_and_b32 s36, s13, s14
	s_xor_b32 s36, s36, -1
	s_cbranch_vccnz .LBB6_502
; %bb.497:                              ;   in Loop: Header=BB6_400 Depth=4
	v_mov_b32_e32 v51, v24
	s_and_saveexec_b32 s37, s36
	s_cbranch_execz .LBB6_501
; %bb.498:                              ;   in Loop: Header=BB6_400 Depth=4
	v_mov_b32_e32 v51, v32
	s_or_b32 s15, s13, s14
	s_delay_alu instid0(SALU_CYCLE_1)
	s_and_saveexec_b32 s38, s15
; %bb.499:                              ;   in Loop: Header=BB6_400 Depth=4
	v_lshrrev_b32_e32 v51, 16, v41
	v_cmp_lt_u16_e32 vcc_lo, 0x7c00, v40
	s_delay_alu instid0(VALU_DEP_2) | instskip(NEXT) | instid1(VALU_DEP_1)
	v_cmp_gt_f16_e64 s15, v41, v51
	v_cndmask_b32_e64 v51, v51, v41, s15
	s_and_b32 s15, s13, vcc_lo
	s_delay_alu instid0(VALU_DEP_1) | instid1(SALU_CYCLE_1)
	v_cndmask_b32_e64 v51, v51, 0x7fff, s15
; %bb.500:                              ;   in Loop: Header=BB6_400 Depth=4
	s_or_b32 exec_lo, exec_lo, s38
.LBB6_501:                              ;   in Loop: Header=BB6_400 Depth=4
	s_delay_alu instid0(SALU_CYCLE_1)
	s_or_b32 exec_lo, exec_lo, s37
	s_mov_b32 s15, 0
.LBB6_502:                              ;   in Loop: Header=BB6_400 Depth=4
	s_delay_alu instid0(SALU_CYCLE_1)
	s_and_not1_b32 vcc_lo, exec_lo, s15
	s_cbranch_vccnz .LBB6_508
; %bb.503:                              ;   in Loop: Header=BB6_400 Depth=4
	v_mov_b32_e32 v51, v24
	s_and_saveexec_b32 s15, s36
	s_cbranch_execz .LBB6_507
; %bb.504:                              ;   in Loop: Header=BB6_400 Depth=4
	v_mov_b32_e32 v51, v32
	s_or_b32 s14, s13, s14
	s_delay_alu instid0(SALU_CYCLE_1)
	s_and_saveexec_b32 s36, s14
; %bb.505:                              ;   in Loop: Header=BB6_400 Depth=4
	v_lshrrev_b32_e32 v51, 16, v41
	v_cmp_lt_u16_e32 vcc_lo, 0x7c00, v40
	s_delay_alu instid0(VALU_DEP_2) | instskip(SKIP_1) | instid1(VALU_DEP_1)
	v_cmp_gt_f16_e64 s14, v41, v51
	s_and_b32 s13, s13, vcc_lo
	v_cndmask_b32_e64 v51, v41, v51, s14
	s_delay_alu instid0(VALU_DEP_1)
	v_cndmask_b32_e64 v51, v51, 0x7fff, s13
; %bb.506:                              ;   in Loop: Header=BB6_400 Depth=4
	s_or_b32 exec_lo, exec_lo, s36
.LBB6_507:                              ;   in Loop: Header=BB6_400 Depth=4
	s_delay_alu instid0(SALU_CYCLE_1)
	s_or_b32 exec_lo, exec_lo, s15
.LBB6_508:                              ;   in Loop: Header=BB6_400 Depth=4
	v_mov_b32_e32 v43, v32
	v_lshrrev_b32_e32 v42, 16, v24
	s_mov_b32 s15, -1
	s_and_not1_b32 vcc_lo, exec_lo, s35
	s_delay_alu instid0(VALU_DEP_2) | instskip(NEXT) | instid1(VALU_DEP_2)
	v_lshrrev_b32_e32 v40, 16, v43
	v_and_b32_e32 v41, 0x7fff, v42
	s_delay_alu instid0(VALU_DEP_2) | instskip(NEXT) | instid1(VALU_DEP_1)
	v_and_b32_e32 v32, 0x7fff, v40
	v_cmp_lt_u16_e64 s13, 0x7c00, v32
	v_mov_b32_e32 v32, v33
	s_delay_alu instid0(VALU_DEP_4) | instskip(SKIP_2) | instid1(VALU_DEP_3)
	v_cmp_gt_u16_e64 s14, 0x7c01, v41
	v_mov_b32_e32 v33, v25
	v_perm_b32 v25, v24, v43, 0x7060302
                                        ; implicit-def: $vgpr24
	s_and_b32 s36, s13, s14
	s_delay_alu instid0(SALU_CYCLE_1)
	s_xor_b32 s36, s36, -1
	s_cbranch_vccnz .LBB6_514
; %bb.509:                              ;   in Loop: Header=BB6_400 Depth=4
	v_mov_b32_e32 v24, v42
	s_and_saveexec_b32 s37, s36
	s_cbranch_execz .LBB6_513
; %bb.510:                              ;   in Loop: Header=BB6_400 Depth=4
	v_mov_b32_e32 v24, v40
	s_or_b32 s15, s13, s14
	s_delay_alu instid0(SALU_CYCLE_1)
	s_and_saveexec_b32 s38, s15
; %bb.511:                              ;   in Loop: Header=BB6_400 Depth=4
	v_lshrrev_b32_e32 v24, 16, v25
	v_cmp_lt_u16_e32 vcc_lo, 0x7c00, v41
	s_delay_alu instid0(VALU_DEP_2) | instskip(NEXT) | instid1(VALU_DEP_1)
	v_cmp_gt_f16_e64 s15, v25, v24
	v_cndmask_b32_e64 v24, v24, v25, s15
	s_and_b32 s15, s13, vcc_lo
	s_delay_alu instid0(VALU_DEP_1) | instid1(SALU_CYCLE_1)
	v_cndmask_b32_e64 v24, v24, 0x7fff, s15
; %bb.512:                              ;   in Loop: Header=BB6_400 Depth=4
	s_or_b32 exec_lo, exec_lo, s38
.LBB6_513:                              ;   in Loop: Header=BB6_400 Depth=4
	s_delay_alu instid0(SALU_CYCLE_1)
	s_or_b32 exec_lo, exec_lo, s37
	s_mov_b32 s15, 0
.LBB6_514:                              ;   in Loop: Header=BB6_400 Depth=4
	s_delay_alu instid0(SALU_CYCLE_1)
	s_and_not1_b32 vcc_lo, exec_lo, s15
	s_cbranch_vccnz .LBB6_520
; %bb.515:                              ;   in Loop: Header=BB6_400 Depth=4
	s_and_saveexec_b32 s15, s36
	s_cbranch_execz .LBB6_519
; %bb.516:                              ;   in Loop: Header=BB6_400 Depth=4
	s_or_b32 s14, s13, s14
	s_delay_alu instid0(SALU_CYCLE_1)
	s_and_saveexec_b32 s36, s14
; %bb.517:                              ;   in Loop: Header=BB6_400 Depth=4
	v_lshrrev_b32_e32 v24, 16, v25
	v_cmp_lt_u16_e32 vcc_lo, 0x7c00, v41
	s_delay_alu instid0(VALU_DEP_2) | instskip(SKIP_1) | instid1(VALU_DEP_1)
	v_cmp_gt_f16_e64 s14, v25, v24
	s_and_b32 s13, s13, vcc_lo
	v_cndmask_b32_e64 v24, v25, v24, s14
	s_delay_alu instid0(VALU_DEP_1)
	v_cndmask_b32_e64 v40, v24, 0x7fff, s13
; %bb.518:                              ;   in Loop: Header=BB6_400 Depth=4
	s_or_b32 exec_lo, exec_lo, s36
	s_delay_alu instid0(VALU_DEP_1)
	v_mov_b32_e32 v42, v40
.LBB6_519:                              ;   in Loop: Header=BB6_400 Depth=4
	s_or_b32 exec_lo, exec_lo, s15
	s_delay_alu instid0(VALU_DEP_1)
	v_mov_b32_e32 v24, v42
.LBB6_520:                              ;   in Loop: Header=BB6_400 Depth=4
	v_and_b32_e32 v25, 0x7fff, v32
	v_and_b32_e32 v40, 0x7fff, v33
	v_perm_b32 v41, v33, v32, 0x5040100
	s_mov_b32 s15, -1
	s_and_not1_b32 vcc_lo, exec_lo, s35
	v_cmp_lt_u16_e64 s13, 0x7c00, v25
	v_cmp_gt_u16_e64 s14, 0x7c01, v40
                                        ; implicit-def: $vgpr25
	s_delay_alu instid0(VALU_DEP_1) | instskip(NEXT) | instid1(SALU_CYCLE_1)
	s_and_b32 s36, s13, s14
	s_xor_b32 s36, s36, -1
	s_cbranch_vccnz .LBB6_526
; %bb.521:                              ;   in Loop: Header=BB6_400 Depth=4
	v_mov_b32_e32 v25, v33
	s_and_saveexec_b32 s37, s36
	s_cbranch_execz .LBB6_525
; %bb.522:                              ;   in Loop: Header=BB6_400 Depth=4
	v_mov_b32_e32 v25, v32
	s_or_b32 s15, s13, s14
	s_delay_alu instid0(SALU_CYCLE_1)
	s_and_saveexec_b32 s38, s15
; %bb.523:                              ;   in Loop: Header=BB6_400 Depth=4
	v_lshrrev_b32_e32 v25, 16, v41
	v_cmp_lt_u16_e32 vcc_lo, 0x7c00, v40
	s_delay_alu instid0(VALU_DEP_2) | instskip(NEXT) | instid1(VALU_DEP_1)
	v_cmp_gt_f16_e64 s15, v41, v25
	v_cndmask_b32_e64 v25, v25, v41, s15
	s_and_b32 s15, s13, vcc_lo
	s_delay_alu instid0(VALU_DEP_1) | instid1(SALU_CYCLE_1)
	v_cndmask_b32_e64 v25, v25, 0x7fff, s15
; %bb.524:                              ;   in Loop: Header=BB6_400 Depth=4
	s_or_b32 exec_lo, exec_lo, s38
.LBB6_525:                              ;   in Loop: Header=BB6_400 Depth=4
	s_delay_alu instid0(SALU_CYCLE_1)
	s_or_b32 exec_lo, exec_lo, s37
	s_mov_b32 s15, 0
.LBB6_526:                              ;   in Loop: Header=BB6_400 Depth=4
	s_delay_alu instid0(SALU_CYCLE_1)
	s_and_not1_b32 vcc_lo, exec_lo, s15
	s_cbranch_vccnz .LBB6_532
; %bb.527:                              ;   in Loop: Header=BB6_400 Depth=4
	v_mov_b32_e32 v25, v33
	s_and_saveexec_b32 s15, s36
	s_cbranch_execz .LBB6_531
; %bb.528:                              ;   in Loop: Header=BB6_400 Depth=4
	v_mov_b32_e32 v25, v32
	s_or_b32 s14, s13, s14
	s_delay_alu instid0(SALU_CYCLE_1)
	s_and_saveexec_b32 s36, s14
; %bb.529:                              ;   in Loop: Header=BB6_400 Depth=4
	v_lshrrev_b32_e32 v25, 16, v41
	v_cmp_lt_u16_e32 vcc_lo, 0x7c00, v40
	s_delay_alu instid0(VALU_DEP_2) | instskip(SKIP_1) | instid1(VALU_DEP_1)
	v_cmp_gt_f16_e64 s14, v41, v25
	s_and_b32 s13, s13, vcc_lo
	v_cndmask_b32_e64 v25, v41, v25, s14
	s_delay_alu instid0(VALU_DEP_1)
	v_cndmask_b32_e64 v25, v25, 0x7fff, s13
; %bb.530:                              ;   in Loop: Header=BB6_400 Depth=4
	s_or_b32 exec_lo, exec_lo, s36
.LBB6_531:                              ;   in Loop: Header=BB6_400 Depth=4
	s_delay_alu instid0(SALU_CYCLE_1)
	s_or_b32 exec_lo, exec_lo, s15
.LBB6_532:                              ;   in Loop: Header=BB6_400 Depth=4
	v_lshrrev_b32_e32 v40, 16, v32
	v_lshrrev_b32_e32 v42, 16, v33
	v_perm_b32 v33, v33, v32, 0x7060302
	s_mov_b32 s15, -1
	s_and_not1_b32 vcc_lo, exec_lo, s35
	v_and_b32_e32 v43, 0x7fff, v40
	v_and_b32_e32 v41, 0x7fff, v42
                                        ; implicit-def: $vgpr32
	s_delay_alu instid0(VALU_DEP_2) | instskip(NEXT) | instid1(VALU_DEP_2)
	v_cmp_lt_u16_e64 s13, 0x7c00, v43
	v_cmp_gt_u16_e64 s14, 0x7c01, v41
	s_delay_alu instid0(VALU_DEP_1) | instskip(NEXT) | instid1(SALU_CYCLE_1)
	s_and_b32 s36, s13, s14
	s_xor_b32 s36, s36, -1
	s_cbranch_vccnz .LBB6_538
; %bb.533:                              ;   in Loop: Header=BB6_400 Depth=4
	v_mov_b32_e32 v32, v42
	s_and_saveexec_b32 s37, s36
	s_cbranch_execz .LBB6_537
; %bb.534:                              ;   in Loop: Header=BB6_400 Depth=4
	v_mov_b32_e32 v32, v40
	s_or_b32 s15, s13, s14
	s_delay_alu instid0(SALU_CYCLE_1)
	s_and_saveexec_b32 s38, s15
; %bb.535:                              ;   in Loop: Header=BB6_400 Depth=4
	v_lshrrev_b32_e32 v32, 16, v33
	v_cmp_lt_u16_e32 vcc_lo, 0x7c00, v41
	s_delay_alu instid0(VALU_DEP_2) | instskip(NEXT) | instid1(VALU_DEP_1)
	v_cmp_gt_f16_e64 s15, v33, v32
	v_cndmask_b32_e64 v32, v32, v33, s15
	s_and_b32 s15, s13, vcc_lo
	s_delay_alu instid0(VALU_DEP_1) | instid1(SALU_CYCLE_1)
	v_cndmask_b32_e64 v32, v32, 0x7fff, s15
; %bb.536:                              ;   in Loop: Header=BB6_400 Depth=4
	s_or_b32 exec_lo, exec_lo, s38
.LBB6_537:                              ;   in Loop: Header=BB6_400 Depth=4
	s_delay_alu instid0(SALU_CYCLE_1)
	s_or_b32 exec_lo, exec_lo, s37
	s_mov_b32 s15, 0
.LBB6_538:                              ;   in Loop: Header=BB6_400 Depth=4
	s_delay_alu instid0(SALU_CYCLE_1)
	s_and_not1_b32 vcc_lo, exec_lo, s15
	s_cbranch_vccnz .LBB6_544
; %bb.539:                              ;   in Loop: Header=BB6_400 Depth=4
	s_and_saveexec_b32 s15, s36
	s_cbranch_execz .LBB6_543
; %bb.540:                              ;   in Loop: Header=BB6_400 Depth=4
	s_or_b32 s14, s13, s14
	s_delay_alu instid0(SALU_CYCLE_1)
	s_and_saveexec_b32 s36, s14
; %bb.541:                              ;   in Loop: Header=BB6_400 Depth=4
	v_lshrrev_b32_e32 v32, 16, v33
	v_cmp_lt_u16_e32 vcc_lo, 0x7c00, v41
	s_delay_alu instid0(VALU_DEP_2) | instskip(SKIP_1) | instid1(VALU_DEP_1)
	v_cmp_gt_f16_e64 s14, v33, v32
	s_and_b32 s13, s13, vcc_lo
	v_cndmask_b32_e64 v32, v33, v32, s14
	s_delay_alu instid0(VALU_DEP_1)
	v_cndmask_b32_e64 v40, v32, 0x7fff, s13
; %bb.542:                              ;   in Loop: Header=BB6_400 Depth=4
	s_or_b32 exec_lo, exec_lo, s36
	s_delay_alu instid0(VALU_DEP_1)
	v_mov_b32_e32 v42, v40
.LBB6_543:                              ;   in Loop: Header=BB6_400 Depth=4
	s_or_b32 exec_lo, exec_lo, s15
	s_delay_alu instid0(VALU_DEP_1)
	v_mov_b32_e32 v32, v42
.LBB6_544:                              ;   in Loop: Header=BB6_400 Depth=4
	v_and_b32_e32 v33, 0x7fff, v34
	v_and_b32_e32 v40, 0x7fff, v26
	v_perm_b32 v41, v26, v34, 0x5040100
	s_mov_b32 s15, -1
	s_and_not1_b32 vcc_lo, exec_lo, s35
	v_cmp_lt_u16_e64 s13, 0x7c00, v33
	v_cmp_gt_u16_e64 s14, 0x7c01, v40
                                        ; implicit-def: $vgpr33
	s_delay_alu instid0(VALU_DEP_1) | instskip(NEXT) | instid1(SALU_CYCLE_1)
	s_and_b32 s36, s13, s14
	s_xor_b32 s36, s36, -1
	s_cbranch_vccnz .LBB6_550
; %bb.545:                              ;   in Loop: Header=BB6_400 Depth=4
	v_mov_b32_e32 v33, v26
	s_and_saveexec_b32 s37, s36
	s_cbranch_execz .LBB6_549
; %bb.546:                              ;   in Loop: Header=BB6_400 Depth=4
	v_mov_b32_e32 v33, v34
	s_or_b32 s15, s13, s14
	s_delay_alu instid0(SALU_CYCLE_1)
	s_and_saveexec_b32 s38, s15
; %bb.547:                              ;   in Loop: Header=BB6_400 Depth=4
	v_lshrrev_b32_e32 v33, 16, v41
	v_cmp_lt_u16_e32 vcc_lo, 0x7c00, v40
	s_delay_alu instid0(VALU_DEP_2) | instskip(NEXT) | instid1(VALU_DEP_1)
	v_cmp_gt_f16_e64 s15, v41, v33
	v_cndmask_b32_e64 v33, v33, v41, s15
	s_and_b32 s15, s13, vcc_lo
	s_delay_alu instid0(VALU_DEP_1) | instid1(SALU_CYCLE_1)
	v_cndmask_b32_e64 v33, v33, 0x7fff, s15
; %bb.548:                              ;   in Loop: Header=BB6_400 Depth=4
	s_or_b32 exec_lo, exec_lo, s38
.LBB6_549:                              ;   in Loop: Header=BB6_400 Depth=4
	s_delay_alu instid0(SALU_CYCLE_1)
	s_or_b32 exec_lo, exec_lo, s37
	s_mov_b32 s15, 0
.LBB6_550:                              ;   in Loop: Header=BB6_400 Depth=4
	s_delay_alu instid0(SALU_CYCLE_1)
	s_and_not1_b32 vcc_lo, exec_lo, s15
	s_cbranch_vccnz .LBB6_556
; %bb.551:                              ;   in Loop: Header=BB6_400 Depth=4
	v_mov_b32_e32 v33, v26
	s_and_saveexec_b32 s15, s36
	s_cbranch_execz .LBB6_555
; %bb.552:                              ;   in Loop: Header=BB6_400 Depth=4
	v_mov_b32_e32 v33, v34
	s_or_b32 s14, s13, s14
	s_delay_alu instid0(SALU_CYCLE_1)
	s_and_saveexec_b32 s36, s14
; %bb.553:                              ;   in Loop: Header=BB6_400 Depth=4
	v_lshrrev_b32_e32 v33, 16, v41
	v_cmp_lt_u16_e32 vcc_lo, 0x7c00, v40
	s_delay_alu instid0(VALU_DEP_2) | instskip(SKIP_1) | instid1(VALU_DEP_1)
	v_cmp_gt_f16_e64 s14, v41, v33
	s_and_b32 s13, s13, vcc_lo
	v_cndmask_b32_e64 v33, v41, v33, s14
	s_delay_alu instid0(VALU_DEP_1)
	v_cndmask_b32_e64 v33, v33, 0x7fff, s13
; %bb.554:                              ;   in Loop: Header=BB6_400 Depth=4
	s_or_b32 exec_lo, exec_lo, s36
.LBB6_555:                              ;   in Loop: Header=BB6_400 Depth=4
	s_delay_alu instid0(SALU_CYCLE_1)
	s_or_b32 exec_lo, exec_lo, s15
.LBB6_556:                              ;   in Loop: Header=BB6_400 Depth=4
	v_mov_b32_e32 v42, v34
	v_lshrrev_b32_e32 v41, 16, v26
	s_mov_b32 s15, -1
	s_and_not1_b32 vcc_lo, exec_lo, s35
	s_delay_alu instid0(VALU_DEP_2) | instskip(NEXT) | instid1(VALU_DEP_2)
	v_lshrrev_b32_e32 v34, 16, v42
	v_and_b32_e32 v40, 0x7fff, v41
	s_delay_alu instid0(VALU_DEP_2) | instskip(NEXT) | instid1(VALU_DEP_2)
	v_and_b32_e32 v43, 0x7fff, v34
	v_cmp_gt_u16_e64 s14, 0x7c01, v40
	v_perm_b32 v42, v26, v42, 0x7060302
                                        ; implicit-def: $vgpr26
	s_delay_alu instid0(VALU_DEP_3) | instskip(NEXT) | instid1(VALU_DEP_1)
	v_cmp_lt_u16_e64 s13, 0x7c00, v43
	s_and_b32 s36, s13, s14
	s_delay_alu instid0(SALU_CYCLE_1)
	s_xor_b32 s36, s36, -1
	s_cbranch_vccnz .LBB6_562
; %bb.557:                              ;   in Loop: Header=BB6_400 Depth=4
	v_mov_b32_e32 v26, v41
	s_and_saveexec_b32 s37, s36
	s_cbranch_execz .LBB6_561
; %bb.558:                              ;   in Loop: Header=BB6_400 Depth=4
	v_mov_b32_e32 v26, v34
	s_or_b32 s15, s13, s14
	s_delay_alu instid0(SALU_CYCLE_1)
	s_and_saveexec_b32 s38, s15
; %bb.559:                              ;   in Loop: Header=BB6_400 Depth=4
	v_lshrrev_b32_e32 v26, 16, v42
	v_cmp_lt_u16_e32 vcc_lo, 0x7c00, v40
	s_delay_alu instid0(VALU_DEP_2) | instskip(NEXT) | instid1(VALU_DEP_1)
	v_cmp_gt_f16_e64 s15, v42, v26
	v_cndmask_b32_e64 v26, v26, v42, s15
	s_and_b32 s15, s13, vcc_lo
	s_delay_alu instid0(VALU_DEP_1) | instid1(SALU_CYCLE_1)
	v_cndmask_b32_e64 v26, v26, 0x7fff, s15
; %bb.560:                              ;   in Loop: Header=BB6_400 Depth=4
	s_or_b32 exec_lo, exec_lo, s38
.LBB6_561:                              ;   in Loop: Header=BB6_400 Depth=4
	s_delay_alu instid0(SALU_CYCLE_1)
	s_or_b32 exec_lo, exec_lo, s37
	s_mov_b32 s15, 0
.LBB6_562:                              ;   in Loop: Header=BB6_400 Depth=4
	s_delay_alu instid0(SALU_CYCLE_1)
	s_and_not1_b32 vcc_lo, exec_lo, s15
	s_cbranch_vccnz .LBB6_568
; %bb.563:                              ;   in Loop: Header=BB6_400 Depth=4
	s_and_saveexec_b32 s15, s36
	s_cbranch_execz .LBB6_567
; %bb.564:                              ;   in Loop: Header=BB6_400 Depth=4
	s_or_b32 s14, s13, s14
	s_delay_alu instid0(SALU_CYCLE_1)
	s_and_saveexec_b32 s36, s14
; %bb.565:                              ;   in Loop: Header=BB6_400 Depth=4
	v_lshrrev_b32_e32 v26, 16, v42
	v_cmp_lt_u16_e32 vcc_lo, 0x7c00, v40
	s_delay_alu instid0(VALU_DEP_2) | instskip(SKIP_1) | instid1(VALU_DEP_1)
	v_cmp_gt_f16_e64 s14, v42, v26
	s_and_b32 s13, s13, vcc_lo
	v_cndmask_b32_e64 v26, v42, v26, s14
	s_delay_alu instid0(VALU_DEP_1)
	v_cndmask_b32_e64 v34, v26, 0x7fff, s13
; %bb.566:                              ;   in Loop: Header=BB6_400 Depth=4
	s_or_b32 exec_lo, exec_lo, s36
	s_delay_alu instid0(VALU_DEP_1)
	v_mov_b32_e32 v41, v34
.LBB6_567:                              ;   in Loop: Header=BB6_400 Depth=4
	s_or_b32 exec_lo, exec_lo, s15
	s_delay_alu instid0(VALU_DEP_1)
	v_mov_b32_e32 v26, v41
.LBB6_568:                              ;   in Loop: Header=BB6_400 Depth=4
	v_and_b32_e32 v34, 0x7fff, v35
	v_and_b32_e32 v40, 0x7fff, v27
	v_perm_b32 v41, v27, v35, 0x5040100
	s_mov_b32 s15, -1
	s_and_not1_b32 vcc_lo, exec_lo, s35
	v_cmp_lt_u16_e64 s13, 0x7c00, v34
	v_cmp_gt_u16_e64 s14, 0x7c01, v40
                                        ; implicit-def: $vgpr34
	s_delay_alu instid0(VALU_DEP_1) | instskip(NEXT) | instid1(SALU_CYCLE_1)
	s_and_b32 s36, s13, s14
	s_xor_b32 s36, s36, -1
	s_cbranch_vccnz .LBB6_574
; %bb.569:                              ;   in Loop: Header=BB6_400 Depth=4
	v_mov_b32_e32 v34, v27
	s_and_saveexec_b32 s37, s36
	s_cbranch_execz .LBB6_573
; %bb.570:                              ;   in Loop: Header=BB6_400 Depth=4
	v_mov_b32_e32 v34, v35
	s_or_b32 s15, s13, s14
	s_delay_alu instid0(SALU_CYCLE_1)
	s_and_saveexec_b32 s38, s15
; %bb.571:                              ;   in Loop: Header=BB6_400 Depth=4
	v_lshrrev_b32_e32 v34, 16, v41
	v_cmp_lt_u16_e32 vcc_lo, 0x7c00, v40
	s_delay_alu instid0(VALU_DEP_2) | instskip(NEXT) | instid1(VALU_DEP_1)
	v_cmp_gt_f16_e64 s15, v41, v34
	v_cndmask_b32_e64 v34, v34, v41, s15
	s_and_b32 s15, s13, vcc_lo
	s_delay_alu instid0(VALU_DEP_1) | instid1(SALU_CYCLE_1)
	v_cndmask_b32_e64 v34, v34, 0x7fff, s15
; %bb.572:                              ;   in Loop: Header=BB6_400 Depth=4
	s_or_b32 exec_lo, exec_lo, s38
.LBB6_573:                              ;   in Loop: Header=BB6_400 Depth=4
	s_delay_alu instid0(SALU_CYCLE_1)
	s_or_b32 exec_lo, exec_lo, s37
	s_mov_b32 s15, 0
.LBB6_574:                              ;   in Loop: Header=BB6_400 Depth=4
	s_delay_alu instid0(SALU_CYCLE_1)
	s_and_not1_b32 vcc_lo, exec_lo, s15
	s_cbranch_vccnz .LBB6_580
; %bb.575:                              ;   in Loop: Header=BB6_400 Depth=4
	v_mov_b32_e32 v34, v27
	s_and_saveexec_b32 s15, s36
	s_cbranch_execz .LBB6_579
; %bb.576:                              ;   in Loop: Header=BB6_400 Depth=4
	v_mov_b32_e32 v34, v35
	s_or_b32 s14, s13, s14
	s_delay_alu instid0(SALU_CYCLE_1)
	s_and_saveexec_b32 s36, s14
; %bb.577:                              ;   in Loop: Header=BB6_400 Depth=4
	v_lshrrev_b32_e32 v34, 16, v41
	v_cmp_lt_u16_e32 vcc_lo, 0x7c00, v40
	s_delay_alu instid0(VALU_DEP_2) | instskip(SKIP_1) | instid1(VALU_DEP_1)
	v_cmp_gt_f16_e64 s14, v41, v34
	s_and_b32 s13, s13, vcc_lo
	v_cndmask_b32_e64 v34, v41, v34, s14
	s_delay_alu instid0(VALU_DEP_1)
	v_cndmask_b32_e64 v34, v34, 0x7fff, s13
; %bb.578:                              ;   in Loop: Header=BB6_400 Depth=4
	s_or_b32 exec_lo, exec_lo, s36
.LBB6_579:                              ;   in Loop: Header=BB6_400 Depth=4
	s_delay_alu instid0(SALU_CYCLE_1)
	s_or_b32 exec_lo, exec_lo, s15
.LBB6_580:                              ;   in Loop: Header=BB6_400 Depth=4
	v_lshrrev_b32_e32 v40, 16, v35
	v_lshrrev_b32_e32 v42, 16, v27
	v_perm_b32 v35, v27, v35, 0x7060302
	s_mov_b32 s15, -1
	s_and_not1_b32 vcc_lo, exec_lo, s35
	v_and_b32_e32 v43, 0x7fff, v40
	v_and_b32_e32 v41, 0x7fff, v42
                                        ; implicit-def: $vgpr27
	s_delay_alu instid0(VALU_DEP_2) | instskip(NEXT) | instid1(VALU_DEP_2)
	v_cmp_lt_u16_e64 s13, 0x7c00, v43
	v_cmp_gt_u16_e64 s14, 0x7c01, v41
	s_delay_alu instid0(VALU_DEP_1) | instskip(NEXT) | instid1(SALU_CYCLE_1)
	s_and_b32 s36, s13, s14
	s_xor_b32 s36, s36, -1
	s_cbranch_vccnz .LBB6_586
; %bb.581:                              ;   in Loop: Header=BB6_400 Depth=4
	v_mov_b32_e32 v27, v42
	s_and_saveexec_b32 s37, s36
	s_cbranch_execz .LBB6_585
; %bb.582:                              ;   in Loop: Header=BB6_400 Depth=4
	v_mov_b32_e32 v27, v40
	s_or_b32 s15, s13, s14
	s_delay_alu instid0(SALU_CYCLE_1)
	s_and_saveexec_b32 s38, s15
; %bb.583:                              ;   in Loop: Header=BB6_400 Depth=4
	v_lshrrev_b32_e32 v27, 16, v35
	v_cmp_lt_u16_e32 vcc_lo, 0x7c00, v41
	s_delay_alu instid0(VALU_DEP_2) | instskip(NEXT) | instid1(VALU_DEP_1)
	v_cmp_gt_f16_e64 s15, v35, v27
	v_cndmask_b32_e64 v27, v27, v35, s15
	s_and_b32 s15, s13, vcc_lo
	s_delay_alu instid0(VALU_DEP_1) | instid1(SALU_CYCLE_1)
	v_cndmask_b32_e64 v27, v27, 0x7fff, s15
; %bb.584:                              ;   in Loop: Header=BB6_400 Depth=4
	s_or_b32 exec_lo, exec_lo, s38
.LBB6_585:                              ;   in Loop: Header=BB6_400 Depth=4
	s_delay_alu instid0(SALU_CYCLE_1)
	s_or_b32 exec_lo, exec_lo, s37
	s_mov_b32 s15, 0
.LBB6_586:                              ;   in Loop: Header=BB6_400 Depth=4
	s_delay_alu instid0(SALU_CYCLE_1)
	s_and_not1_b32 vcc_lo, exec_lo, s15
	s_cbranch_vccnz .LBB6_592
; %bb.587:                              ;   in Loop: Header=BB6_400 Depth=4
	s_and_saveexec_b32 s15, s36
	s_cbranch_execz .LBB6_591
; %bb.588:                              ;   in Loop: Header=BB6_400 Depth=4
	s_or_b32 s14, s13, s14
	s_delay_alu instid0(SALU_CYCLE_1)
	s_and_saveexec_b32 s36, s14
; %bb.589:                              ;   in Loop: Header=BB6_400 Depth=4
	v_lshrrev_b32_e32 v27, 16, v35
	v_cmp_lt_u16_e32 vcc_lo, 0x7c00, v41
	s_delay_alu instid0(VALU_DEP_2) | instskip(SKIP_1) | instid1(VALU_DEP_1)
	v_cmp_gt_f16_e64 s14, v35, v27
	s_and_b32 s13, s13, vcc_lo
	v_cndmask_b32_e64 v27, v35, v27, s14
	s_delay_alu instid0(VALU_DEP_1)
	v_cndmask_b32_e64 v40, v27, 0x7fff, s13
; %bb.590:                              ;   in Loop: Header=BB6_400 Depth=4
	s_or_b32 exec_lo, exec_lo, s36
	s_delay_alu instid0(VALU_DEP_1)
	v_mov_b32_e32 v42, v40
.LBB6_591:                              ;   in Loop: Header=BB6_400 Depth=4
	s_or_b32 exec_lo, exec_lo, s15
	s_delay_alu instid0(VALU_DEP_1)
	v_mov_b32_e32 v27, v42
.LBB6_592:                              ;   in Loop: Header=BB6_400 Depth=4
	v_and_b32_e32 v35, 0x7fff, v20
	s_waitcnt vmcnt(1)
	v_and_b32_e32 v40, 0x7fff, v16
	v_perm_b32 v41, v16, v20, 0x5040100
	s_mov_b32 s15, -1
	s_and_not1_b32 vcc_lo, exec_lo, s35
	v_cmp_lt_u16_e64 s13, 0x7c00, v35
	v_cmp_gt_u16_e64 s14, 0x7c01, v40
                                        ; implicit-def: $vgpr35
	s_delay_alu instid0(VALU_DEP_1) | instskip(NEXT) | instid1(SALU_CYCLE_1)
	s_and_b32 s36, s13, s14
	s_xor_b32 s36, s36, -1
	s_cbranch_vccnz .LBB6_598
; %bb.593:                              ;   in Loop: Header=BB6_400 Depth=4
	v_mov_b32_e32 v35, v16
	s_and_saveexec_b32 s37, s36
	s_cbranch_execz .LBB6_597
; %bb.594:                              ;   in Loop: Header=BB6_400 Depth=4
	v_mov_b32_e32 v35, v20
	s_or_b32 s15, s13, s14
	s_delay_alu instid0(SALU_CYCLE_1)
	s_and_saveexec_b32 s38, s15
; %bb.595:                              ;   in Loop: Header=BB6_400 Depth=4
	v_lshrrev_b32_e32 v35, 16, v41
	v_cmp_lt_u16_e32 vcc_lo, 0x7c00, v40
	s_delay_alu instid0(VALU_DEP_2) | instskip(NEXT) | instid1(VALU_DEP_1)
	v_cmp_gt_f16_e64 s15, v41, v35
	v_cndmask_b32_e64 v35, v35, v41, s15
	s_and_b32 s15, s13, vcc_lo
	s_delay_alu instid0(VALU_DEP_1) | instid1(SALU_CYCLE_1)
	v_cndmask_b32_e64 v35, v35, 0x7fff, s15
; %bb.596:                              ;   in Loop: Header=BB6_400 Depth=4
	s_or_b32 exec_lo, exec_lo, s38
.LBB6_597:                              ;   in Loop: Header=BB6_400 Depth=4
	s_delay_alu instid0(SALU_CYCLE_1)
	s_or_b32 exec_lo, exec_lo, s37
	s_mov_b32 s15, 0
.LBB6_598:                              ;   in Loop: Header=BB6_400 Depth=4
	s_delay_alu instid0(SALU_CYCLE_1)
	s_and_not1_b32 vcc_lo, exec_lo, s15
	s_cbranch_vccnz .LBB6_604
; %bb.599:                              ;   in Loop: Header=BB6_400 Depth=4
	v_mov_b32_e32 v35, v16
	s_and_saveexec_b32 s15, s36
	s_cbranch_execz .LBB6_603
; %bb.600:                              ;   in Loop: Header=BB6_400 Depth=4
	v_mov_b32_e32 v35, v20
	s_or_b32 s14, s13, s14
	s_delay_alu instid0(SALU_CYCLE_1)
	s_and_saveexec_b32 s36, s14
; %bb.601:                              ;   in Loop: Header=BB6_400 Depth=4
	v_lshrrev_b32_e32 v35, 16, v41
	v_cmp_lt_u16_e32 vcc_lo, 0x7c00, v40
	s_delay_alu instid0(VALU_DEP_2) | instskip(SKIP_1) | instid1(VALU_DEP_1)
	v_cmp_gt_f16_e64 s14, v41, v35
	s_and_b32 s13, s13, vcc_lo
	v_cndmask_b32_e64 v35, v41, v35, s14
	s_delay_alu instid0(VALU_DEP_1)
	v_cndmask_b32_e64 v35, v35, 0x7fff, s13
; %bb.602:                              ;   in Loop: Header=BB6_400 Depth=4
	s_or_b32 exec_lo, exec_lo, s36
.LBB6_603:                              ;   in Loop: Header=BB6_400 Depth=4
	s_delay_alu instid0(SALU_CYCLE_1)
	s_or_b32 exec_lo, exec_lo, s15
.LBB6_604:                              ;   in Loop: Header=BB6_400 Depth=4
	v_mov_b32_e32 v43, v20
	v_lshrrev_b32_e32 v42, 16, v16
	s_mov_b32 s15, -1
	s_and_not1_b32 vcc_lo, exec_lo, s35
	s_delay_alu instid0(VALU_DEP_2) | instskip(NEXT) | instid1(VALU_DEP_2)
	v_lshrrev_b32_e32 v40, 16, v43
	v_and_b32_e32 v41, 0x7fff, v42
	s_delay_alu instid0(VALU_DEP_2) | instskip(NEXT) | instid1(VALU_DEP_1)
	v_and_b32_e32 v20, 0x7fff, v40
	v_cmp_lt_u16_e64 s13, 0x7c00, v20
	v_mov_b32_e32 v20, v21
	s_delay_alu instid0(VALU_DEP_4) | instskip(SKIP_2) | instid1(VALU_DEP_3)
	v_cmp_gt_u16_e64 s14, 0x7c01, v41
	v_mov_b32_e32 v21, v17
	v_perm_b32 v17, v16, v43, 0x7060302
                                        ; implicit-def: $vgpr16
	s_and_b32 s36, s13, s14
	s_delay_alu instid0(SALU_CYCLE_1)
	s_xor_b32 s36, s36, -1
	s_cbranch_vccnz .LBB6_610
; %bb.605:                              ;   in Loop: Header=BB6_400 Depth=4
	v_mov_b32_e32 v16, v42
	s_and_saveexec_b32 s37, s36
	s_cbranch_execz .LBB6_609
; %bb.606:                              ;   in Loop: Header=BB6_400 Depth=4
	v_mov_b32_e32 v16, v40
	s_or_b32 s15, s13, s14
	s_delay_alu instid0(SALU_CYCLE_1)
	s_and_saveexec_b32 s38, s15
; %bb.607:                              ;   in Loop: Header=BB6_400 Depth=4
	v_lshrrev_b32_e32 v16, 16, v17
	v_cmp_lt_u16_e32 vcc_lo, 0x7c00, v41
	s_delay_alu instid0(VALU_DEP_2) | instskip(NEXT) | instid1(VALU_DEP_1)
	v_cmp_gt_f16_e64 s15, v17, v16
	v_cndmask_b32_e64 v16, v16, v17, s15
	s_and_b32 s15, s13, vcc_lo
	s_delay_alu instid0(VALU_DEP_1) | instid1(SALU_CYCLE_1)
	v_cndmask_b32_e64 v16, v16, 0x7fff, s15
; %bb.608:                              ;   in Loop: Header=BB6_400 Depth=4
	s_or_b32 exec_lo, exec_lo, s38
.LBB6_609:                              ;   in Loop: Header=BB6_400 Depth=4
	s_delay_alu instid0(SALU_CYCLE_1)
	s_or_b32 exec_lo, exec_lo, s37
	s_mov_b32 s15, 0
.LBB6_610:                              ;   in Loop: Header=BB6_400 Depth=4
	s_delay_alu instid0(SALU_CYCLE_1)
	s_and_not1_b32 vcc_lo, exec_lo, s15
	s_cbranch_vccnz .LBB6_616
; %bb.611:                              ;   in Loop: Header=BB6_400 Depth=4
	s_and_saveexec_b32 s15, s36
	s_cbranch_execz .LBB6_615
; %bb.612:                              ;   in Loop: Header=BB6_400 Depth=4
	s_or_b32 s14, s13, s14
	s_delay_alu instid0(SALU_CYCLE_1)
	s_and_saveexec_b32 s36, s14
; %bb.613:                              ;   in Loop: Header=BB6_400 Depth=4
	v_lshrrev_b32_e32 v16, 16, v17
	v_cmp_lt_u16_e32 vcc_lo, 0x7c00, v41
	s_delay_alu instid0(VALU_DEP_2) | instskip(SKIP_1) | instid1(VALU_DEP_1)
	v_cmp_gt_f16_e64 s14, v17, v16
	s_and_b32 s13, s13, vcc_lo
	v_cndmask_b32_e64 v16, v17, v16, s14
	s_delay_alu instid0(VALU_DEP_1)
	v_cndmask_b32_e64 v40, v16, 0x7fff, s13
; %bb.614:                              ;   in Loop: Header=BB6_400 Depth=4
	s_or_b32 exec_lo, exec_lo, s36
	s_delay_alu instid0(VALU_DEP_1)
	v_mov_b32_e32 v42, v40
.LBB6_615:                              ;   in Loop: Header=BB6_400 Depth=4
	s_or_b32 exec_lo, exec_lo, s15
	s_delay_alu instid0(VALU_DEP_1)
	v_mov_b32_e32 v16, v42
.LBB6_616:                              ;   in Loop: Header=BB6_400 Depth=4
	v_and_b32_e32 v17, 0x7fff, v20
	v_and_b32_e32 v40, 0x7fff, v21
	v_perm_b32 v41, v21, v20, 0x5040100
	s_mov_b32 s15, -1
	s_and_not1_b32 vcc_lo, exec_lo, s35
	v_cmp_lt_u16_e64 s13, 0x7c00, v17
	v_cmp_gt_u16_e64 s14, 0x7c01, v40
                                        ; implicit-def: $vgpr17
	s_delay_alu instid0(VALU_DEP_1) | instskip(NEXT) | instid1(SALU_CYCLE_1)
	s_and_b32 s36, s13, s14
	s_xor_b32 s36, s36, -1
	s_cbranch_vccnz .LBB6_622
; %bb.617:                              ;   in Loop: Header=BB6_400 Depth=4
	v_mov_b32_e32 v17, v21
	s_and_saveexec_b32 s37, s36
	s_cbranch_execz .LBB6_621
; %bb.618:                              ;   in Loop: Header=BB6_400 Depth=4
	v_mov_b32_e32 v17, v20
	s_or_b32 s15, s13, s14
	s_delay_alu instid0(SALU_CYCLE_1)
	s_and_saveexec_b32 s38, s15
; %bb.619:                              ;   in Loop: Header=BB6_400 Depth=4
	v_lshrrev_b32_e32 v17, 16, v41
	v_cmp_lt_u16_e32 vcc_lo, 0x7c00, v40
	s_delay_alu instid0(VALU_DEP_2) | instskip(NEXT) | instid1(VALU_DEP_1)
	v_cmp_gt_f16_e64 s15, v41, v17
	v_cndmask_b32_e64 v17, v17, v41, s15
	s_and_b32 s15, s13, vcc_lo
	s_delay_alu instid0(VALU_DEP_1) | instid1(SALU_CYCLE_1)
	v_cndmask_b32_e64 v17, v17, 0x7fff, s15
; %bb.620:                              ;   in Loop: Header=BB6_400 Depth=4
	s_or_b32 exec_lo, exec_lo, s38
.LBB6_621:                              ;   in Loop: Header=BB6_400 Depth=4
	s_delay_alu instid0(SALU_CYCLE_1)
	s_or_b32 exec_lo, exec_lo, s37
	s_mov_b32 s15, 0
.LBB6_622:                              ;   in Loop: Header=BB6_400 Depth=4
	s_delay_alu instid0(SALU_CYCLE_1)
	s_and_not1_b32 vcc_lo, exec_lo, s15
	s_cbranch_vccnz .LBB6_628
; %bb.623:                              ;   in Loop: Header=BB6_400 Depth=4
	v_mov_b32_e32 v17, v21
	s_and_saveexec_b32 s15, s36
	s_cbranch_execz .LBB6_627
; %bb.624:                              ;   in Loop: Header=BB6_400 Depth=4
	v_mov_b32_e32 v17, v20
	s_or_b32 s14, s13, s14
	s_delay_alu instid0(SALU_CYCLE_1)
	s_and_saveexec_b32 s36, s14
; %bb.625:                              ;   in Loop: Header=BB6_400 Depth=4
	v_lshrrev_b32_e32 v17, 16, v41
	v_cmp_lt_u16_e32 vcc_lo, 0x7c00, v40
	s_delay_alu instid0(VALU_DEP_2) | instskip(SKIP_1) | instid1(VALU_DEP_1)
	v_cmp_gt_f16_e64 s14, v41, v17
	s_and_b32 s13, s13, vcc_lo
	v_cndmask_b32_e64 v17, v41, v17, s14
	s_delay_alu instid0(VALU_DEP_1)
	v_cndmask_b32_e64 v17, v17, 0x7fff, s13
; %bb.626:                              ;   in Loop: Header=BB6_400 Depth=4
	s_or_b32 exec_lo, exec_lo, s36
.LBB6_627:                              ;   in Loop: Header=BB6_400 Depth=4
	s_delay_alu instid0(SALU_CYCLE_1)
	s_or_b32 exec_lo, exec_lo, s15
.LBB6_628:                              ;   in Loop: Header=BB6_400 Depth=4
	v_lshrrev_b32_e32 v40, 16, v20
	v_lshrrev_b32_e32 v42, 16, v21
	v_perm_b32 v21, v21, v20, 0x7060302
	s_mov_b32 s15, -1
	s_and_not1_b32 vcc_lo, exec_lo, s35
	v_and_b32_e32 v43, 0x7fff, v40
	v_and_b32_e32 v41, 0x7fff, v42
                                        ; implicit-def: $vgpr20
	s_delay_alu instid0(VALU_DEP_2) | instskip(NEXT) | instid1(VALU_DEP_2)
	v_cmp_lt_u16_e64 s13, 0x7c00, v43
	v_cmp_gt_u16_e64 s14, 0x7c01, v41
	s_delay_alu instid0(VALU_DEP_1) | instskip(NEXT) | instid1(SALU_CYCLE_1)
	s_and_b32 s36, s13, s14
	s_xor_b32 s36, s36, -1
	s_cbranch_vccnz .LBB6_634
; %bb.629:                              ;   in Loop: Header=BB6_400 Depth=4
	v_mov_b32_e32 v20, v42
	s_and_saveexec_b32 s37, s36
	s_cbranch_execz .LBB6_633
; %bb.630:                              ;   in Loop: Header=BB6_400 Depth=4
	v_mov_b32_e32 v20, v40
	s_or_b32 s15, s13, s14
	s_delay_alu instid0(SALU_CYCLE_1)
	s_and_saveexec_b32 s38, s15
; %bb.631:                              ;   in Loop: Header=BB6_400 Depth=4
	v_lshrrev_b32_e32 v20, 16, v21
	v_cmp_lt_u16_e32 vcc_lo, 0x7c00, v41
	s_delay_alu instid0(VALU_DEP_2) | instskip(NEXT) | instid1(VALU_DEP_1)
	v_cmp_gt_f16_e64 s15, v21, v20
	v_cndmask_b32_e64 v20, v20, v21, s15
	s_and_b32 s15, s13, vcc_lo
	s_delay_alu instid0(VALU_DEP_1) | instid1(SALU_CYCLE_1)
	v_cndmask_b32_e64 v20, v20, 0x7fff, s15
; %bb.632:                              ;   in Loop: Header=BB6_400 Depth=4
	s_or_b32 exec_lo, exec_lo, s38
.LBB6_633:                              ;   in Loop: Header=BB6_400 Depth=4
	s_delay_alu instid0(SALU_CYCLE_1)
	s_or_b32 exec_lo, exec_lo, s37
	s_mov_b32 s15, 0
.LBB6_634:                              ;   in Loop: Header=BB6_400 Depth=4
	s_delay_alu instid0(SALU_CYCLE_1)
	s_and_not1_b32 vcc_lo, exec_lo, s15
	s_cbranch_vccnz .LBB6_640
; %bb.635:                              ;   in Loop: Header=BB6_400 Depth=4
	s_and_saveexec_b32 s15, s36
	s_cbranch_execz .LBB6_639
; %bb.636:                              ;   in Loop: Header=BB6_400 Depth=4
	s_or_b32 s14, s13, s14
	s_delay_alu instid0(SALU_CYCLE_1)
	s_and_saveexec_b32 s36, s14
; %bb.637:                              ;   in Loop: Header=BB6_400 Depth=4
	v_lshrrev_b32_e32 v20, 16, v21
	v_cmp_lt_u16_e32 vcc_lo, 0x7c00, v41
	s_delay_alu instid0(VALU_DEP_2) | instskip(SKIP_1) | instid1(VALU_DEP_1)
	v_cmp_gt_f16_e64 s14, v21, v20
	s_and_b32 s13, s13, vcc_lo
	v_cndmask_b32_e64 v20, v21, v20, s14
	s_delay_alu instid0(VALU_DEP_1)
	v_cndmask_b32_e64 v40, v20, 0x7fff, s13
; %bb.638:                              ;   in Loop: Header=BB6_400 Depth=4
	s_or_b32 exec_lo, exec_lo, s36
	s_delay_alu instid0(VALU_DEP_1)
	v_mov_b32_e32 v42, v40
.LBB6_639:                              ;   in Loop: Header=BB6_400 Depth=4
	s_or_b32 exec_lo, exec_lo, s15
	s_delay_alu instid0(VALU_DEP_1)
	v_mov_b32_e32 v20, v42
.LBB6_640:                              ;   in Loop: Header=BB6_400 Depth=4
	v_and_b32_e32 v21, 0x7fff, v22
	v_and_b32_e32 v40, 0x7fff, v18
	v_perm_b32 v41, v18, v22, 0x5040100
	s_mov_b32 s15, -1
	s_and_not1_b32 vcc_lo, exec_lo, s35
	v_cmp_lt_u16_e64 s13, 0x7c00, v21
	v_cmp_gt_u16_e64 s14, 0x7c01, v40
                                        ; implicit-def: $vgpr21
	s_delay_alu instid0(VALU_DEP_1) | instskip(NEXT) | instid1(SALU_CYCLE_1)
	s_and_b32 s36, s13, s14
	s_xor_b32 s36, s36, -1
	s_cbranch_vccnz .LBB6_646
; %bb.641:                              ;   in Loop: Header=BB6_400 Depth=4
	v_mov_b32_e32 v21, v18
	s_and_saveexec_b32 s37, s36
	s_cbranch_execz .LBB6_645
; %bb.642:                              ;   in Loop: Header=BB6_400 Depth=4
	v_mov_b32_e32 v21, v22
	s_or_b32 s15, s13, s14
	s_delay_alu instid0(SALU_CYCLE_1)
	s_and_saveexec_b32 s38, s15
; %bb.643:                              ;   in Loop: Header=BB6_400 Depth=4
	v_lshrrev_b32_e32 v21, 16, v41
	v_cmp_lt_u16_e32 vcc_lo, 0x7c00, v40
	s_delay_alu instid0(VALU_DEP_2) | instskip(NEXT) | instid1(VALU_DEP_1)
	v_cmp_gt_f16_e64 s15, v41, v21
	v_cndmask_b32_e64 v21, v21, v41, s15
	s_and_b32 s15, s13, vcc_lo
	s_delay_alu instid0(VALU_DEP_1) | instid1(SALU_CYCLE_1)
	v_cndmask_b32_e64 v21, v21, 0x7fff, s15
; %bb.644:                              ;   in Loop: Header=BB6_400 Depth=4
	s_or_b32 exec_lo, exec_lo, s38
.LBB6_645:                              ;   in Loop: Header=BB6_400 Depth=4
	s_delay_alu instid0(SALU_CYCLE_1)
	s_or_b32 exec_lo, exec_lo, s37
	s_mov_b32 s15, 0
.LBB6_646:                              ;   in Loop: Header=BB6_400 Depth=4
	s_delay_alu instid0(SALU_CYCLE_1)
	s_and_not1_b32 vcc_lo, exec_lo, s15
	s_cbranch_vccnz .LBB6_652
; %bb.647:                              ;   in Loop: Header=BB6_400 Depth=4
	v_mov_b32_e32 v21, v18
	s_and_saveexec_b32 s15, s36
	s_cbranch_execz .LBB6_651
; %bb.648:                              ;   in Loop: Header=BB6_400 Depth=4
	v_mov_b32_e32 v21, v22
	s_or_b32 s14, s13, s14
	s_delay_alu instid0(SALU_CYCLE_1)
	s_and_saveexec_b32 s36, s14
; %bb.649:                              ;   in Loop: Header=BB6_400 Depth=4
	v_lshrrev_b32_e32 v21, 16, v41
	v_cmp_lt_u16_e32 vcc_lo, 0x7c00, v40
	s_delay_alu instid0(VALU_DEP_2) | instskip(SKIP_1) | instid1(VALU_DEP_1)
	v_cmp_gt_f16_e64 s14, v41, v21
	s_and_b32 s13, s13, vcc_lo
	v_cndmask_b32_e64 v21, v41, v21, s14
	s_delay_alu instid0(VALU_DEP_1)
	v_cndmask_b32_e64 v21, v21, 0x7fff, s13
; %bb.650:                              ;   in Loop: Header=BB6_400 Depth=4
	s_or_b32 exec_lo, exec_lo, s36
.LBB6_651:                              ;   in Loop: Header=BB6_400 Depth=4
	s_delay_alu instid0(SALU_CYCLE_1)
	s_or_b32 exec_lo, exec_lo, s15
.LBB6_652:                              ;   in Loop: Header=BB6_400 Depth=4
	v_mov_b32_e32 v42, v22
	v_lshrrev_b32_e32 v41, 16, v18
	s_mov_b32 s15, -1
	s_and_not1_b32 vcc_lo, exec_lo, s35
	s_delay_alu instid0(VALU_DEP_2) | instskip(NEXT) | instid1(VALU_DEP_2)
	v_lshrrev_b32_e32 v22, 16, v42
	v_and_b32_e32 v40, 0x7fff, v41
	s_delay_alu instid0(VALU_DEP_2) | instskip(NEXT) | instid1(VALU_DEP_2)
	v_and_b32_e32 v43, 0x7fff, v22
	v_cmp_gt_u16_e64 s14, 0x7c01, v40
	v_perm_b32 v42, v18, v42, 0x7060302
                                        ; implicit-def: $vgpr18
	s_delay_alu instid0(VALU_DEP_3) | instskip(NEXT) | instid1(VALU_DEP_1)
	v_cmp_lt_u16_e64 s13, 0x7c00, v43
	s_and_b32 s36, s13, s14
	s_delay_alu instid0(SALU_CYCLE_1)
	s_xor_b32 s36, s36, -1
	s_cbranch_vccnz .LBB6_658
; %bb.653:                              ;   in Loop: Header=BB6_400 Depth=4
	v_mov_b32_e32 v18, v41
	s_and_saveexec_b32 s37, s36
	s_cbranch_execz .LBB6_657
; %bb.654:                              ;   in Loop: Header=BB6_400 Depth=4
	v_mov_b32_e32 v18, v22
	s_or_b32 s15, s13, s14
	s_delay_alu instid0(SALU_CYCLE_1)
	s_and_saveexec_b32 s38, s15
; %bb.655:                              ;   in Loop: Header=BB6_400 Depth=4
	v_lshrrev_b32_e32 v18, 16, v42
	v_cmp_lt_u16_e32 vcc_lo, 0x7c00, v40
	s_delay_alu instid0(VALU_DEP_2) | instskip(NEXT) | instid1(VALU_DEP_1)
	v_cmp_gt_f16_e64 s15, v42, v18
	v_cndmask_b32_e64 v18, v18, v42, s15
	s_and_b32 s15, s13, vcc_lo
	s_delay_alu instid0(VALU_DEP_1) | instid1(SALU_CYCLE_1)
	v_cndmask_b32_e64 v18, v18, 0x7fff, s15
; %bb.656:                              ;   in Loop: Header=BB6_400 Depth=4
	s_or_b32 exec_lo, exec_lo, s38
.LBB6_657:                              ;   in Loop: Header=BB6_400 Depth=4
	s_delay_alu instid0(SALU_CYCLE_1)
	s_or_b32 exec_lo, exec_lo, s37
	s_mov_b32 s15, 0
.LBB6_658:                              ;   in Loop: Header=BB6_400 Depth=4
	s_delay_alu instid0(SALU_CYCLE_1)
	s_and_not1_b32 vcc_lo, exec_lo, s15
	s_cbranch_vccnz .LBB6_664
; %bb.659:                              ;   in Loop: Header=BB6_400 Depth=4
	s_and_saveexec_b32 s15, s36
	s_cbranch_execz .LBB6_663
; %bb.660:                              ;   in Loop: Header=BB6_400 Depth=4
	s_or_b32 s14, s13, s14
	s_delay_alu instid0(SALU_CYCLE_1)
	s_and_saveexec_b32 s36, s14
; %bb.661:                              ;   in Loop: Header=BB6_400 Depth=4
	v_lshrrev_b32_e32 v18, 16, v42
	v_cmp_lt_u16_e32 vcc_lo, 0x7c00, v40
	s_delay_alu instid0(VALU_DEP_2) | instskip(SKIP_1) | instid1(VALU_DEP_1)
	v_cmp_gt_f16_e64 s14, v42, v18
	s_and_b32 s13, s13, vcc_lo
	v_cndmask_b32_e64 v18, v42, v18, s14
	s_delay_alu instid0(VALU_DEP_1)
	v_cndmask_b32_e64 v22, v18, 0x7fff, s13
; %bb.662:                              ;   in Loop: Header=BB6_400 Depth=4
	s_or_b32 exec_lo, exec_lo, s36
	s_delay_alu instid0(VALU_DEP_1)
	v_mov_b32_e32 v41, v22
.LBB6_663:                              ;   in Loop: Header=BB6_400 Depth=4
	s_or_b32 exec_lo, exec_lo, s15
	s_delay_alu instid0(VALU_DEP_1)
	v_mov_b32_e32 v18, v41
.LBB6_664:                              ;   in Loop: Header=BB6_400 Depth=4
	v_and_b32_e32 v22, 0x7fff, v23
	v_and_b32_e32 v40, 0x7fff, v19
	v_perm_b32 v41, v19, v23, 0x5040100
	s_mov_b32 s15, -1
	s_and_not1_b32 vcc_lo, exec_lo, s35
	v_cmp_lt_u16_e64 s13, 0x7c00, v22
	v_cmp_gt_u16_e64 s14, 0x7c01, v40
                                        ; implicit-def: $vgpr22
	s_delay_alu instid0(VALU_DEP_1) | instskip(NEXT) | instid1(SALU_CYCLE_1)
	s_and_b32 s36, s13, s14
	s_xor_b32 s36, s36, -1
	s_cbranch_vccnz .LBB6_670
; %bb.665:                              ;   in Loop: Header=BB6_400 Depth=4
	v_mov_b32_e32 v22, v19
	s_and_saveexec_b32 s37, s36
	s_cbranch_execz .LBB6_669
; %bb.666:                              ;   in Loop: Header=BB6_400 Depth=4
	v_mov_b32_e32 v22, v23
	s_or_b32 s15, s13, s14
	s_delay_alu instid0(SALU_CYCLE_1)
	s_and_saveexec_b32 s38, s15
; %bb.667:                              ;   in Loop: Header=BB6_400 Depth=4
	v_lshrrev_b32_e32 v22, 16, v41
	v_cmp_lt_u16_e32 vcc_lo, 0x7c00, v40
	s_delay_alu instid0(VALU_DEP_2) | instskip(NEXT) | instid1(VALU_DEP_1)
	v_cmp_gt_f16_e64 s15, v41, v22
	v_cndmask_b32_e64 v22, v22, v41, s15
	s_and_b32 s15, s13, vcc_lo
	s_delay_alu instid0(VALU_DEP_1) | instid1(SALU_CYCLE_1)
	v_cndmask_b32_e64 v22, v22, 0x7fff, s15
; %bb.668:                              ;   in Loop: Header=BB6_400 Depth=4
	s_or_b32 exec_lo, exec_lo, s38
.LBB6_669:                              ;   in Loop: Header=BB6_400 Depth=4
	s_delay_alu instid0(SALU_CYCLE_1)
	s_or_b32 exec_lo, exec_lo, s37
	s_mov_b32 s15, 0
.LBB6_670:                              ;   in Loop: Header=BB6_400 Depth=4
	s_delay_alu instid0(SALU_CYCLE_1)
	s_and_not1_b32 vcc_lo, exec_lo, s15
	s_cbranch_vccnz .LBB6_676
; %bb.671:                              ;   in Loop: Header=BB6_400 Depth=4
	v_mov_b32_e32 v22, v19
	s_and_saveexec_b32 s15, s36
	s_cbranch_execz .LBB6_675
; %bb.672:                              ;   in Loop: Header=BB6_400 Depth=4
	v_mov_b32_e32 v22, v23
	s_or_b32 s14, s13, s14
	s_delay_alu instid0(SALU_CYCLE_1)
	s_and_saveexec_b32 s36, s14
; %bb.673:                              ;   in Loop: Header=BB6_400 Depth=4
	v_lshrrev_b32_e32 v22, 16, v41
	v_cmp_lt_u16_e32 vcc_lo, 0x7c00, v40
	s_delay_alu instid0(VALU_DEP_2) | instskip(SKIP_1) | instid1(VALU_DEP_1)
	v_cmp_gt_f16_e64 s14, v41, v22
	s_and_b32 s13, s13, vcc_lo
	v_cndmask_b32_e64 v22, v41, v22, s14
	s_delay_alu instid0(VALU_DEP_1)
	v_cndmask_b32_e64 v22, v22, 0x7fff, s13
; %bb.674:                              ;   in Loop: Header=BB6_400 Depth=4
	s_or_b32 exec_lo, exec_lo, s36
.LBB6_675:                              ;   in Loop: Header=BB6_400 Depth=4
	s_delay_alu instid0(SALU_CYCLE_1)
	s_or_b32 exec_lo, exec_lo, s15
.LBB6_676:                              ;   in Loop: Header=BB6_400 Depth=4
	v_lshrrev_b32_e32 v40, 16, v23
	v_lshrrev_b32_e32 v42, 16, v19
	v_perm_b32 v23, v19, v23, 0x7060302
	s_mov_b32 s15, -1
	s_and_not1_b32 vcc_lo, exec_lo, s35
	v_and_b32_e32 v43, 0x7fff, v40
	v_and_b32_e32 v41, 0x7fff, v42
                                        ; implicit-def: $vgpr19
	s_delay_alu instid0(VALU_DEP_2) | instskip(NEXT) | instid1(VALU_DEP_2)
	v_cmp_lt_u16_e64 s13, 0x7c00, v43
	v_cmp_gt_u16_e64 s14, 0x7c01, v41
	s_delay_alu instid0(VALU_DEP_1) | instskip(NEXT) | instid1(SALU_CYCLE_1)
	s_and_b32 s36, s13, s14
	s_xor_b32 s36, s36, -1
	s_cbranch_vccnz .LBB6_682
; %bb.677:                              ;   in Loop: Header=BB6_400 Depth=4
	v_mov_b32_e32 v19, v42
	s_and_saveexec_b32 s37, s36
	s_cbranch_execz .LBB6_681
; %bb.678:                              ;   in Loop: Header=BB6_400 Depth=4
	v_mov_b32_e32 v19, v40
	s_or_b32 s15, s13, s14
	s_delay_alu instid0(SALU_CYCLE_1)
	s_and_saveexec_b32 s38, s15
; %bb.679:                              ;   in Loop: Header=BB6_400 Depth=4
	v_lshrrev_b32_e32 v19, 16, v23
	v_cmp_lt_u16_e32 vcc_lo, 0x7c00, v41
	s_delay_alu instid0(VALU_DEP_2) | instskip(NEXT) | instid1(VALU_DEP_1)
	v_cmp_gt_f16_e64 s15, v23, v19
	v_cndmask_b32_e64 v19, v19, v23, s15
	s_and_b32 s15, s13, vcc_lo
	s_delay_alu instid0(VALU_DEP_1) | instid1(SALU_CYCLE_1)
	v_cndmask_b32_e64 v19, v19, 0x7fff, s15
; %bb.680:                              ;   in Loop: Header=BB6_400 Depth=4
	s_or_b32 exec_lo, exec_lo, s38
.LBB6_681:                              ;   in Loop: Header=BB6_400 Depth=4
	s_delay_alu instid0(SALU_CYCLE_1)
	s_or_b32 exec_lo, exec_lo, s37
	s_mov_b32 s15, 0
.LBB6_682:                              ;   in Loop: Header=BB6_400 Depth=4
	s_delay_alu instid0(SALU_CYCLE_1)
	s_and_not1_b32 vcc_lo, exec_lo, s15
	s_cbranch_vccnz .LBB6_688
; %bb.683:                              ;   in Loop: Header=BB6_400 Depth=4
	s_and_saveexec_b32 s15, s36
	s_cbranch_execz .LBB6_687
; %bb.684:                              ;   in Loop: Header=BB6_400 Depth=4
	s_or_b32 s14, s13, s14
	s_delay_alu instid0(SALU_CYCLE_1)
	s_and_saveexec_b32 s36, s14
; %bb.685:                              ;   in Loop: Header=BB6_400 Depth=4
	v_lshrrev_b32_e32 v19, 16, v23
	v_cmp_lt_u16_e32 vcc_lo, 0x7c00, v41
	s_delay_alu instid0(VALU_DEP_2) | instskip(SKIP_1) | instid1(VALU_DEP_1)
	v_cmp_gt_f16_e64 s14, v23, v19
	s_and_b32 s13, s13, vcc_lo
	v_cndmask_b32_e64 v19, v23, v19, s14
	s_delay_alu instid0(VALU_DEP_1)
	v_cndmask_b32_e64 v40, v19, 0x7fff, s13
; %bb.686:                              ;   in Loop: Header=BB6_400 Depth=4
	s_or_b32 exec_lo, exec_lo, s36
	s_delay_alu instid0(VALU_DEP_1)
	v_mov_b32_e32 v42, v40
.LBB6_687:                              ;   in Loop: Header=BB6_400 Depth=4
	s_or_b32 exec_lo, exec_lo, s15
	s_delay_alu instid0(VALU_DEP_1)
	v_mov_b32_e32 v19, v42
.LBB6_688:                              ;   in Loop: Header=BB6_400 Depth=4
	v_and_b32_e32 v23, 0x7fff, v12
	s_waitcnt vmcnt(0)
	v_and_b32_e32 v40, 0x7fff, v8
	v_perm_b32 v41, v8, v12, 0x5040100
	s_mov_b32 s15, -1
	s_and_not1_b32 vcc_lo, exec_lo, s35
	v_cmp_lt_u16_e64 s13, 0x7c00, v23
	v_cmp_gt_u16_e64 s14, 0x7c01, v40
                                        ; implicit-def: $vgpr23
	s_delay_alu instid0(VALU_DEP_1) | instskip(NEXT) | instid1(SALU_CYCLE_1)
	s_and_b32 s36, s13, s14
	s_xor_b32 s36, s36, -1
	s_cbranch_vccnz .LBB6_694
; %bb.689:                              ;   in Loop: Header=BB6_400 Depth=4
	v_mov_b32_e32 v23, v8
	s_and_saveexec_b32 s37, s36
	s_cbranch_execz .LBB6_693
; %bb.690:                              ;   in Loop: Header=BB6_400 Depth=4
	v_mov_b32_e32 v23, v12
	s_or_b32 s15, s13, s14
	s_delay_alu instid0(SALU_CYCLE_1)
	s_and_saveexec_b32 s38, s15
; %bb.691:                              ;   in Loop: Header=BB6_400 Depth=4
	v_lshrrev_b32_e32 v23, 16, v41
	v_cmp_lt_u16_e32 vcc_lo, 0x7c00, v40
	s_delay_alu instid0(VALU_DEP_2) | instskip(NEXT) | instid1(VALU_DEP_1)
	v_cmp_gt_f16_e64 s15, v41, v23
	v_cndmask_b32_e64 v23, v23, v41, s15
	s_and_b32 s15, s13, vcc_lo
	s_delay_alu instid0(VALU_DEP_1) | instid1(SALU_CYCLE_1)
	v_cndmask_b32_e64 v23, v23, 0x7fff, s15
; %bb.692:                              ;   in Loop: Header=BB6_400 Depth=4
	s_or_b32 exec_lo, exec_lo, s38
.LBB6_693:                              ;   in Loop: Header=BB6_400 Depth=4
	s_delay_alu instid0(SALU_CYCLE_1)
	s_or_b32 exec_lo, exec_lo, s37
	s_mov_b32 s15, 0
.LBB6_694:                              ;   in Loop: Header=BB6_400 Depth=4
	s_delay_alu instid0(SALU_CYCLE_1)
	s_and_not1_b32 vcc_lo, exec_lo, s15
	s_cbranch_vccnz .LBB6_700
; %bb.695:                              ;   in Loop: Header=BB6_400 Depth=4
	v_mov_b32_e32 v23, v8
	s_and_saveexec_b32 s15, s36
	s_cbranch_execz .LBB6_699
; %bb.696:                              ;   in Loop: Header=BB6_400 Depth=4
	v_mov_b32_e32 v23, v12
	s_or_b32 s14, s13, s14
	s_delay_alu instid0(SALU_CYCLE_1)
	s_and_saveexec_b32 s36, s14
; %bb.697:                              ;   in Loop: Header=BB6_400 Depth=4
	v_lshrrev_b32_e32 v23, 16, v41
	v_cmp_lt_u16_e32 vcc_lo, 0x7c00, v40
	s_delay_alu instid0(VALU_DEP_2) | instskip(SKIP_1) | instid1(VALU_DEP_1)
	v_cmp_gt_f16_e64 s14, v41, v23
	s_and_b32 s13, s13, vcc_lo
	v_cndmask_b32_e64 v23, v41, v23, s14
	s_delay_alu instid0(VALU_DEP_1)
	v_cndmask_b32_e64 v23, v23, 0x7fff, s13
; %bb.698:                              ;   in Loop: Header=BB6_400 Depth=4
	s_or_b32 exec_lo, exec_lo, s36
.LBB6_699:                              ;   in Loop: Header=BB6_400 Depth=4
	s_delay_alu instid0(SALU_CYCLE_1)
	s_or_b32 exec_lo, exec_lo, s15
.LBB6_700:                              ;   in Loop: Header=BB6_400 Depth=4
	v_mov_b32_e32 v43, v12
	v_lshrrev_b32_e32 v42, 16, v8
	s_mov_b32 s15, -1
	s_and_not1_b32 vcc_lo, exec_lo, s35
	s_delay_alu instid0(VALU_DEP_2) | instskip(NEXT) | instid1(VALU_DEP_2)
	v_lshrrev_b32_e32 v40, 16, v43
	v_and_b32_e32 v41, 0x7fff, v42
	s_delay_alu instid0(VALU_DEP_2) | instskip(NEXT) | instid1(VALU_DEP_1)
	v_and_b32_e32 v12, 0x7fff, v40
	v_cmp_lt_u16_e64 s13, 0x7c00, v12
	v_mov_b32_e32 v12, v13
	s_delay_alu instid0(VALU_DEP_4) | instskip(SKIP_2) | instid1(VALU_DEP_3)
	v_cmp_gt_u16_e64 s14, 0x7c01, v41
	v_mov_b32_e32 v13, v9
	v_perm_b32 v9, v8, v43, 0x7060302
                                        ; implicit-def: $vgpr8
	s_and_b32 s36, s13, s14
	s_delay_alu instid0(SALU_CYCLE_1)
	s_xor_b32 s36, s36, -1
	s_cbranch_vccnz .LBB6_706
; %bb.701:                              ;   in Loop: Header=BB6_400 Depth=4
	v_mov_b32_e32 v8, v42
	s_and_saveexec_b32 s37, s36
	s_cbranch_execz .LBB6_705
; %bb.702:                              ;   in Loop: Header=BB6_400 Depth=4
	v_mov_b32_e32 v8, v40
	s_or_b32 s15, s13, s14
	s_delay_alu instid0(SALU_CYCLE_1)
	s_and_saveexec_b32 s38, s15
; %bb.703:                              ;   in Loop: Header=BB6_400 Depth=4
	v_lshrrev_b32_e32 v8, 16, v9
	v_cmp_lt_u16_e32 vcc_lo, 0x7c00, v41
	s_delay_alu instid0(VALU_DEP_2) | instskip(NEXT) | instid1(VALU_DEP_1)
	v_cmp_gt_f16_e64 s15, v9, v8
	v_cndmask_b32_e64 v8, v8, v9, s15
	s_and_b32 s15, s13, vcc_lo
	s_delay_alu instid0(VALU_DEP_1) | instid1(SALU_CYCLE_1)
	v_cndmask_b32_e64 v8, v8, 0x7fff, s15
; %bb.704:                              ;   in Loop: Header=BB6_400 Depth=4
	s_or_b32 exec_lo, exec_lo, s38
.LBB6_705:                              ;   in Loop: Header=BB6_400 Depth=4
	s_delay_alu instid0(SALU_CYCLE_1)
	s_or_b32 exec_lo, exec_lo, s37
	s_mov_b32 s15, 0
.LBB6_706:                              ;   in Loop: Header=BB6_400 Depth=4
	s_delay_alu instid0(SALU_CYCLE_1)
	s_and_not1_b32 vcc_lo, exec_lo, s15
	s_cbranch_vccnz .LBB6_712
; %bb.707:                              ;   in Loop: Header=BB6_400 Depth=4
	s_and_saveexec_b32 s15, s36
	s_cbranch_execz .LBB6_711
; %bb.708:                              ;   in Loop: Header=BB6_400 Depth=4
	s_or_b32 s14, s13, s14
	s_delay_alu instid0(SALU_CYCLE_1)
	s_and_saveexec_b32 s36, s14
; %bb.709:                              ;   in Loop: Header=BB6_400 Depth=4
	v_lshrrev_b32_e32 v8, 16, v9
	v_cmp_lt_u16_e32 vcc_lo, 0x7c00, v41
	s_delay_alu instid0(VALU_DEP_2) | instskip(SKIP_1) | instid1(VALU_DEP_1)
	v_cmp_gt_f16_e64 s14, v9, v8
	s_and_b32 s13, s13, vcc_lo
	v_cndmask_b32_e64 v8, v9, v8, s14
	s_delay_alu instid0(VALU_DEP_1)
	v_cndmask_b32_e64 v40, v8, 0x7fff, s13
; %bb.710:                              ;   in Loop: Header=BB6_400 Depth=4
	s_or_b32 exec_lo, exec_lo, s36
	s_delay_alu instid0(VALU_DEP_1)
	v_mov_b32_e32 v42, v40
.LBB6_711:                              ;   in Loop: Header=BB6_400 Depth=4
	s_or_b32 exec_lo, exec_lo, s15
	s_delay_alu instid0(VALU_DEP_1)
	v_mov_b32_e32 v8, v42
.LBB6_712:                              ;   in Loop: Header=BB6_400 Depth=4
	v_and_b32_e32 v9, 0x7fff, v12
	v_and_b32_e32 v40, 0x7fff, v13
	v_perm_b32 v41, v13, v12, 0x5040100
	s_mov_b32 s15, -1
	s_and_not1_b32 vcc_lo, exec_lo, s35
	v_cmp_lt_u16_e64 s13, 0x7c00, v9
	v_cmp_gt_u16_e64 s14, 0x7c01, v40
                                        ; implicit-def: $vgpr9
	s_delay_alu instid0(VALU_DEP_1) | instskip(NEXT) | instid1(SALU_CYCLE_1)
	s_and_b32 s36, s13, s14
	s_xor_b32 s36, s36, -1
	s_cbranch_vccnz .LBB6_718
; %bb.713:                              ;   in Loop: Header=BB6_400 Depth=4
	v_mov_b32_e32 v9, v13
	s_and_saveexec_b32 s37, s36
	s_cbranch_execz .LBB6_717
; %bb.714:                              ;   in Loop: Header=BB6_400 Depth=4
	v_mov_b32_e32 v9, v12
	s_or_b32 s15, s13, s14
	s_delay_alu instid0(SALU_CYCLE_1)
	s_and_saveexec_b32 s38, s15
; %bb.715:                              ;   in Loop: Header=BB6_400 Depth=4
	v_lshrrev_b32_e32 v9, 16, v41
	v_cmp_lt_u16_e32 vcc_lo, 0x7c00, v40
	s_delay_alu instid0(VALU_DEP_2) | instskip(NEXT) | instid1(VALU_DEP_1)
	v_cmp_gt_f16_e64 s15, v41, v9
	v_cndmask_b32_e64 v9, v9, v41, s15
	s_and_b32 s15, s13, vcc_lo
	s_delay_alu instid0(VALU_DEP_1) | instid1(SALU_CYCLE_1)
	v_cndmask_b32_e64 v9, v9, 0x7fff, s15
; %bb.716:                              ;   in Loop: Header=BB6_400 Depth=4
	s_or_b32 exec_lo, exec_lo, s38
.LBB6_717:                              ;   in Loop: Header=BB6_400 Depth=4
	s_delay_alu instid0(SALU_CYCLE_1)
	s_or_b32 exec_lo, exec_lo, s37
	s_mov_b32 s15, 0
.LBB6_718:                              ;   in Loop: Header=BB6_400 Depth=4
	s_delay_alu instid0(SALU_CYCLE_1)
	s_and_not1_b32 vcc_lo, exec_lo, s15
	s_cbranch_vccnz .LBB6_724
; %bb.719:                              ;   in Loop: Header=BB6_400 Depth=4
	v_mov_b32_e32 v9, v13
	s_and_saveexec_b32 s15, s36
	s_cbranch_execz .LBB6_723
; %bb.720:                              ;   in Loop: Header=BB6_400 Depth=4
	v_mov_b32_e32 v9, v12
	s_or_b32 s14, s13, s14
	s_delay_alu instid0(SALU_CYCLE_1)
	s_and_saveexec_b32 s36, s14
; %bb.721:                              ;   in Loop: Header=BB6_400 Depth=4
	v_lshrrev_b32_e32 v9, 16, v41
	v_cmp_lt_u16_e32 vcc_lo, 0x7c00, v40
	s_delay_alu instid0(VALU_DEP_2) | instskip(SKIP_1) | instid1(VALU_DEP_1)
	v_cmp_gt_f16_e64 s14, v41, v9
	s_and_b32 s13, s13, vcc_lo
	v_cndmask_b32_e64 v9, v41, v9, s14
	s_delay_alu instid0(VALU_DEP_1)
	v_cndmask_b32_e64 v9, v9, 0x7fff, s13
; %bb.722:                              ;   in Loop: Header=BB6_400 Depth=4
	s_or_b32 exec_lo, exec_lo, s36
.LBB6_723:                              ;   in Loop: Header=BB6_400 Depth=4
	s_delay_alu instid0(SALU_CYCLE_1)
	s_or_b32 exec_lo, exec_lo, s15
.LBB6_724:                              ;   in Loop: Header=BB6_400 Depth=4
	v_lshrrev_b32_e32 v40, 16, v12
	v_lshrrev_b32_e32 v42, 16, v13
	v_perm_b32 v13, v13, v12, 0x7060302
	s_mov_b32 s15, -1
	s_and_not1_b32 vcc_lo, exec_lo, s35
	v_and_b32_e32 v43, 0x7fff, v40
	v_and_b32_e32 v41, 0x7fff, v42
                                        ; implicit-def: $vgpr12
	s_delay_alu instid0(VALU_DEP_2) | instskip(NEXT) | instid1(VALU_DEP_2)
	v_cmp_lt_u16_e64 s13, 0x7c00, v43
	v_cmp_gt_u16_e64 s14, 0x7c01, v41
	s_delay_alu instid0(VALU_DEP_1) | instskip(NEXT) | instid1(SALU_CYCLE_1)
	s_and_b32 s36, s13, s14
	s_xor_b32 s36, s36, -1
	s_cbranch_vccnz .LBB6_730
; %bb.725:                              ;   in Loop: Header=BB6_400 Depth=4
	v_mov_b32_e32 v12, v42
	s_and_saveexec_b32 s37, s36
	s_cbranch_execz .LBB6_729
; %bb.726:                              ;   in Loop: Header=BB6_400 Depth=4
	v_mov_b32_e32 v12, v40
	s_or_b32 s15, s13, s14
	s_delay_alu instid0(SALU_CYCLE_1)
	s_and_saveexec_b32 s38, s15
; %bb.727:                              ;   in Loop: Header=BB6_400 Depth=4
	v_lshrrev_b32_e32 v12, 16, v13
	v_cmp_lt_u16_e32 vcc_lo, 0x7c00, v41
	s_delay_alu instid0(VALU_DEP_2) | instskip(NEXT) | instid1(VALU_DEP_1)
	v_cmp_gt_f16_e64 s15, v13, v12
	v_cndmask_b32_e64 v12, v12, v13, s15
	s_and_b32 s15, s13, vcc_lo
	s_delay_alu instid0(VALU_DEP_1) | instid1(SALU_CYCLE_1)
	v_cndmask_b32_e64 v12, v12, 0x7fff, s15
; %bb.728:                              ;   in Loop: Header=BB6_400 Depth=4
	s_or_b32 exec_lo, exec_lo, s38
.LBB6_729:                              ;   in Loop: Header=BB6_400 Depth=4
	s_delay_alu instid0(SALU_CYCLE_1)
	s_or_b32 exec_lo, exec_lo, s37
	s_mov_b32 s15, 0
.LBB6_730:                              ;   in Loop: Header=BB6_400 Depth=4
	s_delay_alu instid0(SALU_CYCLE_1)
	s_and_not1_b32 vcc_lo, exec_lo, s15
	s_cbranch_vccnz .LBB6_736
; %bb.731:                              ;   in Loop: Header=BB6_400 Depth=4
	s_and_saveexec_b32 s15, s36
	s_cbranch_execz .LBB6_735
; %bb.732:                              ;   in Loop: Header=BB6_400 Depth=4
	s_or_b32 s14, s13, s14
	s_delay_alu instid0(SALU_CYCLE_1)
	s_and_saveexec_b32 s36, s14
; %bb.733:                              ;   in Loop: Header=BB6_400 Depth=4
	v_lshrrev_b32_e32 v12, 16, v13
	v_cmp_lt_u16_e32 vcc_lo, 0x7c00, v41
	s_delay_alu instid0(VALU_DEP_2) | instskip(SKIP_1) | instid1(VALU_DEP_1)
	v_cmp_gt_f16_e64 s14, v13, v12
	s_and_b32 s13, s13, vcc_lo
	v_cndmask_b32_e64 v12, v13, v12, s14
	s_delay_alu instid0(VALU_DEP_1)
	v_cndmask_b32_e64 v40, v12, 0x7fff, s13
; %bb.734:                              ;   in Loop: Header=BB6_400 Depth=4
	s_or_b32 exec_lo, exec_lo, s36
	s_delay_alu instid0(VALU_DEP_1)
	v_mov_b32_e32 v42, v40
.LBB6_735:                              ;   in Loop: Header=BB6_400 Depth=4
	s_or_b32 exec_lo, exec_lo, s15
	s_delay_alu instid0(VALU_DEP_1)
	v_mov_b32_e32 v12, v42
.LBB6_736:                              ;   in Loop: Header=BB6_400 Depth=4
	v_and_b32_e32 v13, 0x7fff, v14
	v_and_b32_e32 v40, 0x7fff, v10
	v_perm_b32 v41, v10, v14, 0x5040100
	s_mov_b32 s15, -1
	s_and_not1_b32 vcc_lo, exec_lo, s35
	v_cmp_lt_u16_e64 s13, 0x7c00, v13
	v_cmp_gt_u16_e64 s14, 0x7c01, v40
                                        ; implicit-def: $vgpr13
	s_delay_alu instid0(VALU_DEP_1) | instskip(NEXT) | instid1(SALU_CYCLE_1)
	s_and_b32 s36, s13, s14
	s_xor_b32 s36, s36, -1
	s_cbranch_vccnz .LBB6_742
; %bb.737:                              ;   in Loop: Header=BB6_400 Depth=4
	v_mov_b32_e32 v13, v10
	s_and_saveexec_b32 s37, s36
	s_cbranch_execz .LBB6_741
; %bb.738:                              ;   in Loop: Header=BB6_400 Depth=4
	v_mov_b32_e32 v13, v14
	s_or_b32 s15, s13, s14
	s_delay_alu instid0(SALU_CYCLE_1)
	s_and_saveexec_b32 s38, s15
; %bb.739:                              ;   in Loop: Header=BB6_400 Depth=4
	v_lshrrev_b32_e32 v13, 16, v41
	v_cmp_lt_u16_e32 vcc_lo, 0x7c00, v40
	s_delay_alu instid0(VALU_DEP_2) | instskip(NEXT) | instid1(VALU_DEP_1)
	v_cmp_gt_f16_e64 s15, v41, v13
	v_cndmask_b32_e64 v13, v13, v41, s15
	s_and_b32 s15, s13, vcc_lo
	s_delay_alu instid0(VALU_DEP_1) | instid1(SALU_CYCLE_1)
	v_cndmask_b32_e64 v13, v13, 0x7fff, s15
; %bb.740:                              ;   in Loop: Header=BB6_400 Depth=4
	s_or_b32 exec_lo, exec_lo, s38
.LBB6_741:                              ;   in Loop: Header=BB6_400 Depth=4
	s_delay_alu instid0(SALU_CYCLE_1)
	s_or_b32 exec_lo, exec_lo, s37
	s_mov_b32 s15, 0
.LBB6_742:                              ;   in Loop: Header=BB6_400 Depth=4
	s_delay_alu instid0(SALU_CYCLE_1)
	s_and_not1_b32 vcc_lo, exec_lo, s15
	s_cbranch_vccnz .LBB6_748
; %bb.743:                              ;   in Loop: Header=BB6_400 Depth=4
	v_mov_b32_e32 v13, v10
	s_and_saveexec_b32 s15, s36
	s_cbranch_execz .LBB6_747
; %bb.744:                              ;   in Loop: Header=BB6_400 Depth=4
	v_mov_b32_e32 v13, v14
	s_or_b32 s14, s13, s14
	s_delay_alu instid0(SALU_CYCLE_1)
	s_and_saveexec_b32 s36, s14
; %bb.745:                              ;   in Loop: Header=BB6_400 Depth=4
	v_lshrrev_b32_e32 v13, 16, v41
	v_cmp_lt_u16_e32 vcc_lo, 0x7c00, v40
	s_delay_alu instid0(VALU_DEP_2) | instskip(SKIP_1) | instid1(VALU_DEP_1)
	v_cmp_gt_f16_e64 s14, v41, v13
	s_and_b32 s13, s13, vcc_lo
	v_cndmask_b32_e64 v13, v41, v13, s14
	s_delay_alu instid0(VALU_DEP_1)
	v_cndmask_b32_e64 v13, v13, 0x7fff, s13
; %bb.746:                              ;   in Loop: Header=BB6_400 Depth=4
	s_or_b32 exec_lo, exec_lo, s36
.LBB6_747:                              ;   in Loop: Header=BB6_400 Depth=4
	s_delay_alu instid0(SALU_CYCLE_1)
	s_or_b32 exec_lo, exec_lo, s15
.LBB6_748:                              ;   in Loop: Header=BB6_400 Depth=4
	v_mov_b32_e32 v42, v14
	v_lshrrev_b32_e32 v41, 16, v10
	s_mov_b32 s15, -1
	s_and_not1_b32 vcc_lo, exec_lo, s35
	s_delay_alu instid0(VALU_DEP_2) | instskip(NEXT) | instid1(VALU_DEP_2)
	v_lshrrev_b32_e32 v14, 16, v42
	v_and_b32_e32 v40, 0x7fff, v41
	s_delay_alu instid0(VALU_DEP_2) | instskip(NEXT) | instid1(VALU_DEP_2)
	v_and_b32_e32 v43, 0x7fff, v14
	v_cmp_gt_u16_e64 s14, 0x7c01, v40
	v_perm_b32 v42, v10, v42, 0x7060302
                                        ; implicit-def: $vgpr10
	s_delay_alu instid0(VALU_DEP_3) | instskip(NEXT) | instid1(VALU_DEP_1)
	v_cmp_lt_u16_e64 s13, 0x7c00, v43
	s_and_b32 s36, s13, s14
	s_delay_alu instid0(SALU_CYCLE_1)
	s_xor_b32 s36, s36, -1
	s_cbranch_vccnz .LBB6_754
; %bb.749:                              ;   in Loop: Header=BB6_400 Depth=4
	v_mov_b32_e32 v10, v41
	s_and_saveexec_b32 s37, s36
	s_cbranch_execz .LBB6_753
; %bb.750:                              ;   in Loop: Header=BB6_400 Depth=4
	v_mov_b32_e32 v10, v14
	s_or_b32 s15, s13, s14
	s_delay_alu instid0(SALU_CYCLE_1)
	s_and_saveexec_b32 s38, s15
; %bb.751:                              ;   in Loop: Header=BB6_400 Depth=4
	v_lshrrev_b32_e32 v10, 16, v42
	v_cmp_lt_u16_e32 vcc_lo, 0x7c00, v40
	s_delay_alu instid0(VALU_DEP_2) | instskip(NEXT) | instid1(VALU_DEP_1)
	v_cmp_gt_f16_e64 s15, v42, v10
	v_cndmask_b32_e64 v10, v10, v42, s15
	s_and_b32 s15, s13, vcc_lo
	s_delay_alu instid0(VALU_DEP_1) | instid1(SALU_CYCLE_1)
	v_cndmask_b32_e64 v10, v10, 0x7fff, s15
; %bb.752:                              ;   in Loop: Header=BB6_400 Depth=4
	s_or_b32 exec_lo, exec_lo, s38
.LBB6_753:                              ;   in Loop: Header=BB6_400 Depth=4
	s_delay_alu instid0(SALU_CYCLE_1)
	s_or_b32 exec_lo, exec_lo, s37
	s_mov_b32 s15, 0
.LBB6_754:                              ;   in Loop: Header=BB6_400 Depth=4
	s_delay_alu instid0(SALU_CYCLE_1)
	s_and_not1_b32 vcc_lo, exec_lo, s15
	s_cbranch_vccnz .LBB6_760
; %bb.755:                              ;   in Loop: Header=BB6_400 Depth=4
	s_and_saveexec_b32 s15, s36
	s_cbranch_execz .LBB6_759
; %bb.756:                              ;   in Loop: Header=BB6_400 Depth=4
	s_or_b32 s14, s13, s14
	s_delay_alu instid0(SALU_CYCLE_1)
	s_and_saveexec_b32 s36, s14
; %bb.757:                              ;   in Loop: Header=BB6_400 Depth=4
	v_lshrrev_b32_e32 v10, 16, v42
	v_cmp_lt_u16_e32 vcc_lo, 0x7c00, v40
	s_delay_alu instid0(VALU_DEP_2) | instskip(SKIP_1) | instid1(VALU_DEP_1)
	v_cmp_gt_f16_e64 s14, v42, v10
	s_and_b32 s13, s13, vcc_lo
	v_cndmask_b32_e64 v10, v42, v10, s14
	s_delay_alu instid0(VALU_DEP_1)
	v_cndmask_b32_e64 v14, v10, 0x7fff, s13
; %bb.758:                              ;   in Loop: Header=BB6_400 Depth=4
	s_or_b32 exec_lo, exec_lo, s36
	s_delay_alu instid0(VALU_DEP_1)
	v_mov_b32_e32 v41, v14
.LBB6_759:                              ;   in Loop: Header=BB6_400 Depth=4
	s_or_b32 exec_lo, exec_lo, s15
	s_delay_alu instid0(VALU_DEP_1)
	v_mov_b32_e32 v10, v41
.LBB6_760:                              ;   in Loop: Header=BB6_400 Depth=4
	v_and_b32_e32 v14, 0x7fff, v15
	v_and_b32_e32 v40, 0x7fff, v11
	v_perm_b32 v41, v11, v15, 0x5040100
	s_mov_b32 s15, -1
	s_and_not1_b32 vcc_lo, exec_lo, s35
	v_cmp_lt_u16_e64 s13, 0x7c00, v14
	v_cmp_gt_u16_e64 s14, 0x7c01, v40
                                        ; implicit-def: $vgpr14
	s_delay_alu instid0(VALU_DEP_1) | instskip(NEXT) | instid1(SALU_CYCLE_1)
	s_and_b32 s36, s13, s14
	s_xor_b32 s36, s36, -1
	s_cbranch_vccnz .LBB6_766
; %bb.761:                              ;   in Loop: Header=BB6_400 Depth=4
	v_mov_b32_e32 v14, v11
	s_and_saveexec_b32 s37, s36
	s_cbranch_execz .LBB6_765
; %bb.762:                              ;   in Loop: Header=BB6_400 Depth=4
	v_mov_b32_e32 v14, v15
	s_or_b32 s15, s13, s14
	s_delay_alu instid0(SALU_CYCLE_1)
	s_and_saveexec_b32 s38, s15
; %bb.763:                              ;   in Loop: Header=BB6_400 Depth=4
	v_lshrrev_b32_e32 v14, 16, v41
	v_cmp_lt_u16_e32 vcc_lo, 0x7c00, v40
	s_delay_alu instid0(VALU_DEP_2) | instskip(NEXT) | instid1(VALU_DEP_1)
	v_cmp_gt_f16_e64 s15, v41, v14
	v_cndmask_b32_e64 v14, v14, v41, s15
	s_and_b32 s15, s13, vcc_lo
	s_delay_alu instid0(VALU_DEP_1) | instid1(SALU_CYCLE_1)
	v_cndmask_b32_e64 v14, v14, 0x7fff, s15
; %bb.764:                              ;   in Loop: Header=BB6_400 Depth=4
	s_or_b32 exec_lo, exec_lo, s38
.LBB6_765:                              ;   in Loop: Header=BB6_400 Depth=4
	s_delay_alu instid0(SALU_CYCLE_1)
	s_or_b32 exec_lo, exec_lo, s37
	s_mov_b32 s15, 0
.LBB6_766:                              ;   in Loop: Header=BB6_400 Depth=4
	s_delay_alu instid0(SALU_CYCLE_1)
	s_and_not1_b32 vcc_lo, exec_lo, s15
	s_cbranch_vccnz .LBB6_772
; %bb.767:                              ;   in Loop: Header=BB6_400 Depth=4
	v_mov_b32_e32 v14, v11
	s_and_saveexec_b32 s15, s36
	s_cbranch_execz .LBB6_771
; %bb.768:                              ;   in Loop: Header=BB6_400 Depth=4
	v_mov_b32_e32 v14, v15
	s_or_b32 s14, s13, s14
	s_delay_alu instid0(SALU_CYCLE_1)
	s_and_saveexec_b32 s36, s14
; %bb.769:                              ;   in Loop: Header=BB6_400 Depth=4
	v_lshrrev_b32_e32 v14, 16, v41
	v_cmp_lt_u16_e32 vcc_lo, 0x7c00, v40
	s_delay_alu instid0(VALU_DEP_2) | instskip(SKIP_1) | instid1(VALU_DEP_1)
	v_cmp_gt_f16_e64 s14, v41, v14
	s_and_b32 s13, s13, vcc_lo
	v_cndmask_b32_e64 v14, v41, v14, s14
	s_delay_alu instid0(VALU_DEP_1)
	v_cndmask_b32_e64 v14, v14, 0x7fff, s13
; %bb.770:                              ;   in Loop: Header=BB6_400 Depth=4
	s_or_b32 exec_lo, exec_lo, s36
.LBB6_771:                              ;   in Loop: Header=BB6_400 Depth=4
	s_delay_alu instid0(SALU_CYCLE_1)
	s_or_b32 exec_lo, exec_lo, s15
.LBB6_772:                              ;   in Loop: Header=BB6_400 Depth=4
	v_lshrrev_b32_e32 v40, 16, v15
	v_lshrrev_b32_e32 v42, 16, v11
	v_perm_b32 v15, v11, v15, 0x7060302
	s_mov_b32 s15, -1
	s_and_not1_b32 vcc_lo, exec_lo, s35
	v_and_b32_e32 v43, 0x7fff, v40
	v_and_b32_e32 v41, 0x7fff, v42
                                        ; implicit-def: $vgpr11
	s_delay_alu instid0(VALU_DEP_2) | instskip(NEXT) | instid1(VALU_DEP_2)
	v_cmp_lt_u16_e64 s13, 0x7c00, v43
	v_cmp_gt_u16_e64 s14, 0x7c01, v41
	s_delay_alu instid0(VALU_DEP_1) | instskip(NEXT) | instid1(SALU_CYCLE_1)
	s_and_b32 s36, s13, s14
	s_xor_b32 s36, s36, -1
	s_cbranch_vccnz .LBB6_778
; %bb.773:                              ;   in Loop: Header=BB6_400 Depth=4
	v_mov_b32_e32 v11, v42
	s_and_saveexec_b32 s37, s36
	s_cbranch_execz .LBB6_777
; %bb.774:                              ;   in Loop: Header=BB6_400 Depth=4
	v_mov_b32_e32 v11, v40
	s_or_b32 s15, s13, s14
	s_delay_alu instid0(SALU_CYCLE_1)
	s_and_saveexec_b32 s38, s15
; %bb.775:                              ;   in Loop: Header=BB6_400 Depth=4
	v_lshrrev_b32_e32 v11, 16, v15
	v_cmp_lt_u16_e32 vcc_lo, 0x7c00, v41
	s_delay_alu instid0(VALU_DEP_2) | instskip(NEXT) | instid1(VALU_DEP_1)
	v_cmp_gt_f16_e64 s15, v15, v11
	v_cndmask_b32_e64 v11, v11, v15, s15
	s_and_b32 s15, s13, vcc_lo
	s_delay_alu instid0(VALU_DEP_1) | instid1(SALU_CYCLE_1)
	v_cndmask_b32_e64 v11, v11, 0x7fff, s15
; %bb.776:                              ;   in Loop: Header=BB6_400 Depth=4
	s_or_b32 exec_lo, exec_lo, s38
.LBB6_777:                              ;   in Loop: Header=BB6_400 Depth=4
	s_delay_alu instid0(SALU_CYCLE_1)
	s_or_b32 exec_lo, exec_lo, s37
	s_mov_b32 s15, 0
.LBB6_778:                              ;   in Loop: Header=BB6_400 Depth=4
	s_delay_alu instid0(SALU_CYCLE_1)
	s_and_not1_b32 vcc_lo, exec_lo, s15
	s_cbranch_vccnz .LBB6_399
; %bb.779:                              ;   in Loop: Header=BB6_400 Depth=4
	s_and_saveexec_b32 s15, s36
	s_cbranch_execz .LBB6_398
; %bb.780:                              ;   in Loop: Header=BB6_400 Depth=4
	s_or_b32 s14, s13, s14
	s_delay_alu instid0(SALU_CYCLE_1)
	s_and_saveexec_b32 s36, s14
	s_cbranch_execz .LBB6_397
; %bb.781:                              ;   in Loop: Header=BB6_400 Depth=4
	v_lshrrev_b32_e32 v11, 16, v15
	v_cmp_lt_u16_e32 vcc_lo, 0x7c00, v41
	s_delay_alu instid0(VALU_DEP_2) | instskip(SKIP_1) | instid1(VALU_DEP_1)
	v_cmp_gt_f16_e64 s14, v15, v11
	s_and_b32 s13, s13, vcc_lo
	v_cndmask_b32_e64 v11, v15, v11, s14
	s_delay_alu instid0(VALU_DEP_1)
	v_cndmask_b32_e64 v40, v11, 0x7fff, s13
	s_branch .LBB6_397
.LBB6_782:                              ;   in Loop: Header=BB6_310 Depth=3
	s_or_b32 exec_lo, exec_lo, s34
.LBB6_783:                              ;   in Loop: Header=BB6_310 Depth=3
	s_delay_alu instid0(SALU_CYCLE_1) | instskip(SKIP_4) | instid1(VALU_DEP_2)
	s_or_b32 exec_lo, exec_lo, s16
	v_lshlrev_b32_e32 v22, 11, v131
	v_mov_b32_e32 v14, 0
	s_mov_b32 s13, 0
	s_mov_b32 s34, exec_lo
                                        ; implicit-def: $vgpr15
                                        ; implicit-def: $vgpr8
	v_cmpx_ne_u32_e64 v2, v22
	s_cbranch_execz .LBB6_888
; %bb.784:                              ;   in Loop: Header=BB6_310 Depth=3
	v_lshlrev_b32_e32 v8, 5, v113
	v_sub_nc_u32_e32 v10, v2, v22
	s_mov_b32 s35, exec_lo
	s_delay_alu instid0(VALU_DEP_2) | instskip(NEXT) | instid1(VALU_DEP_2)
	v_sub_nc_u32_e32 v8, v144, v8
	v_ashrrev_i32_e32 v11, 31, v10
	s_delay_alu instid0(VALU_DEP_2) | instskip(NEXT) | instid1(VALU_DEP_2)
	v_ashrrev_i32_e32 v9, 31, v8
	v_lshrrev_b32_e32 v11, 23, v11
	s_delay_alu instid0(VALU_DEP_2) | instskip(NEXT) | instid1(VALU_DEP_2)
	v_lshrrev_b32_e32 v9, 27, v9
	v_add_nc_u32_e32 v11, v10, v11
	s_delay_alu instid0(VALU_DEP_2) | instskip(NEXT) | instid1(VALU_DEP_2)
	v_add_nc_u32_e32 v9, v8, v9
	v_and_b32_e32 v23, 0xfffffe00, v11
	v_ashrrev_i32_e32 v11, 9, v11
	s_delay_alu instid0(VALU_DEP_3) | instskip(NEXT) | instid1(VALU_DEP_3)
	v_and_b32_e32 v12, 0xffffffe0, v9
	v_sub_nc_u32_e32 v25, v10, v23
	v_ashrrev_i32_e32 v9, 5, v9
	s_delay_alu instid0(VALU_DEP_3) | instskip(NEXT) | instid1(VALU_DEP_3)
	v_sub_nc_u32_e32 v24, v8, v12
	v_cmp_lt_i32_e64 s13, 15, v25
	s_delay_alu instid0(VALU_DEP_2) | instskip(NEXT) | instid1(VALU_DEP_2)
	v_lshlrev_b32_e32 v8, 4, v24
	v_add_co_ci_u32_e64 v11, vcc_lo, 0, v11, s13
	s_delay_alu instid0(VALU_DEP_2) | instskip(NEXT) | instid1(VALU_DEP_2)
	v_lshl_add_u32 v8, v9, 9, v8
	v_sub_nc_u32_e32 v26, v11, v9
	s_delay_alu instid0(VALU_DEP_2) | instskip(NEXT) | instid1(VALU_DEP_1)
	v_sub_nc_u32_e32 v27, v10, v8
	v_cmpx_lt_i32_e32 15, v27
	s_cbranch_execz .LBB6_885
; %bb.785:                              ;   in Loop: Header=BB6_310 Depth=3
	s_cbranch_execnz .LBB6_3821
; %bb.786:                              ;   in Loop: Header=BB6_310 Depth=3
	ds_load_b128 v[9:12], v0
	ds_load_b64 v[13:14], v0
	v_add_nc_u32_e32 v8, v8, v22
	s_bitcmp1_b32 s31, 0
	s_mov_b32 s36, 0
	s_cselect_b32 s37, -1, 0
	s_delay_alu instid0(VALU_DEP_1) | instskip(SKIP_2) | instid1(VALU_DEP_2)
	v_ashrrev_i32_e32 v15, 31, v8
	s_waitcnt lgkmcnt(1)
	v_add_co_u32 v16, vcc_lo, v9, v8
	v_add_co_ci_u32_e32 v17, vcc_lo, v10, v15, vcc_lo
	v_add_co_u32 v18, vcc_lo, v11, v8
	v_add_co_ci_u32_e32 v19, vcc_lo, v12, v15, vcc_lo
	s_waitcnt lgkmcnt(0)
	v_add_co_u32 v20, vcc_lo, v13, v8
	v_add_co_ci_u32_e32 v21, vcc_lo, v14, v15, vcc_lo
	s_branch .LBB6_790
.LBB6_787:                              ;   in Loop: Header=BB6_790 Depth=4
	s_or_b32 exec_lo, exec_lo, s38
	s_delay_alu instid0(VALU_DEP_1)
	v_mov_b32_e32 v35, v33
.LBB6_788:                              ;   in Loop: Header=BB6_790 Depth=4
	s_or_b32 exec_lo, exec_lo, s16
	s_delay_alu instid0(VALU_DEP_1)
	v_mov_b32_e32 v15, v35
.LBB6_789:                              ;   in Loop: Header=BB6_790 Depth=4
	v_lshlrev_b32_e32 v8, 16, v8
	v_and_b32_e32 v11, 0xffff, v32
	v_lshlrev_b32_e32 v14, 16, v14
	v_and_b32_e32 v13, 0xffff, v13
	;; [unrolled: 2-line block ×3, first 2 shown]
	v_or_b32_e32 v8, v8, v11
	v_lshlrev_b32_e32 v11, 16, v15
	v_and_b32_e32 v10, 0xffff, v10
	v_or_b32_e32 v13, v14, v13
	v_add_co_u32 v16, vcc_lo, v16, v162
	v_or3_b32 v9, v12, v9, 0
	v_or3_b32 v8, 0, 0, v8
	;; [unrolled: 1-line block ×4, first 2 shown]
	v_sub_nc_u32_e32 v27, v27, v147
	v_add_co_ci_u32_e32 v17, vcc_lo, v17, v163, vcc_lo
	v_add_co_u32 v18, vcc_lo, v18, v162
	v_add_co_ci_u32_e32 v19, vcc_lo, v19, v163, vcc_lo
	global_store_b128 v[20:21], v[8:11], off glc slc dlc
	v_cmp_gt_i32_e32 vcc_lo, 16, v27
	v_add_co_u32 v20, s14, v20, v162
	s_delay_alu instid0(VALU_DEP_1) | instskip(SKIP_2) | instid1(SALU_CYCLE_1)
	v_add_co_ci_u32_e64 v21, s14, v21, v163, s14
	v_sub_nc_u32_e32 v26, v26, v145
	s_or_b32 s36, vcc_lo, s36
	s_and_not1_b32 exec_lo, exec_lo, s36
	s_cbranch_execz .LBB6_884
.LBB6_790:                              ;   Parent Loop BB6_51 Depth=1
                                        ;     Parent Loop BB6_308 Depth=2
                                        ;       Parent Loop BB6_310 Depth=3
                                        ; =>      This Inner Loop Header: Depth=4
	global_load_b128 v[12:15], v[16:17], off slc dlc
	global_load_b128 v[8:11], v[18:19], off slc dlc
	s_mov_b32 s16, -1
	s_and_b32 vcc_lo, exec_lo, s37
	s_waitcnt vmcnt(1)
	v_and_b32_e32 v32, 0x7fff, v12
	s_waitcnt vmcnt(0)
	v_and_b32_e32 v33, 0x7fff, v8
	v_perm_b32 v34, v8, v12, 0x5040100
	s_delay_alu instid0(VALU_DEP_3) | instskip(NEXT) | instid1(VALU_DEP_3)
	v_cmp_lt_u16_e64 s14, 0x7c00, v32
	v_cmp_gt_u16_e64 s15, 0x7c01, v33
                                        ; implicit-def: $vgpr32
	s_delay_alu instid0(VALU_DEP_1) | instskip(NEXT) | instid1(SALU_CYCLE_1)
	s_and_b32 s38, s14, s15
	s_xor_b32 s38, s38, -1
	s_cbranch_vccz .LBB6_796
; %bb.791:                              ;   in Loop: Header=BB6_790 Depth=4
	v_mov_b32_e32 v32, v8
	s_and_saveexec_b32 s39, s38
	s_cbranch_execz .LBB6_795
; %bb.792:                              ;   in Loop: Header=BB6_790 Depth=4
	v_mov_b32_e32 v32, v12
	s_or_b32 s16, s14, s15
	s_delay_alu instid0(SALU_CYCLE_1)
	s_and_saveexec_b32 s40, s16
; %bb.793:                              ;   in Loop: Header=BB6_790 Depth=4
	v_lshrrev_b32_e32 v32, 16, v34
	v_cmp_lt_u16_e32 vcc_lo, 0x7c00, v33
	s_delay_alu instid0(VALU_DEP_2) | instskip(NEXT) | instid1(VALU_DEP_1)
	v_cmp_gt_f16_e64 s16, v34, v32
	v_cndmask_b32_e64 v32, v32, v34, s16
	s_and_b32 s16, s14, vcc_lo
	s_delay_alu instid0(VALU_DEP_1) | instid1(SALU_CYCLE_1)
	v_cndmask_b32_e64 v32, v32, 0x7fff, s16
; %bb.794:                              ;   in Loop: Header=BB6_790 Depth=4
	s_or_b32 exec_lo, exec_lo, s40
.LBB6_795:                              ;   in Loop: Header=BB6_790 Depth=4
	s_delay_alu instid0(SALU_CYCLE_1)
	s_or_b32 exec_lo, exec_lo, s39
	s_mov_b32 s16, 0
.LBB6_796:                              ;   in Loop: Header=BB6_790 Depth=4
	s_delay_alu instid0(SALU_CYCLE_1)
	s_and_not1_b32 vcc_lo, exec_lo, s16
	s_cbranch_vccnz .LBB6_802
; %bb.797:                              ;   in Loop: Header=BB6_790 Depth=4
	v_mov_b32_e32 v32, v8
	s_and_saveexec_b32 s16, s38
	s_cbranch_execz .LBB6_801
; %bb.798:                              ;   in Loop: Header=BB6_790 Depth=4
	v_mov_b32_e32 v32, v12
	s_or_b32 s15, s14, s15
	s_delay_alu instid0(SALU_CYCLE_1)
	s_and_saveexec_b32 s38, s15
; %bb.799:                              ;   in Loop: Header=BB6_790 Depth=4
	v_lshrrev_b32_e32 v32, 16, v34
	v_cmp_lt_u16_e32 vcc_lo, 0x7c00, v33
	s_delay_alu instid0(VALU_DEP_2) | instskip(SKIP_1) | instid1(VALU_DEP_1)
	v_cmp_gt_f16_e64 s15, v34, v32
	s_and_b32 s14, s14, vcc_lo
	v_cndmask_b32_e64 v32, v34, v32, s15
	s_delay_alu instid0(VALU_DEP_1)
	v_cndmask_b32_e64 v32, v32, 0x7fff, s14
; %bb.800:                              ;   in Loop: Header=BB6_790 Depth=4
	s_or_b32 exec_lo, exec_lo, s38
.LBB6_801:                              ;   in Loop: Header=BB6_790 Depth=4
	s_delay_alu instid0(SALU_CYCLE_1)
	s_or_b32 exec_lo, exec_lo, s16
.LBB6_802:                              ;   in Loop: Header=BB6_790 Depth=4
	v_mov_b32_e32 v36, v12
	v_mov_b32_e32 v12, v13
	;; [unrolled: 1-line block ×3, first 2 shown]
	s_mov_b32 s16, -1
	s_and_b32 vcc_lo, exec_lo, s37
	v_lshrrev_b32_e32 v33, 16, v36
	s_delay_alu instid0(VALU_DEP_1) | instskip(NEXT) | instid1(VALU_DEP_1)
	v_dual_mov_b32 v37, v8 :: v_dual_and_b32 v8, 0x7fff, v33
	v_lshrrev_b32_e32 v35, 16, v37
	v_perm_b32 v9, v37, v36, 0x7060302
	s_delay_alu instid0(VALU_DEP_3) | instskip(NEXT) | instid1(VALU_DEP_3)
	v_cmp_lt_u16_e64 s14, 0x7c00, v8
	v_and_b32_e32 v34, 0x7fff, v35
                                        ; implicit-def: $vgpr8
	s_delay_alu instid0(VALU_DEP_1) | instskip(NEXT) | instid1(VALU_DEP_1)
	v_cmp_gt_u16_e64 s15, 0x7c01, v34
	s_and_b32 s38, s14, s15
	s_delay_alu instid0(SALU_CYCLE_1)
	s_xor_b32 s38, s38, -1
	s_cbranch_vccz .LBB6_808
; %bb.803:                              ;   in Loop: Header=BB6_790 Depth=4
	v_mov_b32_e32 v8, v35
	s_and_saveexec_b32 s39, s38
	s_cbranch_execz .LBB6_807
; %bb.804:                              ;   in Loop: Header=BB6_790 Depth=4
	v_mov_b32_e32 v8, v33
	s_or_b32 s16, s14, s15
	s_delay_alu instid0(SALU_CYCLE_1)
	s_and_saveexec_b32 s40, s16
; %bb.805:                              ;   in Loop: Header=BB6_790 Depth=4
	v_lshrrev_b32_e32 v8, 16, v9
	v_cmp_lt_u16_e32 vcc_lo, 0x7c00, v34
	s_delay_alu instid0(VALU_DEP_2) | instskip(NEXT) | instid1(VALU_DEP_1)
	v_cmp_gt_f16_e64 s16, v9, v8
	v_cndmask_b32_e64 v8, v8, v9, s16
	s_and_b32 s16, s14, vcc_lo
	s_delay_alu instid0(VALU_DEP_1) | instid1(SALU_CYCLE_1)
	v_cndmask_b32_e64 v8, v8, 0x7fff, s16
; %bb.806:                              ;   in Loop: Header=BB6_790 Depth=4
	s_or_b32 exec_lo, exec_lo, s40
.LBB6_807:                              ;   in Loop: Header=BB6_790 Depth=4
	s_delay_alu instid0(SALU_CYCLE_1)
	s_or_b32 exec_lo, exec_lo, s39
	s_mov_b32 s16, 0
.LBB6_808:                              ;   in Loop: Header=BB6_790 Depth=4
	s_delay_alu instid0(SALU_CYCLE_1)
	s_and_not1_b32 vcc_lo, exec_lo, s16
	s_cbranch_vccnz .LBB6_814
; %bb.809:                              ;   in Loop: Header=BB6_790 Depth=4
	s_and_saveexec_b32 s16, s38
	s_cbranch_execz .LBB6_813
; %bb.810:                              ;   in Loop: Header=BB6_790 Depth=4
	s_or_b32 s15, s14, s15
	s_delay_alu instid0(SALU_CYCLE_1)
	s_and_saveexec_b32 s38, s15
; %bb.811:                              ;   in Loop: Header=BB6_790 Depth=4
	v_lshrrev_b32_e32 v8, 16, v9
	v_cmp_lt_u16_e32 vcc_lo, 0x7c00, v34
	s_delay_alu instid0(VALU_DEP_2) | instskip(SKIP_1) | instid1(VALU_DEP_1)
	v_cmp_gt_f16_e64 s15, v9, v8
	s_and_b32 s14, s14, vcc_lo
	v_cndmask_b32_e64 v8, v9, v8, s15
	s_delay_alu instid0(VALU_DEP_1)
	v_cndmask_b32_e64 v33, v8, 0x7fff, s14
; %bb.812:                              ;   in Loop: Header=BB6_790 Depth=4
	s_or_b32 exec_lo, exec_lo, s38
	s_delay_alu instid0(VALU_DEP_1)
	v_mov_b32_e32 v35, v33
.LBB6_813:                              ;   in Loop: Header=BB6_790 Depth=4
	s_or_b32 exec_lo, exec_lo, s16
	s_delay_alu instid0(VALU_DEP_1)
	v_mov_b32_e32 v8, v35
.LBB6_814:                              ;   in Loop: Header=BB6_790 Depth=4
	v_and_b32_e32 v9, 0x7fff, v12
	v_and_b32_e32 v33, 0x7fff, v13
	v_perm_b32 v34, v13, v12, 0x5040100
	s_mov_b32 s16, -1
	s_and_b32 vcc_lo, exec_lo, s37
	v_cmp_lt_u16_e64 s14, 0x7c00, v9
	v_cmp_gt_u16_e64 s15, 0x7c01, v33
                                        ; implicit-def: $vgpr9
	s_delay_alu instid0(VALU_DEP_1) | instskip(NEXT) | instid1(SALU_CYCLE_1)
	s_and_b32 s38, s14, s15
	s_xor_b32 s38, s38, -1
	s_cbranch_vccz .LBB6_820
; %bb.815:                              ;   in Loop: Header=BB6_790 Depth=4
	v_mov_b32_e32 v9, v13
	s_and_saveexec_b32 s39, s38
	s_cbranch_execz .LBB6_819
; %bb.816:                              ;   in Loop: Header=BB6_790 Depth=4
	v_mov_b32_e32 v9, v12
	s_or_b32 s16, s14, s15
	s_delay_alu instid0(SALU_CYCLE_1)
	s_and_saveexec_b32 s40, s16
; %bb.817:                              ;   in Loop: Header=BB6_790 Depth=4
	v_lshrrev_b32_e32 v9, 16, v34
	v_cmp_lt_u16_e32 vcc_lo, 0x7c00, v33
	s_delay_alu instid0(VALU_DEP_2) | instskip(NEXT) | instid1(VALU_DEP_1)
	v_cmp_gt_f16_e64 s16, v34, v9
	v_cndmask_b32_e64 v9, v9, v34, s16
	s_and_b32 s16, s14, vcc_lo
	s_delay_alu instid0(VALU_DEP_1) | instid1(SALU_CYCLE_1)
	v_cndmask_b32_e64 v9, v9, 0x7fff, s16
; %bb.818:                              ;   in Loop: Header=BB6_790 Depth=4
	s_or_b32 exec_lo, exec_lo, s40
.LBB6_819:                              ;   in Loop: Header=BB6_790 Depth=4
	s_delay_alu instid0(SALU_CYCLE_1)
	s_or_b32 exec_lo, exec_lo, s39
	s_mov_b32 s16, 0
.LBB6_820:                              ;   in Loop: Header=BB6_790 Depth=4
	s_delay_alu instid0(SALU_CYCLE_1)
	s_and_not1_b32 vcc_lo, exec_lo, s16
	s_cbranch_vccnz .LBB6_826
; %bb.821:                              ;   in Loop: Header=BB6_790 Depth=4
	v_mov_b32_e32 v9, v13
	s_and_saveexec_b32 s16, s38
	s_cbranch_execz .LBB6_825
; %bb.822:                              ;   in Loop: Header=BB6_790 Depth=4
	v_mov_b32_e32 v9, v12
	s_or_b32 s15, s14, s15
	s_delay_alu instid0(SALU_CYCLE_1)
	s_and_saveexec_b32 s38, s15
; %bb.823:                              ;   in Loop: Header=BB6_790 Depth=4
	v_lshrrev_b32_e32 v9, 16, v34
	v_cmp_lt_u16_e32 vcc_lo, 0x7c00, v33
	s_delay_alu instid0(VALU_DEP_2) | instskip(SKIP_1) | instid1(VALU_DEP_1)
	v_cmp_gt_f16_e64 s15, v34, v9
	s_and_b32 s14, s14, vcc_lo
	v_cndmask_b32_e64 v9, v34, v9, s15
	s_delay_alu instid0(VALU_DEP_1)
	v_cndmask_b32_e64 v9, v9, 0x7fff, s14
; %bb.824:                              ;   in Loop: Header=BB6_790 Depth=4
	s_or_b32 exec_lo, exec_lo, s38
.LBB6_825:                              ;   in Loop: Header=BB6_790 Depth=4
	s_delay_alu instid0(SALU_CYCLE_1)
	s_or_b32 exec_lo, exec_lo, s16
.LBB6_826:                              ;   in Loop: Header=BB6_790 Depth=4
	v_lshrrev_b32_e32 v33, 16, v12
	v_lshrrev_b32_e32 v35, 16, v13
	v_perm_b32 v13, v13, v12, 0x7060302
	s_mov_b32 s16, -1
	s_and_b32 vcc_lo, exec_lo, s37
	v_and_b32_e32 v36, 0x7fff, v33
	v_and_b32_e32 v34, 0x7fff, v35
                                        ; implicit-def: $vgpr12
	s_delay_alu instid0(VALU_DEP_2) | instskip(NEXT) | instid1(VALU_DEP_2)
	v_cmp_lt_u16_e64 s14, 0x7c00, v36
	v_cmp_gt_u16_e64 s15, 0x7c01, v34
	s_delay_alu instid0(VALU_DEP_1) | instskip(NEXT) | instid1(SALU_CYCLE_1)
	s_and_b32 s38, s14, s15
	s_xor_b32 s38, s38, -1
	s_cbranch_vccz .LBB6_832
; %bb.827:                              ;   in Loop: Header=BB6_790 Depth=4
	v_mov_b32_e32 v12, v35
	s_and_saveexec_b32 s39, s38
	s_cbranch_execz .LBB6_831
; %bb.828:                              ;   in Loop: Header=BB6_790 Depth=4
	v_mov_b32_e32 v12, v33
	s_or_b32 s16, s14, s15
	s_delay_alu instid0(SALU_CYCLE_1)
	s_and_saveexec_b32 s40, s16
; %bb.829:                              ;   in Loop: Header=BB6_790 Depth=4
	v_lshrrev_b32_e32 v12, 16, v13
	v_cmp_lt_u16_e32 vcc_lo, 0x7c00, v34
	s_delay_alu instid0(VALU_DEP_2) | instskip(NEXT) | instid1(VALU_DEP_1)
	v_cmp_gt_f16_e64 s16, v13, v12
	v_cndmask_b32_e64 v12, v12, v13, s16
	s_and_b32 s16, s14, vcc_lo
	s_delay_alu instid0(VALU_DEP_1) | instid1(SALU_CYCLE_1)
	v_cndmask_b32_e64 v12, v12, 0x7fff, s16
; %bb.830:                              ;   in Loop: Header=BB6_790 Depth=4
	s_or_b32 exec_lo, exec_lo, s40
.LBB6_831:                              ;   in Loop: Header=BB6_790 Depth=4
	s_delay_alu instid0(SALU_CYCLE_1)
	s_or_b32 exec_lo, exec_lo, s39
	s_mov_b32 s16, 0
.LBB6_832:                              ;   in Loop: Header=BB6_790 Depth=4
	s_delay_alu instid0(SALU_CYCLE_1)
	s_and_not1_b32 vcc_lo, exec_lo, s16
	s_cbranch_vccnz .LBB6_838
; %bb.833:                              ;   in Loop: Header=BB6_790 Depth=4
	s_and_saveexec_b32 s16, s38
	s_cbranch_execz .LBB6_837
; %bb.834:                              ;   in Loop: Header=BB6_790 Depth=4
	s_or_b32 s15, s14, s15
	s_delay_alu instid0(SALU_CYCLE_1)
	s_and_saveexec_b32 s38, s15
; %bb.835:                              ;   in Loop: Header=BB6_790 Depth=4
	v_lshrrev_b32_e32 v12, 16, v13
	v_cmp_lt_u16_e32 vcc_lo, 0x7c00, v34
	s_delay_alu instid0(VALU_DEP_2) | instskip(SKIP_1) | instid1(VALU_DEP_1)
	v_cmp_gt_f16_e64 s15, v13, v12
	s_and_b32 s14, s14, vcc_lo
	v_cndmask_b32_e64 v12, v13, v12, s15
	s_delay_alu instid0(VALU_DEP_1)
	v_cndmask_b32_e64 v33, v12, 0x7fff, s14
; %bb.836:                              ;   in Loop: Header=BB6_790 Depth=4
	s_or_b32 exec_lo, exec_lo, s38
	s_delay_alu instid0(VALU_DEP_1)
	v_mov_b32_e32 v35, v33
.LBB6_837:                              ;   in Loop: Header=BB6_790 Depth=4
	s_or_b32 exec_lo, exec_lo, s16
	s_delay_alu instid0(VALU_DEP_1)
	v_mov_b32_e32 v12, v35
.LBB6_838:                              ;   in Loop: Header=BB6_790 Depth=4
	v_and_b32_e32 v13, 0x7fff, v14
	v_and_b32_e32 v33, 0x7fff, v10
	v_perm_b32 v34, v10, v14, 0x5040100
	s_mov_b32 s16, -1
	s_and_b32 vcc_lo, exec_lo, s37
	v_cmp_lt_u16_e64 s14, 0x7c00, v13
	v_cmp_gt_u16_e64 s15, 0x7c01, v33
                                        ; implicit-def: $vgpr13
	s_delay_alu instid0(VALU_DEP_1) | instskip(NEXT) | instid1(SALU_CYCLE_1)
	s_and_b32 s38, s14, s15
	s_xor_b32 s38, s38, -1
	s_cbranch_vccz .LBB6_844
; %bb.839:                              ;   in Loop: Header=BB6_790 Depth=4
	v_mov_b32_e32 v13, v10
	s_and_saveexec_b32 s39, s38
	s_cbranch_execz .LBB6_843
; %bb.840:                              ;   in Loop: Header=BB6_790 Depth=4
	v_mov_b32_e32 v13, v14
	s_or_b32 s16, s14, s15
	s_delay_alu instid0(SALU_CYCLE_1)
	s_and_saveexec_b32 s40, s16
; %bb.841:                              ;   in Loop: Header=BB6_790 Depth=4
	v_lshrrev_b32_e32 v13, 16, v34
	v_cmp_lt_u16_e32 vcc_lo, 0x7c00, v33
	s_delay_alu instid0(VALU_DEP_2) | instskip(NEXT) | instid1(VALU_DEP_1)
	v_cmp_gt_f16_e64 s16, v34, v13
	v_cndmask_b32_e64 v13, v13, v34, s16
	s_and_b32 s16, s14, vcc_lo
	s_delay_alu instid0(VALU_DEP_1) | instid1(SALU_CYCLE_1)
	v_cndmask_b32_e64 v13, v13, 0x7fff, s16
; %bb.842:                              ;   in Loop: Header=BB6_790 Depth=4
	s_or_b32 exec_lo, exec_lo, s40
.LBB6_843:                              ;   in Loop: Header=BB6_790 Depth=4
	s_delay_alu instid0(SALU_CYCLE_1)
	s_or_b32 exec_lo, exec_lo, s39
	s_mov_b32 s16, 0
.LBB6_844:                              ;   in Loop: Header=BB6_790 Depth=4
	s_delay_alu instid0(SALU_CYCLE_1)
	s_and_not1_b32 vcc_lo, exec_lo, s16
	s_cbranch_vccnz .LBB6_850
; %bb.845:                              ;   in Loop: Header=BB6_790 Depth=4
	v_mov_b32_e32 v13, v10
	s_and_saveexec_b32 s16, s38
	s_cbranch_execz .LBB6_849
; %bb.846:                              ;   in Loop: Header=BB6_790 Depth=4
	v_mov_b32_e32 v13, v14
	s_or_b32 s15, s14, s15
	s_delay_alu instid0(SALU_CYCLE_1)
	s_and_saveexec_b32 s38, s15
; %bb.847:                              ;   in Loop: Header=BB6_790 Depth=4
	v_lshrrev_b32_e32 v13, 16, v34
	v_cmp_lt_u16_e32 vcc_lo, 0x7c00, v33
	s_delay_alu instid0(VALU_DEP_2) | instskip(SKIP_1) | instid1(VALU_DEP_1)
	v_cmp_gt_f16_e64 s15, v34, v13
	s_and_b32 s14, s14, vcc_lo
	v_cndmask_b32_e64 v13, v34, v13, s15
	s_delay_alu instid0(VALU_DEP_1)
	v_cndmask_b32_e64 v13, v13, 0x7fff, s14
; %bb.848:                              ;   in Loop: Header=BB6_790 Depth=4
	s_or_b32 exec_lo, exec_lo, s38
.LBB6_849:                              ;   in Loop: Header=BB6_790 Depth=4
	s_delay_alu instid0(SALU_CYCLE_1)
	s_or_b32 exec_lo, exec_lo, s16
.LBB6_850:                              ;   in Loop: Header=BB6_790 Depth=4
	v_mov_b32_e32 v36, v14
	v_lshrrev_b32_e32 v35, 16, v10
	s_mov_b32 s16, -1
	s_and_b32 vcc_lo, exec_lo, s37
	s_delay_alu instid0(VALU_DEP_2) | instskip(NEXT) | instid1(VALU_DEP_2)
	v_lshrrev_b32_e32 v33, 16, v36
	v_and_b32_e32 v34, 0x7fff, v35
	v_perm_b32 v10, v10, v36, 0x7060302
	s_delay_alu instid0(VALU_DEP_3) | instskip(NEXT) | instid1(VALU_DEP_3)
	v_and_b32_e32 v14, 0x7fff, v33
	v_cmp_gt_u16_e64 s15, 0x7c01, v34
	s_delay_alu instid0(VALU_DEP_2) | instskip(NEXT) | instid1(VALU_DEP_1)
	v_cmp_lt_u16_e64 s14, 0x7c00, v14
                                        ; implicit-def: $vgpr14
	s_and_b32 s38, s14, s15
	s_delay_alu instid0(SALU_CYCLE_1)
	s_xor_b32 s38, s38, -1
	s_cbranch_vccz .LBB6_856
; %bb.851:                              ;   in Loop: Header=BB6_790 Depth=4
	v_mov_b32_e32 v14, v35
	s_and_saveexec_b32 s39, s38
	s_cbranch_execz .LBB6_855
; %bb.852:                              ;   in Loop: Header=BB6_790 Depth=4
	v_mov_b32_e32 v14, v33
	s_or_b32 s16, s14, s15
	s_delay_alu instid0(SALU_CYCLE_1)
	s_and_saveexec_b32 s40, s16
; %bb.853:                              ;   in Loop: Header=BB6_790 Depth=4
	v_lshrrev_b32_e32 v14, 16, v10
	v_cmp_lt_u16_e32 vcc_lo, 0x7c00, v34
	s_delay_alu instid0(VALU_DEP_2) | instskip(NEXT) | instid1(VALU_DEP_1)
	v_cmp_gt_f16_e64 s16, v10, v14
	v_cndmask_b32_e64 v14, v14, v10, s16
	s_and_b32 s16, s14, vcc_lo
	s_delay_alu instid0(VALU_DEP_1) | instid1(SALU_CYCLE_1)
	v_cndmask_b32_e64 v14, v14, 0x7fff, s16
; %bb.854:                              ;   in Loop: Header=BB6_790 Depth=4
	s_or_b32 exec_lo, exec_lo, s40
.LBB6_855:                              ;   in Loop: Header=BB6_790 Depth=4
	s_delay_alu instid0(SALU_CYCLE_1)
	s_or_b32 exec_lo, exec_lo, s39
	s_mov_b32 s16, 0
.LBB6_856:                              ;   in Loop: Header=BB6_790 Depth=4
	s_delay_alu instid0(SALU_CYCLE_1)
	s_and_not1_b32 vcc_lo, exec_lo, s16
	s_cbranch_vccnz .LBB6_862
; %bb.857:                              ;   in Loop: Header=BB6_790 Depth=4
	s_and_saveexec_b32 s16, s38
	s_cbranch_execz .LBB6_861
; %bb.858:                              ;   in Loop: Header=BB6_790 Depth=4
	s_or_b32 s15, s14, s15
	s_delay_alu instid0(SALU_CYCLE_1)
	s_and_saveexec_b32 s38, s15
; %bb.859:                              ;   in Loop: Header=BB6_790 Depth=4
	v_lshrrev_b32_e32 v14, 16, v10
	v_cmp_lt_u16_e32 vcc_lo, 0x7c00, v34
	s_delay_alu instid0(VALU_DEP_2) | instskip(SKIP_1) | instid1(VALU_DEP_1)
	v_cmp_gt_f16_e64 s15, v10, v14
	s_and_b32 s14, s14, vcc_lo
	v_cndmask_b32_e64 v10, v10, v14, s15
	s_delay_alu instid0(VALU_DEP_1)
	v_cndmask_b32_e64 v33, v10, 0x7fff, s14
; %bb.860:                              ;   in Loop: Header=BB6_790 Depth=4
	s_or_b32 exec_lo, exec_lo, s38
	s_delay_alu instid0(VALU_DEP_1)
	v_mov_b32_e32 v35, v33
.LBB6_861:                              ;   in Loop: Header=BB6_790 Depth=4
	s_or_b32 exec_lo, exec_lo, s16
	s_delay_alu instid0(VALU_DEP_1)
	v_mov_b32_e32 v14, v35
.LBB6_862:                              ;   in Loop: Header=BB6_790 Depth=4
	v_and_b32_e32 v10, 0x7fff, v15
	v_and_b32_e32 v33, 0x7fff, v11
	v_perm_b32 v34, v11, v15, 0x5040100
	s_mov_b32 s16, -1
	s_and_b32 vcc_lo, exec_lo, s37
	v_cmp_lt_u16_e64 s14, 0x7c00, v10
	v_cmp_gt_u16_e64 s15, 0x7c01, v33
                                        ; implicit-def: $vgpr10
	s_delay_alu instid0(VALU_DEP_1) | instskip(NEXT) | instid1(SALU_CYCLE_1)
	s_and_b32 s38, s14, s15
	s_xor_b32 s38, s38, -1
	s_cbranch_vccz .LBB6_868
; %bb.863:                              ;   in Loop: Header=BB6_790 Depth=4
	v_mov_b32_e32 v10, v11
	s_and_saveexec_b32 s39, s38
	s_cbranch_execz .LBB6_867
; %bb.864:                              ;   in Loop: Header=BB6_790 Depth=4
	v_mov_b32_e32 v10, v15
	s_or_b32 s16, s14, s15
	s_delay_alu instid0(SALU_CYCLE_1)
	s_and_saveexec_b32 s40, s16
; %bb.865:                              ;   in Loop: Header=BB6_790 Depth=4
	v_lshrrev_b32_e32 v10, 16, v34
	v_cmp_lt_u16_e32 vcc_lo, 0x7c00, v33
	s_delay_alu instid0(VALU_DEP_2) | instskip(NEXT) | instid1(VALU_DEP_1)
	v_cmp_gt_f16_e64 s16, v34, v10
	v_cndmask_b32_e64 v10, v10, v34, s16
	s_and_b32 s16, s14, vcc_lo
	s_delay_alu instid0(VALU_DEP_1) | instid1(SALU_CYCLE_1)
	v_cndmask_b32_e64 v10, v10, 0x7fff, s16
; %bb.866:                              ;   in Loop: Header=BB6_790 Depth=4
	s_or_b32 exec_lo, exec_lo, s40
.LBB6_867:                              ;   in Loop: Header=BB6_790 Depth=4
	s_delay_alu instid0(SALU_CYCLE_1)
	s_or_b32 exec_lo, exec_lo, s39
	s_mov_b32 s16, 0
.LBB6_868:                              ;   in Loop: Header=BB6_790 Depth=4
	s_delay_alu instid0(SALU_CYCLE_1)
	s_and_not1_b32 vcc_lo, exec_lo, s16
	s_cbranch_vccnz .LBB6_874
; %bb.869:                              ;   in Loop: Header=BB6_790 Depth=4
	v_mov_b32_e32 v10, v11
	s_and_saveexec_b32 s16, s38
	s_cbranch_execz .LBB6_873
; %bb.870:                              ;   in Loop: Header=BB6_790 Depth=4
	v_mov_b32_e32 v10, v15
	s_or_b32 s15, s14, s15
	s_delay_alu instid0(SALU_CYCLE_1)
	s_and_saveexec_b32 s38, s15
; %bb.871:                              ;   in Loop: Header=BB6_790 Depth=4
	v_lshrrev_b32_e32 v10, 16, v34
	v_cmp_lt_u16_e32 vcc_lo, 0x7c00, v33
	s_delay_alu instid0(VALU_DEP_2) | instskip(SKIP_1) | instid1(VALU_DEP_1)
	v_cmp_gt_f16_e64 s15, v34, v10
	s_and_b32 s14, s14, vcc_lo
	v_cndmask_b32_e64 v10, v34, v10, s15
	s_delay_alu instid0(VALU_DEP_1)
	v_cndmask_b32_e64 v10, v10, 0x7fff, s14
; %bb.872:                              ;   in Loop: Header=BB6_790 Depth=4
	s_or_b32 exec_lo, exec_lo, s38
.LBB6_873:                              ;   in Loop: Header=BB6_790 Depth=4
	s_delay_alu instid0(SALU_CYCLE_1)
	s_or_b32 exec_lo, exec_lo, s16
.LBB6_874:                              ;   in Loop: Header=BB6_790 Depth=4
	v_lshrrev_b32_e32 v33, 16, v15
	v_lshrrev_b32_e32 v35, 16, v11
	v_perm_b32 v11, v11, v15, 0x7060302
	s_mov_b32 s16, -1
	s_and_b32 vcc_lo, exec_lo, s37
	v_and_b32_e32 v36, 0x7fff, v33
	v_and_b32_e32 v34, 0x7fff, v35
                                        ; implicit-def: $vgpr15
	s_delay_alu instid0(VALU_DEP_2) | instskip(NEXT) | instid1(VALU_DEP_2)
	v_cmp_lt_u16_e64 s14, 0x7c00, v36
	v_cmp_gt_u16_e64 s15, 0x7c01, v34
	s_delay_alu instid0(VALU_DEP_1) | instskip(NEXT) | instid1(SALU_CYCLE_1)
	s_and_b32 s38, s14, s15
	s_xor_b32 s38, s38, -1
	s_cbranch_vccz .LBB6_880
; %bb.875:                              ;   in Loop: Header=BB6_790 Depth=4
	v_mov_b32_e32 v15, v35
	s_and_saveexec_b32 s39, s38
	s_cbranch_execz .LBB6_879
; %bb.876:                              ;   in Loop: Header=BB6_790 Depth=4
	v_mov_b32_e32 v15, v33
	s_or_b32 s16, s14, s15
	s_delay_alu instid0(SALU_CYCLE_1)
	s_and_saveexec_b32 s40, s16
; %bb.877:                              ;   in Loop: Header=BB6_790 Depth=4
	v_lshrrev_b32_e32 v15, 16, v11
	v_cmp_lt_u16_e32 vcc_lo, 0x7c00, v34
	s_delay_alu instid0(VALU_DEP_2) | instskip(NEXT) | instid1(VALU_DEP_1)
	v_cmp_gt_f16_e64 s16, v11, v15
	v_cndmask_b32_e64 v15, v15, v11, s16
	s_and_b32 s16, s14, vcc_lo
	s_delay_alu instid0(VALU_DEP_1) | instid1(SALU_CYCLE_1)
	v_cndmask_b32_e64 v15, v15, 0x7fff, s16
; %bb.878:                              ;   in Loop: Header=BB6_790 Depth=4
	s_or_b32 exec_lo, exec_lo, s40
.LBB6_879:                              ;   in Loop: Header=BB6_790 Depth=4
	s_delay_alu instid0(SALU_CYCLE_1)
	s_or_b32 exec_lo, exec_lo, s39
	s_mov_b32 s16, 0
.LBB6_880:                              ;   in Loop: Header=BB6_790 Depth=4
	s_delay_alu instid0(SALU_CYCLE_1)
	s_and_not1_b32 vcc_lo, exec_lo, s16
	s_cbranch_vccnz .LBB6_789
; %bb.881:                              ;   in Loop: Header=BB6_790 Depth=4
	s_and_saveexec_b32 s16, s38
	s_cbranch_execz .LBB6_788
; %bb.882:                              ;   in Loop: Header=BB6_790 Depth=4
	s_or_b32 s15, s14, s15
	s_delay_alu instid0(SALU_CYCLE_1)
	s_and_saveexec_b32 s38, s15
	s_cbranch_execz .LBB6_787
; %bb.883:                              ;   in Loop: Header=BB6_790 Depth=4
	v_lshrrev_b32_e32 v15, 16, v11
	v_cmp_lt_u16_e32 vcc_lo, 0x7c00, v34
	s_delay_alu instid0(VALU_DEP_2) | instskip(SKIP_1) | instid1(VALU_DEP_1)
	v_cmp_gt_f16_e64 s15, v11, v15
	s_and_b32 s14, s14, vcc_lo
	v_cndmask_b32_e64 v11, v11, v15, s15
	s_delay_alu instid0(VALU_DEP_1)
	v_cndmask_b32_e64 v33, v11, 0x7fff, s14
	s_branch .LBB6_787
.LBB6_884:                              ;   in Loop: Header=BB6_310 Depth=3
	s_or_b32 exec_lo, exec_lo, s36
.LBB6_885:                              ;   in Loop: Header=BB6_310 Depth=3
	s_delay_alu instid0(SALU_CYCLE_1) | instskip(SKIP_3) | instid1(VALU_DEP_1)
	s_or_b32 exec_lo, exec_lo, s35
	v_dual_mov_b32 v14, 0 :: v_dual_and_b32 v9, 14, v2
	s_mov_b32 s14, 0
	s_mov_b32 s15, exec_lo
                                        ; implicit-def: $vgpr15
                                        ; implicit-def: $vgpr8
	v_cndmask_b32_e64 v2, v25, v9, s13
	s_delay_alu instid0(VALU_DEP_1)
	v_cmpx_ne_u32_e32 0, v2
	s_cbranch_execz .LBB6_887
; %bb.886:                              ;   in Loop: Header=BB6_310 Depth=3
	v_cmp_lt_i32_e32 vcc_lo, 0, v26
	v_sub_nc_u32_e32 v9, v25, v9
	s_mov_b32 s14, exec_lo
	v_cndmask_b32_e32 v8, 0, v145, vcc_lo
	s_delay_alu instid0(VALU_DEP_2) | instskip(NEXT) | instid1(VALU_DEP_2)
	v_cndmask_b32_e64 v9, 0, v9, s13
	v_sub_nc_u32_e32 v8, v8, v26
	s_delay_alu instid0(VALU_DEP_2) | instskip(NEXT) | instid1(VALU_DEP_2)
	v_add3_u32 v14, v23, v22, v9
	v_lshl_add_u32 v15, v8, 5, v24
	s_delay_alu instid0(VALU_DEP_1) | instskip(NEXT) | instid1(VALU_DEP_1)
	v_ashrrev_i32_e32 v8, 31, v15
	v_lshrrev_b32_e32 v8, 27, v8
	s_delay_alu instid0(VALU_DEP_1) | instskip(NEXT) | instid1(VALU_DEP_1)
	v_add_nc_u32_e32 v8, v15, v8
	v_ashrrev_i32_e32 v8, 5, v8
.LBB6_887:                              ;   in Loop: Header=BB6_310 Depth=3
	s_or_b32 exec_lo, exec_lo, s15
	s_delay_alu instid0(SALU_CYCLE_1)
	s_and_b32 s13, s14, exec_lo
.LBB6_888:                              ;   in Loop: Header=BB6_310 Depth=3
	s_or_b32 exec_lo, exec_lo, s34
.LBB6_889:                              ;   in Loop: Header=BB6_310 Depth=3
	s_and_saveexec_b32 s16, s13
	s_cbranch_execz .LBB6_1105
; %bb.890:                              ;   in Loop: Header=BB6_310 Depth=3
	v_ashrrev_i32_e32 v9, 31, v2
	s_mov_b32 s34, exec_lo
	s_delay_alu instid0(VALU_DEP_1) | instskip(NEXT) | instid1(VALU_DEP_1)
	v_lshrrev_b32_e32 v9, 22, v9
	v_add_nc_u32_e32 v9, v2, v9
	s_delay_alu instid0(VALU_DEP_1) | instskip(NEXT) | instid1(VALU_DEP_1)
	v_ashrrev_i32_e32 v17, 10, v9
	v_sub_nc_u32_e32 v16, v17, v8
	s_delay_alu instid0(VALU_DEP_1)
	v_cmpx_lt_i32_e32 0, v16
	s_cbranch_execz .LBB6_1087
; %bb.891:                              ;   in Loop: Header=BB6_310 Depth=3
	s_cbranch_execnz .LBB6_3757
; %bb.892:                              ;   in Loop: Header=BB6_310 Depth=3
	v_ashrrev_i32_e32 v9, 31, v15
	ds_load_b64 v[18:19], v0
	v_lshlrev_b32_e32 v8, 10, v8
	s_bitcmp1_b32 s31, 0
	s_mov_b32 s36, 0
	v_lshrrev_b32_e32 v9, 27, v9
	s_cselect_b32 s35, -1, 0
	s_delay_alu instid0(VALU_DEP_1) | instskip(NEXT) | instid1(VALU_DEP_1)
	v_add_nc_u32_e32 v9, v15, v9
	v_and_b32_e32 v9, 0x7fffffe0, v9
	s_delay_alu instid0(VALU_DEP_1)
	v_sub_nc_u32_e32 v13, v15, v9
	ds_load_b128 v[9:12], v0
	s_waitcnt lgkmcnt(1)
	v_add_co_u32 v18, vcc_lo, 0x3c0, v18
	v_add_co_ci_u32_e32 v19, vcc_lo, 0, v19, vcc_lo
	v_lshlrev_b32_e32 v13, 1, v13
	s_delay_alu instid0(VALU_DEP_1) | instskip(NEXT) | instid1(VALU_DEP_1)
	v_add3_u32 v13, v13, v14, v8
	v_ashrrev_i32_e32 v20, 31, v13
	s_waitcnt lgkmcnt(0)
	v_add_co_u32 v8, vcc_lo, v9, v13
	s_delay_alu instid0(VALU_DEP_2)
	v_add_co_ci_u32_e32 v9, vcc_lo, v10, v20, vcc_lo
	v_add_co_u32 v10, vcc_lo, v11, v13
	v_add_co_ci_u32_e32 v11, vcc_lo, v12, v20, vcc_lo
	v_add_co_u32 v12, vcc_lo, v18, v13
	v_add_co_ci_u32_e32 v13, vcc_lo, v19, v20, vcc_lo
	s_branch .LBB6_896
.LBB6_893:                              ;   in Loop: Header=BB6_896 Depth=4
	s_or_b32 exec_lo, exec_lo, s37
	s_delay_alu instid0(VALU_DEP_1)
	v_mov_b32_e32 v19, v18
.LBB6_894:                              ;   in Loop: Header=BB6_896 Depth=4
	s_or_b32 exec_lo, exec_lo, s15
	s_delay_alu instid0(VALU_DEP_1)
	v_mov_b32_e32 v21, v19
.LBB6_895:                              ;   in Loop: Header=BB6_896 Depth=4
	v_add_co_u32 v18, vcc_lo, 0xfffffc40, v12
	v_add_co_ci_u32_e32 v19, vcc_lo, -1, v13, vcc_lo
	v_add_co_u32 v118, vcc_lo, 0xfffffc80, v12
	v_add_co_ci_u32_e32 v119, vcc_lo, -1, v13, vcc_lo
	;; [unrolled: 2-line block ×5, first 2 shown]
	flat_store_b16 v[18:19], v20 glc slc dlc
	flat_store_b16 v[118:119], v23 glc slc dlc
	;; [unrolled: 1-line block ×5, first 2 shown]
	v_add_co_u32 v18, vcc_lo, 0xfffffd80, v12
	v_add_co_ci_u32_e32 v19, vcc_lo, -1, v13, vcc_lo
	v_add_co_u32 v22, vcc_lo, 0xfffffdc0, v12
	v_add_co_ci_u32_e32 v23, vcc_lo, -1, v13, vcc_lo
	v_add_co_u32 v25, vcc_lo, 0xfffffe00, v12
	v_add_co_ci_u32_e32 v26, vcc_lo, -1, v13, vcc_lo
	v_add_co_u32 v32, vcc_lo, 0xfffffe40, v12
	v_add_co_ci_u32_e32 v33, vcc_lo, -1, v13, vcc_lo
	v_add_co_u32 v35, vcc_lo, 0xfffffe80, v12
	v_add_co_ci_u32_e32 v36, vcc_lo, -1, v13, vcc_lo
	flat_store_b16 v[18:19], v38 glc slc dlc
	flat_store_b16 v[22:23], v49 glc slc dlc
	;; [unrolled: 1-line block ×5, first 2 shown]
	v_add_co_u32 v18, vcc_lo, 0xfffffec0, v12
	v_add_co_ci_u32_e32 v19, vcc_lo, -1, v13, vcc_lo
	v_add_co_u32 v22, vcc_lo, 0xffffff00, v12
	v_add_co_ci_u32_e32 v23, vcc_lo, -1, v13, vcc_lo
	;; [unrolled: 2-line block ×5, first 2 shown]
	v_add_co_u32 v8, vcc_lo, v8, v165
	v_sub_nc_u32_e32 v16, v16, v145
	v_add_co_ci_u32_e32 v9, vcc_lo, v9, v166, vcc_lo
	v_add_co_u32 v10, vcc_lo, v10, v165
	v_add_co_ci_u32_e32 v11, vcc_lo, v11, v166, vcc_lo
	flat_store_b16 v[18:19], v48 glc slc dlc
	flat_store_b16 v[22:23], v37 glc slc dlc
	;; [unrolled: 1-line block ×6, first 2 shown]
	v_cmp_gt_i32_e32 vcc_lo, 1, v16
	v_add_co_u32 v12, s13, v12, v165
	s_delay_alu instid0(VALU_DEP_1) | instskip(SKIP_1) | instid1(SALU_CYCLE_1)
	v_add_co_ci_u32_e64 v13, s13, v13, v166, s13
	s_or_b32 s36, vcc_lo, s36
	s_and_not1_b32 exec_lo, exec_lo, s36
	s_cbranch_execz .LBB6_1086
.LBB6_896:                              ;   Parent Loop BB6_51 Depth=1
                                        ;     Parent Loop BB6_308 Depth=2
                                        ;       Parent Loop BB6_310 Depth=3
                                        ; =>      This Inner Loop Header: Depth=4
	s_clause 0x7
	flat_load_u16 v23, v[8:9] slc dlc
	flat_load_u16 v26, v[8:9] offset:64 slc dlc
	flat_load_u16 v33, v[8:9] offset:128 slc dlc
	;; [unrolled: 1-line block ×7, first 2 shown]
	flat_load_u16 v41, v[10:11] slc dlc
	s_clause 0x7
	flat_load_u16 v51, v[8:9] offset:512 slc dlc
	flat_load_u16 v48, v[8:9] offset:576 slc dlc
	;; [unrolled: 1-line block ×8, first 2 shown]
	s_clause 0xe
	flat_load_u16 v40, v[10:11] offset:64 slc dlc
	flat_load_u16 v183, v[10:11] offset:128 slc dlc
	;; [unrolled: 1-line block ×15, first 2 shown]
	s_mov_b32 s15, -1
	s_and_b32 vcc_lo, exec_lo, s35
	s_waitcnt vmcnt(31) lgkmcnt(31)
	v_and_b32_e32 v20, 0x7fff, v23
	s_delay_alu instid0(VALU_DEP_1) | instskip(SKIP_2) | instid1(VALU_DEP_1)
	v_cmp_lt_u16_e64 s13, 0x7c00, v20
                                        ; implicit-def: $vgpr20
	s_waitcnt vmcnt(23) lgkmcnt(23)
	v_and_b32_e32 v42, 0x7fff, v41
	v_cmp_gt_u16_e64 s14, 0x7c01, v42
	s_delay_alu instid0(VALU_DEP_1) | instskip(NEXT) | instid1(SALU_CYCLE_1)
	s_and_b32 s37, s13, s14
	s_xor_b32 s37, s37, -1
	s_cbranch_vccz .LBB6_902
; %bb.897:                              ;   in Loop: Header=BB6_896 Depth=4
	v_mov_b32_e32 v20, v41
	s_and_saveexec_b32 s38, s37
	s_cbranch_execz .LBB6_901
; %bb.898:                              ;   in Loop: Header=BB6_896 Depth=4
	v_mov_b32_e32 v20, v23
	s_or_b32 s15, s13, s14
	s_delay_alu instid0(SALU_CYCLE_1)
	s_and_saveexec_b32 s39, s15
; %bb.899:                              ;   in Loop: Header=BB6_896 Depth=4
	v_cmp_gt_f16_e64 s15, v23, v41
	v_cmp_lt_u16_e32 vcc_lo, 0x7c00, v42
	s_delay_alu instid0(VALU_DEP_2)
	v_cndmask_b32_e64 v20, v41, v23, s15
	s_and_b32 s15, s13, vcc_lo
	s_delay_alu instid0(VALU_DEP_1) | instid1(SALU_CYCLE_1)
	v_cndmask_b32_e64 v20, v20, 0x7fff, s15
; %bb.900:                              ;   in Loop: Header=BB6_896 Depth=4
	s_or_b32 exec_lo, exec_lo, s39
.LBB6_901:                              ;   in Loop: Header=BB6_896 Depth=4
	s_delay_alu instid0(SALU_CYCLE_1)
	s_or_b32 exec_lo, exec_lo, s38
	s_mov_b32 s15, 0
.LBB6_902:                              ;   in Loop: Header=BB6_896 Depth=4
	s_delay_alu instid0(SALU_CYCLE_1)
	s_and_not1_b32 vcc_lo, exec_lo, s15
	s_cbranch_vccnz .LBB6_908
; %bb.903:                              ;   in Loop: Header=BB6_896 Depth=4
	s_and_saveexec_b32 s15, s37
	s_cbranch_execz .LBB6_907
; %bb.904:                              ;   in Loop: Header=BB6_896 Depth=4
	s_or_b32 s14, s13, s14
	s_delay_alu instid0(SALU_CYCLE_1)
	s_and_saveexec_b32 s37, s14
; %bb.905:                              ;   in Loop: Header=BB6_896 Depth=4
	v_cmp_gt_f16_e64 s14, v23, v41
	v_cmp_lt_u16_e32 vcc_lo, 0x7c00, v42
	s_delay_alu instid0(VALU_DEP_2)
	v_cndmask_b32_e64 v20, v23, v41, s14
	s_and_b32 s13, s13, vcc_lo
	s_delay_alu instid0(VALU_DEP_1) | instid1(SALU_CYCLE_1)
	v_cndmask_b32_e64 v23, v20, 0x7fff, s13
; %bb.906:                              ;   in Loop: Header=BB6_896 Depth=4
	s_or_b32 exec_lo, exec_lo, s37
	s_delay_alu instid0(VALU_DEP_1)
	v_mov_b32_e32 v41, v23
.LBB6_907:                              ;   in Loop: Header=BB6_896 Depth=4
	s_or_b32 exec_lo, exec_lo, s15
	s_delay_alu instid0(VALU_DEP_1)
	v_mov_b32_e32 v20, v41
.LBB6_908:                              ;   in Loop: Header=BB6_896 Depth=4
	v_and_b32_e32 v23, 0x7fff, v26
	s_waitcnt vmcnt(14) lgkmcnt(14)
	v_and_b32_e32 v41, 0x7fff, v40
	s_mov_b32 s15, -1
	s_and_not1_b32 vcc_lo, exec_lo, s35
	v_cmp_lt_u16_e64 s13, 0x7c00, v23
	s_delay_alu instid0(VALU_DEP_2) | instskip(NEXT) | instid1(VALU_DEP_1)
	v_cmp_gt_u16_e64 s14, 0x7c01, v41
                                        ; implicit-def: $vgpr23
	s_and_b32 s37, s13, s14
	s_delay_alu instid0(SALU_CYCLE_1)
	s_xor_b32 s37, s37, -1
	s_cbranch_vccnz .LBB6_914
; %bb.909:                              ;   in Loop: Header=BB6_896 Depth=4
	v_mov_b32_e32 v23, v40
	s_and_saveexec_b32 s38, s37
	s_cbranch_execz .LBB6_913
; %bb.910:                              ;   in Loop: Header=BB6_896 Depth=4
	v_mov_b32_e32 v23, v26
	s_or_b32 s15, s13, s14
	s_delay_alu instid0(SALU_CYCLE_1)
	s_and_saveexec_b32 s39, s15
; %bb.911:                              ;   in Loop: Header=BB6_896 Depth=4
	v_cmp_gt_f16_e64 s15, v26, v40
	v_cmp_lt_u16_e32 vcc_lo, 0x7c00, v41
	s_delay_alu instid0(VALU_DEP_2)
	v_cndmask_b32_e64 v23, v40, v26, s15
	s_and_b32 s15, s13, vcc_lo
	s_delay_alu instid0(VALU_DEP_1) | instid1(SALU_CYCLE_1)
	v_cndmask_b32_e64 v23, v23, 0x7fff, s15
; %bb.912:                              ;   in Loop: Header=BB6_896 Depth=4
	s_or_b32 exec_lo, exec_lo, s39
.LBB6_913:                              ;   in Loop: Header=BB6_896 Depth=4
	s_delay_alu instid0(SALU_CYCLE_1)
	s_or_b32 exec_lo, exec_lo, s38
	s_mov_b32 s15, 0
.LBB6_914:                              ;   in Loop: Header=BB6_896 Depth=4
	s_delay_alu instid0(SALU_CYCLE_1)
	s_and_not1_b32 vcc_lo, exec_lo, s15
	s_cbranch_vccnz .LBB6_920
; %bb.915:                              ;   in Loop: Header=BB6_896 Depth=4
	s_and_saveexec_b32 s15, s37
	s_cbranch_execz .LBB6_919
; %bb.916:                              ;   in Loop: Header=BB6_896 Depth=4
	s_or_b32 s14, s13, s14
	s_delay_alu instid0(SALU_CYCLE_1)
	s_and_saveexec_b32 s37, s14
; %bb.917:                              ;   in Loop: Header=BB6_896 Depth=4
	v_cmp_gt_f16_e64 s14, v26, v40
	v_cmp_lt_u16_e32 vcc_lo, 0x7c00, v41
	s_delay_alu instid0(VALU_DEP_2)
	v_cndmask_b32_e64 v23, v26, v40, s14
	s_and_b32 s13, s13, vcc_lo
	s_delay_alu instid0(VALU_DEP_1) | instid1(SALU_CYCLE_1)
	v_cndmask_b32_e64 v26, v23, 0x7fff, s13
; %bb.918:                              ;   in Loop: Header=BB6_896 Depth=4
	s_or_b32 exec_lo, exec_lo, s37
	s_delay_alu instid0(VALU_DEP_1)
	v_mov_b32_e32 v40, v26
.LBB6_919:                              ;   in Loop: Header=BB6_896 Depth=4
	s_or_b32 exec_lo, exec_lo, s15
	s_delay_alu instid0(VALU_DEP_1)
	v_mov_b32_e32 v23, v40
.LBB6_920:                              ;   in Loop: Header=BB6_896 Depth=4
	v_and_b32_e32 v26, 0x7fff, v33
	s_waitcnt vmcnt(13) lgkmcnt(13)
	v_and_b32_e32 v40, 0x7fff, v183
	s_mov_b32 s15, -1
	s_and_not1_b32 vcc_lo, exec_lo, s35
	v_cmp_lt_u16_e64 s13, 0x7c00, v26
	s_delay_alu instid0(VALU_DEP_2) | instskip(NEXT) | instid1(VALU_DEP_1)
	v_cmp_gt_u16_e64 s14, 0x7c01, v40
                                        ; implicit-def: $vgpr26
	s_and_b32 s37, s13, s14
	s_delay_alu instid0(SALU_CYCLE_1)
	s_xor_b32 s37, s37, -1
	s_cbranch_vccnz .LBB6_926
; %bb.921:                              ;   in Loop: Header=BB6_896 Depth=4
	v_mov_b32_e32 v26, v183
	s_and_saveexec_b32 s38, s37
	s_cbranch_execz .LBB6_925
; %bb.922:                              ;   in Loop: Header=BB6_896 Depth=4
	v_mov_b32_e32 v26, v33
	s_or_b32 s15, s13, s14
	s_delay_alu instid0(SALU_CYCLE_1)
	s_and_saveexec_b32 s39, s15
; %bb.923:                              ;   in Loop: Header=BB6_896 Depth=4
	v_cmp_gt_f16_e64 s15, v33, v183
	v_cmp_lt_u16_e32 vcc_lo, 0x7c00, v40
	s_delay_alu instid0(VALU_DEP_2)
	v_cndmask_b32_e64 v26, v183, v33, s15
	s_and_b32 s15, s13, vcc_lo
	s_delay_alu instid0(VALU_DEP_1) | instid1(SALU_CYCLE_1)
	v_cndmask_b32_e64 v26, v26, 0x7fff, s15
; %bb.924:                              ;   in Loop: Header=BB6_896 Depth=4
	s_or_b32 exec_lo, exec_lo, s39
.LBB6_925:                              ;   in Loop: Header=BB6_896 Depth=4
	s_delay_alu instid0(SALU_CYCLE_1)
	s_or_b32 exec_lo, exec_lo, s38
	s_mov_b32 s15, 0
.LBB6_926:                              ;   in Loop: Header=BB6_896 Depth=4
	s_delay_alu instid0(SALU_CYCLE_1)
	s_and_not1_b32 vcc_lo, exec_lo, s15
	s_cbranch_vccnz .LBB6_932
; %bb.927:                              ;   in Loop: Header=BB6_896 Depth=4
	s_and_saveexec_b32 s15, s37
	s_cbranch_execz .LBB6_931
; %bb.928:                              ;   in Loop: Header=BB6_896 Depth=4
	s_or_b32 s14, s13, s14
	s_delay_alu instid0(SALU_CYCLE_1)
	s_and_saveexec_b32 s37, s14
; %bb.929:                              ;   in Loop: Header=BB6_896 Depth=4
	v_cmp_gt_f16_e64 s14, v33, v183
	v_cmp_lt_u16_e32 vcc_lo, 0x7c00, v40
	s_delay_alu instid0(VALU_DEP_2)
	v_cndmask_b32_e64 v26, v33, v183, s14
	s_and_b32 s13, s13, vcc_lo
	s_delay_alu instid0(VALU_DEP_1) | instid1(SALU_CYCLE_1)
	v_cndmask_b32_e64 v33, v26, 0x7fff, s13
; %bb.930:                              ;   in Loop: Header=BB6_896 Depth=4
	s_or_b32 exec_lo, exec_lo, s37
	s_delay_alu instid0(VALU_DEP_1)
	v_mov_b32_e32 v183, v33
.LBB6_931:                              ;   in Loop: Header=BB6_896 Depth=4
	s_or_b32 exec_lo, exec_lo, s15
	s_delay_alu instid0(VALU_DEP_1)
	v_mov_b32_e32 v26, v183
.LBB6_932:                              ;   in Loop: Header=BB6_896 Depth=4
	v_and_b32_e32 v33, 0x7fff, v36
	s_waitcnt vmcnt(12) lgkmcnt(12)
	v_and_b32_e32 v183, 0x7fff, v131
	s_mov_b32 s15, -1
	s_and_not1_b32 vcc_lo, exec_lo, s35
	v_cmp_lt_u16_e64 s13, 0x7c00, v33
	s_delay_alu instid0(VALU_DEP_2) | instskip(NEXT) | instid1(VALU_DEP_1)
	v_cmp_gt_u16_e64 s14, 0x7c01, v183
                                        ; implicit-def: $vgpr33
	s_and_b32 s37, s13, s14
	s_delay_alu instid0(SALU_CYCLE_1)
	s_xor_b32 s37, s37, -1
	s_cbranch_vccnz .LBB6_938
; %bb.933:                              ;   in Loop: Header=BB6_896 Depth=4
	v_mov_b32_e32 v33, v131
	s_and_saveexec_b32 s38, s37
	s_cbranch_execz .LBB6_937
; %bb.934:                              ;   in Loop: Header=BB6_896 Depth=4
	v_mov_b32_e32 v33, v36
	s_or_b32 s15, s13, s14
	s_delay_alu instid0(SALU_CYCLE_1)
	s_and_saveexec_b32 s39, s15
; %bb.935:                              ;   in Loop: Header=BB6_896 Depth=4
	v_cmp_gt_f16_e64 s15, v36, v131
	v_cmp_lt_u16_e64 vcc_lo, 0x7c00, v183
	s_delay_alu instid0(VALU_DEP_2) | instskip(NEXT) | instid1(VALU_DEP_2)
	v_cndmask_b32_e64 v33, v131, v36, s15
	s_and_b32 s15, s13, vcc_lo
	s_delay_alu instid0(VALU_DEP_1) | instid1(SALU_CYCLE_1)
	v_cndmask_b32_e64 v33, v33, 0x7fff, s15
; %bb.936:                              ;   in Loop: Header=BB6_896 Depth=4
	s_or_b32 exec_lo, exec_lo, s39
.LBB6_937:                              ;   in Loop: Header=BB6_896 Depth=4
	s_delay_alu instid0(SALU_CYCLE_1)
	s_or_b32 exec_lo, exec_lo, s38
	s_mov_b32 s15, 0
.LBB6_938:                              ;   in Loop: Header=BB6_896 Depth=4
	s_delay_alu instid0(SALU_CYCLE_1)
	s_and_not1_b32 vcc_lo, exec_lo, s15
	s_cbranch_vccnz .LBB6_944
; %bb.939:                              ;   in Loop: Header=BB6_896 Depth=4
	s_and_saveexec_b32 s15, s37
	s_cbranch_execz .LBB6_943
; %bb.940:                              ;   in Loop: Header=BB6_896 Depth=4
	s_or_b32 s14, s13, s14
	s_delay_alu instid0(SALU_CYCLE_1)
	s_and_saveexec_b32 s37, s14
; %bb.941:                              ;   in Loop: Header=BB6_896 Depth=4
	v_cmp_gt_f16_e64 s14, v36, v131
	v_cmp_lt_u16_e64 vcc_lo, 0x7c00, v183
	s_delay_alu instid0(VALU_DEP_2) | instskip(NEXT) | instid1(VALU_DEP_2)
	v_cndmask_b32_e64 v33, v36, v131, s14
	s_and_b32 s13, s13, vcc_lo
	s_delay_alu instid0(VALU_DEP_1) | instid1(SALU_CYCLE_1)
	v_cndmask_b32_e64 v36, v33, 0x7fff, s13
; %bb.942:                              ;   in Loop: Header=BB6_896 Depth=4
	s_or_b32 exec_lo, exec_lo, s37
	s_delay_alu instid0(VALU_DEP_1)
	v_mov_b32_e32 v131, v36
.LBB6_943:                              ;   in Loop: Header=BB6_896 Depth=4
	s_or_b32 exec_lo, exec_lo, s15
	s_delay_alu instid0(VALU_DEP_1)
	v_mov_b32_e32 v33, v131
.LBB6_944:                              ;   in Loop: Header=BB6_896 Depth=4
	v_and_b32_e32 v36, 0x7fff, v38
	s_waitcnt vmcnt(11) lgkmcnt(11)
	v_and_b32_e32 v131, 0x7fff, v129
	s_mov_b32 s15, -1
	s_and_not1_b32 vcc_lo, exec_lo, s35
	v_cmp_lt_u16_e64 s13, 0x7c00, v36
	s_delay_alu instid0(VALU_DEP_2) | instskip(NEXT) | instid1(VALU_DEP_1)
	v_cmp_gt_u16_e64 s14, 0x7c01, v131
                                        ; implicit-def: $vgpr36
	s_and_b32 s37, s13, s14
	s_delay_alu instid0(SALU_CYCLE_1)
	s_xor_b32 s37, s37, -1
	s_cbranch_vccnz .LBB6_950
; %bb.945:                              ;   in Loop: Header=BB6_896 Depth=4
	v_mov_b32_e32 v36, v129
	s_and_saveexec_b32 s38, s37
	s_cbranch_execz .LBB6_949
; %bb.946:                              ;   in Loop: Header=BB6_896 Depth=4
	v_mov_b32_e32 v36, v38
	s_or_b32 s15, s13, s14
	s_delay_alu instid0(SALU_CYCLE_1)
	s_and_saveexec_b32 s39, s15
; %bb.947:                              ;   in Loop: Header=BB6_896 Depth=4
	v_cmp_gt_f16_e64 s15, v38, v129
	v_cmp_lt_u16_e64 vcc_lo, 0x7c00, v131
	s_delay_alu instid0(VALU_DEP_2) | instskip(NEXT) | instid1(VALU_DEP_2)
	v_cndmask_b32_e64 v36, v129, v38, s15
	s_and_b32 s15, s13, vcc_lo
	s_delay_alu instid0(VALU_DEP_1) | instid1(SALU_CYCLE_1)
	v_cndmask_b32_e64 v36, v36, 0x7fff, s15
; %bb.948:                              ;   in Loop: Header=BB6_896 Depth=4
	s_or_b32 exec_lo, exec_lo, s39
.LBB6_949:                              ;   in Loop: Header=BB6_896 Depth=4
	s_delay_alu instid0(SALU_CYCLE_1)
	s_or_b32 exec_lo, exec_lo, s38
	s_mov_b32 s15, 0
.LBB6_950:                              ;   in Loop: Header=BB6_896 Depth=4
	s_delay_alu instid0(SALU_CYCLE_1)
	s_and_not1_b32 vcc_lo, exec_lo, s15
	s_cbranch_vccnz .LBB6_956
; %bb.951:                              ;   in Loop: Header=BB6_896 Depth=4
	s_and_saveexec_b32 s15, s37
	s_cbranch_execz .LBB6_955
; %bb.952:                              ;   in Loop: Header=BB6_896 Depth=4
	s_or_b32 s14, s13, s14
	s_delay_alu instid0(SALU_CYCLE_1)
	s_and_saveexec_b32 s37, s14
; %bb.953:                              ;   in Loop: Header=BB6_896 Depth=4
	v_cmp_gt_f16_e64 s14, v38, v129
	v_cmp_lt_u16_e64 vcc_lo, 0x7c00, v131
	s_delay_alu instid0(VALU_DEP_2) | instskip(NEXT) | instid1(VALU_DEP_2)
	v_cndmask_b32_e64 v36, v38, v129, s14
	s_and_b32 s13, s13, vcc_lo
	s_delay_alu instid0(VALU_DEP_1) | instid1(SALU_CYCLE_1)
	v_cndmask_b32_e64 v38, v36, 0x7fff, s13
; %bb.954:                              ;   in Loop: Header=BB6_896 Depth=4
	s_or_b32 exec_lo, exec_lo, s37
	s_delay_alu instid0(VALU_DEP_1)
	v_mov_b32_e32 v129, v38
.LBB6_955:                              ;   in Loop: Header=BB6_896 Depth=4
	s_or_b32 exec_lo, exec_lo, s15
	s_delay_alu instid0(VALU_DEP_1)
	v_mov_b32_e32 v36, v129
.LBB6_956:                              ;   in Loop: Header=BB6_896 Depth=4
	v_and_b32_e32 v38, 0x7fff, v49
	s_waitcnt vmcnt(10) lgkmcnt(10)
	v_and_b32_e32 v129, 0x7fff, v128
	s_mov_b32 s15, -1
	s_and_not1_b32 vcc_lo, exec_lo, s35
	v_cmp_lt_u16_e64 s13, 0x7c00, v38
	s_delay_alu instid0(VALU_DEP_2) | instskip(NEXT) | instid1(VALU_DEP_1)
	v_cmp_gt_u16_e64 s14, 0x7c01, v129
                                        ; implicit-def: $vgpr38
	s_and_b32 s37, s13, s14
	s_delay_alu instid0(SALU_CYCLE_1)
	s_xor_b32 s37, s37, -1
	s_cbranch_vccnz .LBB6_962
; %bb.957:                              ;   in Loop: Header=BB6_896 Depth=4
	v_mov_b32_e32 v38, v128
	s_and_saveexec_b32 s38, s37
	s_cbranch_execz .LBB6_961
; %bb.958:                              ;   in Loop: Header=BB6_896 Depth=4
	v_mov_b32_e32 v38, v49
	s_or_b32 s15, s13, s14
	s_delay_alu instid0(SALU_CYCLE_1)
	s_and_saveexec_b32 s39, s15
; %bb.959:                              ;   in Loop: Header=BB6_896 Depth=4
	v_cmp_gt_f16_e64 s15, v49, v128
	v_cmp_lt_u16_e64 vcc_lo, 0x7c00, v129
	s_delay_alu instid0(VALU_DEP_2) | instskip(NEXT) | instid1(VALU_DEP_2)
	v_cndmask_b32_e64 v38, v128, v49, s15
	s_and_b32 s15, s13, vcc_lo
	s_delay_alu instid0(VALU_DEP_1) | instid1(SALU_CYCLE_1)
	v_cndmask_b32_e64 v38, v38, 0x7fff, s15
; %bb.960:                              ;   in Loop: Header=BB6_896 Depth=4
	s_or_b32 exec_lo, exec_lo, s39
.LBB6_961:                              ;   in Loop: Header=BB6_896 Depth=4
	s_delay_alu instid0(SALU_CYCLE_1)
	s_or_b32 exec_lo, exec_lo, s38
	s_mov_b32 s15, 0
.LBB6_962:                              ;   in Loop: Header=BB6_896 Depth=4
	s_delay_alu instid0(SALU_CYCLE_1)
	s_and_not1_b32 vcc_lo, exec_lo, s15
	s_cbranch_vccnz .LBB6_968
; %bb.963:                              ;   in Loop: Header=BB6_896 Depth=4
	s_and_saveexec_b32 s15, s37
	s_cbranch_execz .LBB6_967
; %bb.964:                              ;   in Loop: Header=BB6_896 Depth=4
	s_or_b32 s14, s13, s14
	s_delay_alu instid0(SALU_CYCLE_1)
	s_and_saveexec_b32 s37, s14
; %bb.965:                              ;   in Loop: Header=BB6_896 Depth=4
	v_cmp_gt_f16_e64 s14, v49, v128
	v_cmp_lt_u16_e64 vcc_lo, 0x7c00, v129
	s_delay_alu instid0(VALU_DEP_2) | instskip(NEXT) | instid1(VALU_DEP_2)
	v_cndmask_b32_e64 v38, v49, v128, s14
	s_and_b32 s13, s13, vcc_lo
	s_delay_alu instid0(VALU_DEP_1) | instid1(SALU_CYCLE_1)
	v_cndmask_b32_e64 v49, v38, 0x7fff, s13
; %bb.966:                              ;   in Loop: Header=BB6_896 Depth=4
	s_or_b32 exec_lo, exec_lo, s37
	s_delay_alu instid0(VALU_DEP_1)
	v_mov_b32_e32 v128, v49
.LBB6_967:                              ;   in Loop: Header=BB6_896 Depth=4
	s_or_b32 exec_lo, exec_lo, s15
	s_delay_alu instid0(VALU_DEP_1)
	v_mov_b32_e32 v38, v128
.LBB6_968:                              ;   in Loop: Header=BB6_896 Depth=4
	v_and_b32_e32 v49, 0x7fff, v113
	s_waitcnt vmcnt(9) lgkmcnt(9)
	v_and_b32_e32 v128, 0x7fff, v119
	s_mov_b32 s15, -1
	s_and_not1_b32 vcc_lo, exec_lo, s35
	v_cmp_lt_u16_e64 s13, 0x7c00, v49
	s_delay_alu instid0(VALU_DEP_2) | instskip(NEXT) | instid1(VALU_DEP_1)
	v_cmp_gt_u16_e64 s14, 0x7c01, v128
                                        ; implicit-def: $vgpr49
	s_and_b32 s37, s13, s14
	s_delay_alu instid0(SALU_CYCLE_1)
	s_xor_b32 s37, s37, -1
	s_cbranch_vccnz .LBB6_974
; %bb.969:                              ;   in Loop: Header=BB6_896 Depth=4
	v_mov_b32_e32 v49, v119
	s_and_saveexec_b32 s38, s37
	s_cbranch_execz .LBB6_973
; %bb.970:                              ;   in Loop: Header=BB6_896 Depth=4
	v_mov_b32_e32 v49, v113
	s_or_b32 s15, s13, s14
	s_delay_alu instid0(SALU_CYCLE_1)
	s_and_saveexec_b32 s39, s15
; %bb.971:                              ;   in Loop: Header=BB6_896 Depth=4
	v_cmp_gt_f16_e64 s15, v113, v119
	v_cmp_lt_u16_e64 vcc_lo, 0x7c00, v128
	s_delay_alu instid0(VALU_DEP_2) | instskip(NEXT) | instid1(VALU_DEP_2)
	v_cndmask_b32_e64 v49, v119, v113, s15
	s_and_b32 s15, s13, vcc_lo
	s_delay_alu instid0(VALU_DEP_1) | instid1(SALU_CYCLE_1)
	v_cndmask_b32_e64 v49, v49, 0x7fff, s15
; %bb.972:                              ;   in Loop: Header=BB6_896 Depth=4
	s_or_b32 exec_lo, exec_lo, s39
.LBB6_973:                              ;   in Loop: Header=BB6_896 Depth=4
	s_delay_alu instid0(SALU_CYCLE_1)
	s_or_b32 exec_lo, exec_lo, s38
	s_mov_b32 s15, 0
.LBB6_974:                              ;   in Loop: Header=BB6_896 Depth=4
	s_delay_alu instid0(SALU_CYCLE_1)
	s_and_not1_b32 vcc_lo, exec_lo, s15
	s_cbranch_vccnz .LBB6_980
; %bb.975:                              ;   in Loop: Header=BB6_896 Depth=4
	s_and_saveexec_b32 s15, s37
	s_cbranch_execz .LBB6_979
; %bb.976:                              ;   in Loop: Header=BB6_896 Depth=4
	s_or_b32 s14, s13, s14
	s_delay_alu instid0(SALU_CYCLE_1)
	s_and_saveexec_b32 s37, s14
; %bb.977:                              ;   in Loop: Header=BB6_896 Depth=4
	v_cmp_gt_f16_e64 s14, v113, v119
	v_cmp_lt_u16_e64 vcc_lo, 0x7c00, v128
	s_delay_alu instid0(VALU_DEP_2) | instskip(NEXT) | instid1(VALU_DEP_2)
	v_cndmask_b32_e64 v49, v113, v119, s14
	s_and_b32 s13, s13, vcc_lo
	s_delay_alu instid0(VALU_DEP_1) | instid1(SALU_CYCLE_1)
	v_cndmask_b32_e64 v113, v49, 0x7fff, s13
; %bb.978:                              ;   in Loop: Header=BB6_896 Depth=4
	s_or_b32 exec_lo, exec_lo, s37
	s_delay_alu instid0(VALU_DEP_1)
	v_mov_b32_e32 v119, v113
.LBB6_979:                              ;   in Loop: Header=BB6_896 Depth=4
	s_or_b32 exec_lo, exec_lo, s15
	s_delay_alu instid0(VALU_DEP_1)
	v_mov_b32_e32 v49, v119
.LBB6_980:                              ;   in Loop: Header=BB6_896 Depth=4
	v_and_b32_e32 v113, 0x7fff, v117
	s_waitcnt vmcnt(8) lgkmcnt(8)
	v_and_b32_e32 v119, 0x7fff, v118
	s_mov_b32 s15, -1
	s_and_not1_b32 vcc_lo, exec_lo, s35
	v_cmp_lt_u16_e64 s13, 0x7c00, v113
	s_delay_alu instid0(VALU_DEP_2) | instskip(NEXT) | instid1(VALU_DEP_1)
	v_cmp_gt_u16_e64 s14, 0x7c01, v119
                                        ; implicit-def: $vgpr113
	s_and_b32 s37, s13, s14
	s_delay_alu instid0(SALU_CYCLE_1)
	s_xor_b32 s37, s37, -1
	s_cbranch_vccnz .LBB6_986
; %bb.981:                              ;   in Loop: Header=BB6_896 Depth=4
	v_mov_b32_e32 v113, v118
	s_and_saveexec_b32 s38, s37
	s_cbranch_execz .LBB6_985
; %bb.982:                              ;   in Loop: Header=BB6_896 Depth=4
	v_mov_b32_e32 v113, v117
	s_or_b32 s15, s13, s14
	s_delay_alu instid0(SALU_CYCLE_1)
	s_and_saveexec_b32 s39, s15
; %bb.983:                              ;   in Loop: Header=BB6_896 Depth=4
	v_cmp_gt_f16_e64 s15, v117, v118
	v_cmp_lt_u16_e32 vcc_lo, 0x7c00, v119
	s_delay_alu instid0(VALU_DEP_2)
	v_cndmask_b32_e64 v113, v118, v117, s15
	s_and_b32 s15, s13, vcc_lo
	s_delay_alu instid0(VALU_DEP_1) | instid1(SALU_CYCLE_1)
	v_cndmask_b32_e64 v113, v113, 0x7fff, s15
; %bb.984:                              ;   in Loop: Header=BB6_896 Depth=4
	s_or_b32 exec_lo, exec_lo, s39
.LBB6_985:                              ;   in Loop: Header=BB6_896 Depth=4
	s_delay_alu instid0(SALU_CYCLE_1)
	s_or_b32 exec_lo, exec_lo, s38
	s_mov_b32 s15, 0
.LBB6_986:                              ;   in Loop: Header=BB6_896 Depth=4
	s_delay_alu instid0(SALU_CYCLE_1)
	s_and_not1_b32 vcc_lo, exec_lo, s15
	s_cbranch_vccnz .LBB6_992
; %bb.987:                              ;   in Loop: Header=BB6_896 Depth=4
	s_and_saveexec_b32 s15, s37
	s_cbranch_execz .LBB6_991
; %bb.988:                              ;   in Loop: Header=BB6_896 Depth=4
	s_or_b32 s14, s13, s14
	s_delay_alu instid0(SALU_CYCLE_1)
	s_and_saveexec_b32 s37, s14
; %bb.989:                              ;   in Loop: Header=BB6_896 Depth=4
	v_cmp_gt_f16_e64 s14, v117, v118
	v_cmp_lt_u16_e32 vcc_lo, 0x7c00, v119
	s_delay_alu instid0(VALU_DEP_2)
	v_cndmask_b32_e64 v113, v117, v118, s14
	s_and_b32 s13, s13, vcc_lo
	s_delay_alu instid0(VALU_DEP_1) | instid1(SALU_CYCLE_1)
	v_cndmask_b32_e64 v117, v113, 0x7fff, s13
; %bb.990:                              ;   in Loop: Header=BB6_896 Depth=4
	s_or_b32 exec_lo, exec_lo, s37
	s_delay_alu instid0(VALU_DEP_1)
	v_mov_b32_e32 v118, v117
.LBB6_991:                              ;   in Loop: Header=BB6_896 Depth=4
	s_or_b32 exec_lo, exec_lo, s15
	s_delay_alu instid0(VALU_DEP_1)
	v_mov_b32_e32 v113, v118
.LBB6_992:                              ;   in Loop: Header=BB6_896 Depth=4
	v_and_b32_e32 v117, 0x7fff, v51
	s_waitcnt vmcnt(7) lgkmcnt(7)
	v_and_b32_e32 v118, 0x7fff, v116
	s_mov_b32 s15, -1
	s_and_not1_b32 vcc_lo, exec_lo, s35
	v_cmp_lt_u16_e64 s13, 0x7c00, v117
	s_delay_alu instid0(VALU_DEP_2) | instskip(NEXT) | instid1(VALU_DEP_1)
	v_cmp_gt_u16_e64 s14, 0x7c01, v118
                                        ; implicit-def: $vgpr117
	s_and_b32 s37, s13, s14
	s_delay_alu instid0(SALU_CYCLE_1)
	s_xor_b32 s37, s37, -1
	s_cbranch_vccnz .LBB6_998
; %bb.993:                              ;   in Loop: Header=BB6_896 Depth=4
	v_mov_b32_e32 v117, v116
	s_and_saveexec_b32 s38, s37
	s_cbranch_execz .LBB6_997
; %bb.994:                              ;   in Loop: Header=BB6_896 Depth=4
	v_mov_b32_e32 v117, v51
	s_or_b32 s15, s13, s14
	s_delay_alu instid0(SALU_CYCLE_1)
	s_and_saveexec_b32 s39, s15
; %bb.995:                              ;   in Loop: Header=BB6_896 Depth=4
	v_cmp_gt_f16_e64 s15, v51, v116
	v_cmp_lt_u16_e32 vcc_lo, 0x7c00, v118
	s_delay_alu instid0(VALU_DEP_2)
	v_cndmask_b32_e64 v117, v116, v51, s15
	s_and_b32 s15, s13, vcc_lo
	s_delay_alu instid0(VALU_DEP_1) | instid1(SALU_CYCLE_1)
	v_cndmask_b32_e64 v117, v117, 0x7fff, s15
; %bb.996:                              ;   in Loop: Header=BB6_896 Depth=4
	s_or_b32 exec_lo, exec_lo, s39
.LBB6_997:                              ;   in Loop: Header=BB6_896 Depth=4
	s_delay_alu instid0(SALU_CYCLE_1)
	s_or_b32 exec_lo, exec_lo, s38
	s_mov_b32 s15, 0
.LBB6_998:                              ;   in Loop: Header=BB6_896 Depth=4
	s_delay_alu instid0(SALU_CYCLE_1)
	s_and_not1_b32 vcc_lo, exec_lo, s15
	s_cbranch_vccnz .LBB6_1004
; %bb.999:                              ;   in Loop: Header=BB6_896 Depth=4
	s_and_saveexec_b32 s15, s37
	s_cbranch_execz .LBB6_1003
; %bb.1000:                             ;   in Loop: Header=BB6_896 Depth=4
	s_or_b32 s14, s13, s14
	s_delay_alu instid0(SALU_CYCLE_1)
	s_and_saveexec_b32 s37, s14
; %bb.1001:                             ;   in Loop: Header=BB6_896 Depth=4
	v_cmp_gt_f16_e64 s14, v51, v116
	v_cmp_lt_u16_e32 vcc_lo, 0x7c00, v118
	s_delay_alu instid0(VALU_DEP_2)
	v_cndmask_b32_e64 v51, v51, v116, s14
	s_and_b32 s13, s13, vcc_lo
	s_delay_alu instid0(VALU_DEP_1) | instid1(SALU_CYCLE_1)
	v_cndmask_b32_e64 v51, v51, 0x7fff, s13
; %bb.1002:                             ;   in Loop: Header=BB6_896 Depth=4
	s_or_b32 exec_lo, exec_lo, s37
	s_delay_alu instid0(VALU_DEP_1)
	v_mov_b32_e32 v116, v51
.LBB6_1003:                             ;   in Loop: Header=BB6_896 Depth=4
	s_or_b32 exec_lo, exec_lo, s15
	s_delay_alu instid0(VALU_DEP_1)
	v_mov_b32_e32 v117, v116
.LBB6_1004:                             ;   in Loop: Header=BB6_896 Depth=4
	v_and_b32_e32 v51, 0x7fff, v48
	s_waitcnt vmcnt(6) lgkmcnt(6)
	v_and_b32_e32 v116, 0x7fff, v50
	s_mov_b32 s15, -1
	s_and_not1_b32 vcc_lo, exec_lo, s35
	v_cmp_lt_u16_e64 s13, 0x7c00, v51
	s_delay_alu instid0(VALU_DEP_2) | instskip(NEXT) | instid1(VALU_DEP_1)
	v_cmp_gt_u16_e64 s14, 0x7c01, v116
                                        ; implicit-def: $vgpr51
	s_and_b32 s37, s13, s14
	s_delay_alu instid0(SALU_CYCLE_1)
	s_xor_b32 s37, s37, -1
	s_cbranch_vccnz .LBB6_1010
; %bb.1005:                             ;   in Loop: Header=BB6_896 Depth=4
	v_mov_b32_e32 v51, v50
	s_and_saveexec_b32 s38, s37
	s_cbranch_execz .LBB6_1009
; %bb.1006:                             ;   in Loop: Header=BB6_896 Depth=4
	v_mov_b32_e32 v51, v48
	s_or_b32 s15, s13, s14
	s_delay_alu instid0(SALU_CYCLE_1)
	s_and_saveexec_b32 s39, s15
; %bb.1007:                             ;   in Loop: Header=BB6_896 Depth=4
	v_cmp_gt_f16_e64 s15, v48, v50
	v_cmp_lt_u16_e32 vcc_lo, 0x7c00, v116
	s_delay_alu instid0(VALU_DEP_2)
	v_cndmask_b32_e64 v51, v50, v48, s15
	s_and_b32 s15, s13, vcc_lo
	s_delay_alu instid0(VALU_DEP_1) | instid1(SALU_CYCLE_1)
	v_cndmask_b32_e64 v51, v51, 0x7fff, s15
; %bb.1008:                             ;   in Loop: Header=BB6_896 Depth=4
	s_or_b32 exec_lo, exec_lo, s39
.LBB6_1009:                             ;   in Loop: Header=BB6_896 Depth=4
	s_delay_alu instid0(SALU_CYCLE_1)
	s_or_b32 exec_lo, exec_lo, s38
	s_mov_b32 s15, 0
.LBB6_1010:                             ;   in Loop: Header=BB6_896 Depth=4
	s_delay_alu instid0(SALU_CYCLE_1)
	s_and_not1_b32 vcc_lo, exec_lo, s15
	s_cbranch_vccnz .LBB6_1016
; %bb.1011:                             ;   in Loop: Header=BB6_896 Depth=4
	s_and_saveexec_b32 s15, s37
	s_cbranch_execz .LBB6_1015
; %bb.1012:                             ;   in Loop: Header=BB6_896 Depth=4
	s_or_b32 s14, s13, s14
	s_delay_alu instid0(SALU_CYCLE_1)
	s_and_saveexec_b32 s37, s14
; %bb.1013:                             ;   in Loop: Header=BB6_896 Depth=4
	v_cmp_gt_f16_e64 s14, v48, v50
	v_cmp_lt_u16_e32 vcc_lo, 0x7c00, v116
	s_delay_alu instid0(VALU_DEP_2)
	v_cndmask_b32_e64 v48, v48, v50, s14
	s_and_b32 s13, s13, vcc_lo
	s_delay_alu instid0(VALU_DEP_1) | instid1(SALU_CYCLE_1)
	v_cndmask_b32_e64 v48, v48, 0x7fff, s13
; %bb.1014:                             ;   in Loop: Header=BB6_896 Depth=4
	s_or_b32 exec_lo, exec_lo, s37
	s_delay_alu instid0(VALU_DEP_1)
	v_mov_b32_e32 v50, v48
.LBB6_1015:                             ;   in Loop: Header=BB6_896 Depth=4
	s_or_b32 exec_lo, exec_lo, s15
	s_delay_alu instid0(VALU_DEP_1)
	v_mov_b32_e32 v51, v50
.LBB6_1016:                             ;   in Loop: Header=BB6_896 Depth=4
	v_and_b32_e32 v48, 0x7fff, v37
	s_waitcnt vmcnt(5) lgkmcnt(5)
	v_and_b32_e32 v50, 0x7fff, v39
	s_mov_b32 s15, -1
	s_and_not1_b32 vcc_lo, exec_lo, s35
	v_cmp_lt_u16_e64 s13, 0x7c00, v48
	s_delay_alu instid0(VALU_DEP_2) | instskip(NEXT) | instid1(VALU_DEP_1)
	v_cmp_gt_u16_e64 s14, 0x7c01, v50
                                        ; implicit-def: $vgpr48
	s_and_b32 s37, s13, s14
	s_delay_alu instid0(SALU_CYCLE_1)
	s_xor_b32 s37, s37, -1
	s_cbranch_vccnz .LBB6_1022
; %bb.1017:                             ;   in Loop: Header=BB6_896 Depth=4
	v_mov_b32_e32 v48, v39
	s_and_saveexec_b32 s38, s37
	s_cbranch_execz .LBB6_1021
; %bb.1018:                             ;   in Loop: Header=BB6_896 Depth=4
	v_mov_b32_e32 v48, v37
	s_or_b32 s15, s13, s14
	s_delay_alu instid0(SALU_CYCLE_1)
	s_and_saveexec_b32 s39, s15
; %bb.1019:                             ;   in Loop: Header=BB6_896 Depth=4
	v_cmp_gt_f16_e64 s15, v37, v39
	v_cmp_lt_u16_e32 vcc_lo, 0x7c00, v50
	s_delay_alu instid0(VALU_DEP_2)
	v_cndmask_b32_e64 v48, v39, v37, s15
	s_and_b32 s15, s13, vcc_lo
	s_delay_alu instid0(VALU_DEP_1) | instid1(SALU_CYCLE_1)
	v_cndmask_b32_e64 v48, v48, 0x7fff, s15
; %bb.1020:                             ;   in Loop: Header=BB6_896 Depth=4
	s_or_b32 exec_lo, exec_lo, s39
.LBB6_1021:                             ;   in Loop: Header=BB6_896 Depth=4
	s_delay_alu instid0(SALU_CYCLE_1)
	s_or_b32 exec_lo, exec_lo, s38
	s_mov_b32 s15, 0
.LBB6_1022:                             ;   in Loop: Header=BB6_896 Depth=4
	s_delay_alu instid0(SALU_CYCLE_1)
	s_and_not1_b32 vcc_lo, exec_lo, s15
	s_cbranch_vccnz .LBB6_1028
; %bb.1023:                             ;   in Loop: Header=BB6_896 Depth=4
	s_and_saveexec_b32 s15, s37
	s_cbranch_execz .LBB6_1027
; %bb.1024:                             ;   in Loop: Header=BB6_896 Depth=4
	s_or_b32 s14, s13, s14
	s_delay_alu instid0(SALU_CYCLE_1)
	s_and_saveexec_b32 s37, s14
; %bb.1025:                             ;   in Loop: Header=BB6_896 Depth=4
	v_cmp_gt_f16_e64 s14, v37, v39
	v_cmp_lt_u16_e32 vcc_lo, 0x7c00, v50
	s_delay_alu instid0(VALU_DEP_2)
	v_cndmask_b32_e64 v37, v37, v39, s14
	s_and_b32 s13, s13, vcc_lo
	s_delay_alu instid0(VALU_DEP_1) | instid1(SALU_CYCLE_1)
	v_cndmask_b32_e64 v37, v37, 0x7fff, s13
; %bb.1026:                             ;   in Loop: Header=BB6_896 Depth=4
	s_or_b32 exec_lo, exec_lo, s37
	s_delay_alu instid0(VALU_DEP_1)
	v_mov_b32_e32 v39, v37
.LBB6_1027:                             ;   in Loop: Header=BB6_896 Depth=4
	s_or_b32 exec_lo, exec_lo, s15
	s_delay_alu instid0(VALU_DEP_1)
	v_mov_b32_e32 v48, v39
.LBB6_1028:                             ;   in Loop: Header=BB6_896 Depth=4
	v_and_b32_e32 v37, 0x7fff, v34
	s_waitcnt vmcnt(4) lgkmcnt(4)
	v_and_b32_e32 v39, 0x7fff, v35
	s_mov_b32 s15, -1
	s_and_not1_b32 vcc_lo, exec_lo, s35
	v_cmp_lt_u16_e64 s13, 0x7c00, v37
	s_delay_alu instid0(VALU_DEP_2) | instskip(NEXT) | instid1(VALU_DEP_1)
	v_cmp_gt_u16_e64 s14, 0x7c01, v39
                                        ; implicit-def: $vgpr37
	s_and_b32 s37, s13, s14
	s_delay_alu instid0(SALU_CYCLE_1)
	s_xor_b32 s37, s37, -1
	s_cbranch_vccnz .LBB6_1034
; %bb.1029:                             ;   in Loop: Header=BB6_896 Depth=4
	v_mov_b32_e32 v37, v35
	s_and_saveexec_b32 s38, s37
	s_cbranch_execz .LBB6_1033
; %bb.1030:                             ;   in Loop: Header=BB6_896 Depth=4
	v_mov_b32_e32 v37, v34
	s_or_b32 s15, s13, s14
	s_delay_alu instid0(SALU_CYCLE_1)
	s_and_saveexec_b32 s39, s15
; %bb.1031:                             ;   in Loop: Header=BB6_896 Depth=4
	v_cmp_gt_f16_e64 s15, v34, v35
	v_cmp_lt_u16_e32 vcc_lo, 0x7c00, v39
	s_delay_alu instid0(VALU_DEP_2)
	v_cndmask_b32_e64 v37, v35, v34, s15
	s_and_b32 s15, s13, vcc_lo
	s_delay_alu instid0(VALU_DEP_1) | instid1(SALU_CYCLE_1)
	v_cndmask_b32_e64 v37, v37, 0x7fff, s15
; %bb.1032:                             ;   in Loop: Header=BB6_896 Depth=4
	s_or_b32 exec_lo, exec_lo, s39
.LBB6_1033:                             ;   in Loop: Header=BB6_896 Depth=4
	s_delay_alu instid0(SALU_CYCLE_1)
	s_or_b32 exec_lo, exec_lo, s38
	s_mov_b32 s15, 0
.LBB6_1034:                             ;   in Loop: Header=BB6_896 Depth=4
	s_delay_alu instid0(SALU_CYCLE_1)
	s_and_not1_b32 vcc_lo, exec_lo, s15
	s_cbranch_vccnz .LBB6_1040
; %bb.1035:                             ;   in Loop: Header=BB6_896 Depth=4
	s_and_saveexec_b32 s15, s37
	s_cbranch_execz .LBB6_1039
; %bb.1036:                             ;   in Loop: Header=BB6_896 Depth=4
	s_or_b32 s14, s13, s14
	s_delay_alu instid0(SALU_CYCLE_1)
	s_and_saveexec_b32 s37, s14
; %bb.1037:                             ;   in Loop: Header=BB6_896 Depth=4
	v_cmp_gt_f16_e64 s14, v34, v35
	v_cmp_lt_u16_e32 vcc_lo, 0x7c00, v39
	s_delay_alu instid0(VALU_DEP_2)
	v_cndmask_b32_e64 v34, v34, v35, s14
	s_and_b32 s13, s13, vcc_lo
	s_delay_alu instid0(VALU_DEP_1) | instid1(SALU_CYCLE_1)
	v_cndmask_b32_e64 v34, v34, 0x7fff, s13
; %bb.1038:                             ;   in Loop: Header=BB6_896 Depth=4
	s_or_b32 exec_lo, exec_lo, s37
	s_delay_alu instid0(VALU_DEP_1)
	v_mov_b32_e32 v35, v34
.LBB6_1039:                             ;   in Loop: Header=BB6_896 Depth=4
	s_or_b32 exec_lo, exec_lo, s15
	s_delay_alu instid0(VALU_DEP_1)
	v_mov_b32_e32 v37, v35
.LBB6_1040:                             ;   in Loop: Header=BB6_896 Depth=4
	v_and_b32_e32 v34, 0x7fff, v27
	s_waitcnt vmcnt(3) lgkmcnt(3)
	v_and_b32_e32 v35, 0x7fff, v32
	s_mov_b32 s15, -1
	s_and_not1_b32 vcc_lo, exec_lo, s35
	v_cmp_lt_u16_e64 s13, 0x7c00, v34
	s_delay_alu instid0(VALU_DEP_2) | instskip(NEXT) | instid1(VALU_DEP_1)
	v_cmp_gt_u16_e64 s14, 0x7c01, v35
                                        ; implicit-def: $vgpr34
	s_and_b32 s37, s13, s14
	s_delay_alu instid0(SALU_CYCLE_1)
	s_xor_b32 s37, s37, -1
	s_cbranch_vccnz .LBB6_1046
; %bb.1041:                             ;   in Loop: Header=BB6_896 Depth=4
	v_mov_b32_e32 v34, v32
	s_and_saveexec_b32 s38, s37
	s_cbranch_execz .LBB6_1045
; %bb.1042:                             ;   in Loop: Header=BB6_896 Depth=4
	v_mov_b32_e32 v34, v27
	s_or_b32 s15, s13, s14
	s_delay_alu instid0(SALU_CYCLE_1)
	s_and_saveexec_b32 s39, s15
; %bb.1043:                             ;   in Loop: Header=BB6_896 Depth=4
	v_cmp_gt_f16_e64 s15, v27, v32
	v_cmp_lt_u16_e32 vcc_lo, 0x7c00, v35
	s_delay_alu instid0(VALU_DEP_2)
	v_cndmask_b32_e64 v34, v32, v27, s15
	s_and_b32 s15, s13, vcc_lo
	s_delay_alu instid0(VALU_DEP_1) | instid1(SALU_CYCLE_1)
	v_cndmask_b32_e64 v34, v34, 0x7fff, s15
; %bb.1044:                             ;   in Loop: Header=BB6_896 Depth=4
	s_or_b32 exec_lo, exec_lo, s39
.LBB6_1045:                             ;   in Loop: Header=BB6_896 Depth=4
	s_delay_alu instid0(SALU_CYCLE_1)
	s_or_b32 exec_lo, exec_lo, s38
	s_mov_b32 s15, 0
.LBB6_1046:                             ;   in Loop: Header=BB6_896 Depth=4
	s_delay_alu instid0(SALU_CYCLE_1)
	s_and_not1_b32 vcc_lo, exec_lo, s15
	s_cbranch_vccnz .LBB6_1052
; %bb.1047:                             ;   in Loop: Header=BB6_896 Depth=4
	s_and_saveexec_b32 s15, s37
	s_cbranch_execz .LBB6_1051
; %bb.1048:                             ;   in Loop: Header=BB6_896 Depth=4
	s_or_b32 s14, s13, s14
	s_delay_alu instid0(SALU_CYCLE_1)
	s_and_saveexec_b32 s37, s14
; %bb.1049:                             ;   in Loop: Header=BB6_896 Depth=4
	v_cmp_gt_f16_e64 s14, v27, v32
	v_cmp_lt_u16_e32 vcc_lo, 0x7c00, v35
	s_delay_alu instid0(VALU_DEP_2)
	v_cndmask_b32_e64 v27, v27, v32, s14
	s_and_b32 s13, s13, vcc_lo
	s_delay_alu instid0(VALU_DEP_1) | instid1(SALU_CYCLE_1)
	v_cndmask_b32_e64 v27, v27, 0x7fff, s13
; %bb.1050:                             ;   in Loop: Header=BB6_896 Depth=4
	s_or_b32 exec_lo, exec_lo, s37
	s_delay_alu instid0(VALU_DEP_1)
	v_mov_b32_e32 v32, v27
.LBB6_1051:                             ;   in Loop: Header=BB6_896 Depth=4
	s_or_b32 exec_lo, exec_lo, s15
	s_delay_alu instid0(VALU_DEP_1)
	v_mov_b32_e32 v34, v32
.LBB6_1052:                             ;   in Loop: Header=BB6_896 Depth=4
	v_and_b32_e32 v27, 0x7fff, v24
	s_waitcnt vmcnt(2) lgkmcnt(2)
	v_and_b32_e32 v32, 0x7fff, v25
	s_mov_b32 s15, -1
	s_and_not1_b32 vcc_lo, exec_lo, s35
	v_cmp_lt_u16_e64 s13, 0x7c00, v27
	s_delay_alu instid0(VALU_DEP_2) | instskip(NEXT) | instid1(VALU_DEP_1)
	v_cmp_gt_u16_e64 s14, 0x7c01, v32
                                        ; implicit-def: $vgpr27
	s_and_b32 s37, s13, s14
	s_delay_alu instid0(SALU_CYCLE_1)
	s_xor_b32 s37, s37, -1
	s_cbranch_vccnz .LBB6_1058
; %bb.1053:                             ;   in Loop: Header=BB6_896 Depth=4
	v_mov_b32_e32 v27, v25
	s_and_saveexec_b32 s38, s37
	s_cbranch_execz .LBB6_1057
; %bb.1054:                             ;   in Loop: Header=BB6_896 Depth=4
	v_mov_b32_e32 v27, v24
	s_or_b32 s15, s13, s14
	s_delay_alu instid0(SALU_CYCLE_1)
	s_and_saveexec_b32 s39, s15
; %bb.1055:                             ;   in Loop: Header=BB6_896 Depth=4
	v_cmp_gt_f16_e64 s15, v24, v25
	v_cmp_lt_u16_e32 vcc_lo, 0x7c00, v32
	s_delay_alu instid0(VALU_DEP_2)
	v_cndmask_b32_e64 v27, v25, v24, s15
	s_and_b32 s15, s13, vcc_lo
	s_delay_alu instid0(VALU_DEP_1) | instid1(SALU_CYCLE_1)
	v_cndmask_b32_e64 v27, v27, 0x7fff, s15
; %bb.1056:                             ;   in Loop: Header=BB6_896 Depth=4
	s_or_b32 exec_lo, exec_lo, s39
.LBB6_1057:                             ;   in Loop: Header=BB6_896 Depth=4
	s_delay_alu instid0(SALU_CYCLE_1)
	s_or_b32 exec_lo, exec_lo, s38
	s_mov_b32 s15, 0
.LBB6_1058:                             ;   in Loop: Header=BB6_896 Depth=4
	s_delay_alu instid0(SALU_CYCLE_1)
	s_and_not1_b32 vcc_lo, exec_lo, s15
	s_cbranch_vccnz .LBB6_1064
; %bb.1059:                             ;   in Loop: Header=BB6_896 Depth=4
	s_and_saveexec_b32 s15, s37
	s_cbranch_execz .LBB6_1063
; %bb.1060:                             ;   in Loop: Header=BB6_896 Depth=4
	s_or_b32 s14, s13, s14
	s_delay_alu instid0(SALU_CYCLE_1)
	s_and_saveexec_b32 s37, s14
; %bb.1061:                             ;   in Loop: Header=BB6_896 Depth=4
	v_cmp_gt_f16_e64 s14, v24, v25
	v_cmp_lt_u16_e32 vcc_lo, 0x7c00, v32
	s_delay_alu instid0(VALU_DEP_2)
	v_cndmask_b32_e64 v24, v24, v25, s14
	s_and_b32 s13, s13, vcc_lo
	s_delay_alu instid0(VALU_DEP_1) | instid1(SALU_CYCLE_1)
	v_cndmask_b32_e64 v24, v24, 0x7fff, s13
; %bb.1062:                             ;   in Loop: Header=BB6_896 Depth=4
	s_or_b32 exec_lo, exec_lo, s37
	s_delay_alu instid0(VALU_DEP_1)
	v_mov_b32_e32 v25, v24
.LBB6_1063:                             ;   in Loop: Header=BB6_896 Depth=4
	s_or_b32 exec_lo, exec_lo, s15
	s_delay_alu instid0(VALU_DEP_1)
	v_mov_b32_e32 v27, v25
.LBB6_1064:                             ;   in Loop: Header=BB6_896 Depth=4
	v_and_b32_e32 v24, 0x7fff, v21
	s_waitcnt vmcnt(1) lgkmcnt(1)
	v_and_b32_e32 v25, 0x7fff, v22
	s_mov_b32 s15, -1
	s_and_not1_b32 vcc_lo, exec_lo, s35
	v_cmp_lt_u16_e64 s13, 0x7c00, v24
	s_delay_alu instid0(VALU_DEP_2) | instskip(NEXT) | instid1(VALU_DEP_1)
	v_cmp_gt_u16_e64 s14, 0x7c01, v25
                                        ; implicit-def: $vgpr24
	s_and_b32 s37, s13, s14
	s_delay_alu instid0(SALU_CYCLE_1)
	s_xor_b32 s37, s37, -1
	s_cbranch_vccnz .LBB6_1070
; %bb.1065:                             ;   in Loop: Header=BB6_896 Depth=4
	v_mov_b32_e32 v24, v22
	s_and_saveexec_b32 s38, s37
	s_cbranch_execz .LBB6_1069
; %bb.1066:                             ;   in Loop: Header=BB6_896 Depth=4
	v_mov_b32_e32 v24, v21
	s_or_b32 s15, s13, s14
	s_delay_alu instid0(SALU_CYCLE_1)
	s_and_saveexec_b32 s39, s15
; %bb.1067:                             ;   in Loop: Header=BB6_896 Depth=4
	v_cmp_gt_f16_e64 s15, v21, v22
	v_cmp_lt_u16_e32 vcc_lo, 0x7c00, v25
	s_delay_alu instid0(VALU_DEP_2)
	v_cndmask_b32_e64 v24, v22, v21, s15
	s_and_b32 s15, s13, vcc_lo
	s_delay_alu instid0(VALU_DEP_1) | instid1(SALU_CYCLE_1)
	v_cndmask_b32_e64 v24, v24, 0x7fff, s15
; %bb.1068:                             ;   in Loop: Header=BB6_896 Depth=4
	s_or_b32 exec_lo, exec_lo, s39
.LBB6_1069:                             ;   in Loop: Header=BB6_896 Depth=4
	s_delay_alu instid0(SALU_CYCLE_1)
	s_or_b32 exec_lo, exec_lo, s38
	s_mov_b32 s15, 0
.LBB6_1070:                             ;   in Loop: Header=BB6_896 Depth=4
	s_delay_alu instid0(SALU_CYCLE_1)
	s_and_not1_b32 vcc_lo, exec_lo, s15
	s_cbranch_vccnz .LBB6_1076
; %bb.1071:                             ;   in Loop: Header=BB6_896 Depth=4
	s_and_saveexec_b32 s15, s37
	s_cbranch_execz .LBB6_1075
; %bb.1072:                             ;   in Loop: Header=BB6_896 Depth=4
	s_or_b32 s14, s13, s14
	s_delay_alu instid0(SALU_CYCLE_1)
	s_and_saveexec_b32 s37, s14
; %bb.1073:                             ;   in Loop: Header=BB6_896 Depth=4
	v_cmp_gt_f16_e64 s14, v21, v22
	v_cmp_lt_u16_e32 vcc_lo, 0x7c00, v25
	s_delay_alu instid0(VALU_DEP_2)
	v_cndmask_b32_e64 v21, v21, v22, s14
	s_and_b32 s13, s13, vcc_lo
	s_delay_alu instid0(VALU_DEP_1) | instid1(SALU_CYCLE_1)
	v_cndmask_b32_e64 v21, v21, 0x7fff, s13
; %bb.1074:                             ;   in Loop: Header=BB6_896 Depth=4
	s_or_b32 exec_lo, exec_lo, s37
	s_delay_alu instid0(VALU_DEP_1)
	v_mov_b32_e32 v22, v21
.LBB6_1075:                             ;   in Loop: Header=BB6_896 Depth=4
	s_or_b32 exec_lo, exec_lo, s15
	s_delay_alu instid0(VALU_DEP_1)
	v_mov_b32_e32 v24, v22
.LBB6_1076:                             ;   in Loop: Header=BB6_896 Depth=4
	v_and_b32_e32 v21, 0x7fff, v18
	s_waitcnt vmcnt(0) lgkmcnt(0)
	v_and_b32_e32 v22, 0x7fff, v19
	s_mov_b32 s15, -1
	s_and_not1_b32 vcc_lo, exec_lo, s35
	v_cmp_lt_u16_e64 s13, 0x7c00, v21
	s_delay_alu instid0(VALU_DEP_2) | instskip(NEXT) | instid1(VALU_DEP_1)
	v_cmp_gt_u16_e64 s14, 0x7c01, v22
                                        ; implicit-def: $vgpr21
	s_and_b32 s37, s13, s14
	s_delay_alu instid0(SALU_CYCLE_1)
	s_xor_b32 s37, s37, -1
	s_cbranch_vccnz .LBB6_1082
; %bb.1077:                             ;   in Loop: Header=BB6_896 Depth=4
	v_mov_b32_e32 v21, v19
	s_and_saveexec_b32 s38, s37
	s_cbranch_execz .LBB6_1081
; %bb.1078:                             ;   in Loop: Header=BB6_896 Depth=4
	v_mov_b32_e32 v21, v18
	s_or_b32 s15, s13, s14
	s_delay_alu instid0(SALU_CYCLE_1)
	s_and_saveexec_b32 s39, s15
; %bb.1079:                             ;   in Loop: Header=BB6_896 Depth=4
	v_cmp_gt_f16_e64 s15, v18, v19
	v_cmp_lt_u16_e32 vcc_lo, 0x7c00, v22
	s_delay_alu instid0(VALU_DEP_2)
	v_cndmask_b32_e64 v21, v19, v18, s15
	s_and_b32 s15, s13, vcc_lo
	s_delay_alu instid0(VALU_DEP_1) | instid1(SALU_CYCLE_1)
	v_cndmask_b32_e64 v21, v21, 0x7fff, s15
; %bb.1080:                             ;   in Loop: Header=BB6_896 Depth=4
	s_or_b32 exec_lo, exec_lo, s39
.LBB6_1081:                             ;   in Loop: Header=BB6_896 Depth=4
	s_delay_alu instid0(SALU_CYCLE_1)
	s_or_b32 exec_lo, exec_lo, s38
	s_mov_b32 s15, 0
.LBB6_1082:                             ;   in Loop: Header=BB6_896 Depth=4
	s_delay_alu instid0(SALU_CYCLE_1)
	s_and_not1_b32 vcc_lo, exec_lo, s15
	s_cbranch_vccnz .LBB6_895
; %bb.1083:                             ;   in Loop: Header=BB6_896 Depth=4
	s_and_saveexec_b32 s15, s37
	s_cbranch_execz .LBB6_894
; %bb.1084:                             ;   in Loop: Header=BB6_896 Depth=4
	s_or_b32 s14, s13, s14
	s_delay_alu instid0(SALU_CYCLE_1)
	s_and_saveexec_b32 s37, s14
	s_cbranch_execz .LBB6_893
; %bb.1085:                             ;   in Loop: Header=BB6_896 Depth=4
	v_cmp_gt_f16_e64 s14, v18, v19
	v_cmp_lt_u16_e32 vcc_lo, 0x7c00, v22
	s_delay_alu instid0(VALU_DEP_2)
	v_cndmask_b32_e64 v18, v18, v19, s14
	s_and_b32 s13, s13, vcc_lo
	s_delay_alu instid0(VALU_DEP_1) | instid1(SALU_CYCLE_1)
	v_cndmask_b32_e64 v18, v18, 0x7fff, s13
	s_branch .LBB6_893
.LBB6_1086:                             ;   in Loop: Header=BB6_310 Depth=3
	s_or_b32 exec_lo, exec_lo, s36
.LBB6_1087:                             ;   in Loop: Header=BB6_310 Depth=3
	s_delay_alu instid0(SALU_CYCLE_1) | instskip(SKIP_2) | instid1(VALU_DEP_1)
	s_or_b32 exec_lo, exec_lo, s34
	v_lshlrev_b32_e32 v8, 10, v17
	s_mov_b32 s34, exec_lo
	v_cmpx_ne_u32_e64 v2, v8
	s_cbranch_execz .LBB6_1104
; %bb.1088:                             ;   in Loop: Header=BB6_310 Depth=3
	v_ashrrev_i32_e32 v9, 31, v15
	v_lshlrev_b32_e32 v10, 5, v16
	s_delay_alu instid0(VALU_DEP_2) | instskip(NEXT) | instid1(VALU_DEP_1)
	v_lshrrev_b32_e32 v9, 27, v9
	v_add_nc_u32_e32 v9, v15, v9
	s_delay_alu instid0(VALU_DEP_1) | instskip(NEXT) | instid1(VALU_DEP_1)
	v_and_b32_e32 v9, 0xffffffe0, v9
	v_sub_nc_u32_e32 v9, v15, v9
	s_delay_alu instid0(VALU_DEP_1) | instskip(NEXT) | instid1(VALU_DEP_1)
	v_sub_nc_u32_e32 v9, v9, v10
	v_ashrrev_i32_e32 v10, 31, v9
	s_delay_alu instid0(VALU_DEP_1) | instskip(NEXT) | instid1(VALU_DEP_1)
	v_lshrrev_b32_e32 v10, 27, v10
	v_add_nc_u32_e32 v10, v9, v10
	s_delay_alu instid0(VALU_DEP_1) | instskip(SKIP_1) | instid1(VALU_DEP_2)
	v_and_b32_e32 v11, 0x7fffffe0, v10
	v_lshlrev_b32_e32 v10, 1, v10
	v_sub_nc_u32_e32 v9, v9, v11
	s_delay_alu instid0(VALU_DEP_2) | instskip(NEXT) | instid1(VALU_DEP_2)
	v_and_b32_e32 v10, 0xffffffc0, v10
	v_lshlrev_b32_e32 v9, 1, v9
	s_delay_alu instid0(VALU_DEP_1) | instskip(NEXT) | instid1(VALU_DEP_1)
	v_add3_u32 v8, v10, v9, v8
	v_sub_nc_u32_e32 v2, v2, v8
	s_delay_alu instid0(VALU_DEP_1)
	v_cmp_lt_i32_e32 vcc_lo, 1, v2
	s_and_b32 exec_lo, exec_lo, vcc_lo
	s_cbranch_execz .LBB6_1104
; %bb.1089:                             ;   in Loop: Header=BB6_310 Depth=3
	s_cbranch_execnz .LBB6_3811
; %bb.1090:                             ;   in Loop: Header=BB6_310 Depth=3
	ds_load_b128 v[9:12], v0
	ds_load_b64 v[15:16], v0
	v_add_nc_u32_e32 v13, v8, v14
	s_bitcmp1_b32 s31, 0
	s_mov_b32 s31, 0
	s_cselect_b32 s35, -1, 0
	s_delay_alu instid0(VALU_DEP_1) | instskip(SKIP_2) | instid1(VALU_DEP_2)
	v_ashrrev_i32_e32 v14, 31, v13
	s_waitcnt lgkmcnt(1)
	v_add_co_u32 v8, vcc_lo, v9, v13
	v_add_co_ci_u32_e32 v9, vcc_lo, v10, v14, vcc_lo
	v_add_co_u32 v10, vcc_lo, v11, v13
	v_add_co_ci_u32_e32 v11, vcc_lo, v12, v14, vcc_lo
	s_waitcnt lgkmcnt(0)
	v_add_co_u32 v12, vcc_lo, v15, v13
	v_add_co_ci_u32_e32 v13, vcc_lo, v16, v14, vcc_lo
	s_branch .LBB6_1094
.LBB6_1091:                             ;   in Loop: Header=BB6_1094 Depth=4
	s_or_b32 exec_lo, exec_lo, s36
	s_delay_alu instid0(VALU_DEP_1)
	v_mov_b32_e32 v15, v14
.LBB6_1092:                             ;   in Loop: Header=BB6_1094 Depth=4
	s_or_b32 exec_lo, exec_lo, s15
	s_delay_alu instid0(VALU_DEP_1)
	v_mov_b32_e32 v17, v15
.LBB6_1093:                             ;   in Loop: Header=BB6_1094 Depth=4
	v_add_co_u32 v8, vcc_lo, v8, v176
	v_sub_nc_u32_e32 v2, v2, v161
	v_add_co_ci_u32_e32 v9, vcc_lo, v9, v177, vcc_lo
	v_add_co_u32 v10, vcc_lo, v10, v176
	v_add_co_ci_u32_e32 v11, vcc_lo, v11, v177, vcc_lo
	flat_store_b16 v[12:13], v17 glc slc dlc
	v_cmp_gt_i32_e32 vcc_lo, 2, v2
	v_add_co_u32 v12, s13, v12, v176
	s_delay_alu instid0(VALU_DEP_1) | instskip(SKIP_1) | instid1(SALU_CYCLE_1)
	v_add_co_ci_u32_e64 v13, s13, v13, v177, s13
	s_or_b32 s31, vcc_lo, s31
	s_and_not1_b32 exec_lo, exec_lo, s31
	s_cbranch_execz .LBB6_1104
.LBB6_1094:                             ;   Parent Loop BB6_51 Depth=1
                                        ;     Parent Loop BB6_308 Depth=2
                                        ;       Parent Loop BB6_310 Depth=3
                                        ; =>      This Inner Loop Header: Depth=4
	flat_load_u16 v14, v[8:9] slc dlc
	flat_load_u16 v15, v[10:11] slc dlc
	s_mov_b32 s15, -1
	s_and_b32 vcc_lo, exec_lo, s35
	s_waitcnt vmcnt(1) lgkmcnt(1)
	v_and_b32_e32 v17, 0x7fff, v14
	s_waitcnt vmcnt(0) lgkmcnt(0)
	v_and_b32_e32 v16, 0x7fff, v15
	s_delay_alu instid0(VALU_DEP_2) | instskip(NEXT) | instid1(VALU_DEP_2)
	v_cmp_lt_u16_e64 s13, 0x7c00, v17
	v_cmp_gt_u16_e64 s14, 0x7c01, v16
                                        ; implicit-def: $vgpr17
	s_delay_alu instid0(VALU_DEP_1) | instskip(NEXT) | instid1(SALU_CYCLE_1)
	s_and_b32 s36, s13, s14
	s_xor_b32 s36, s36, -1
	s_cbranch_vccz .LBB6_1100
; %bb.1095:                             ;   in Loop: Header=BB6_1094 Depth=4
	v_mov_b32_e32 v17, v15
	s_and_saveexec_b32 s37, s36
	s_cbranch_execz .LBB6_1099
; %bb.1096:                             ;   in Loop: Header=BB6_1094 Depth=4
	v_mov_b32_e32 v17, v14
	s_or_b32 s15, s13, s14
	s_delay_alu instid0(SALU_CYCLE_1)
	s_and_saveexec_b32 s38, s15
; %bb.1097:                             ;   in Loop: Header=BB6_1094 Depth=4
	v_cmp_gt_f16_e64 s15, v14, v15
	v_cmp_lt_u16_e32 vcc_lo, 0x7c00, v16
	s_delay_alu instid0(VALU_DEP_2)
	v_cndmask_b32_e64 v17, v15, v14, s15
	s_and_b32 s15, s13, vcc_lo
	s_delay_alu instid0(VALU_DEP_1) | instid1(SALU_CYCLE_1)
	v_cndmask_b32_e64 v17, v17, 0x7fff, s15
; %bb.1098:                             ;   in Loop: Header=BB6_1094 Depth=4
	s_or_b32 exec_lo, exec_lo, s38
.LBB6_1099:                             ;   in Loop: Header=BB6_1094 Depth=4
	s_delay_alu instid0(SALU_CYCLE_1)
	s_or_b32 exec_lo, exec_lo, s37
	s_mov_b32 s15, 0
.LBB6_1100:                             ;   in Loop: Header=BB6_1094 Depth=4
	s_delay_alu instid0(SALU_CYCLE_1)
	s_and_not1_b32 vcc_lo, exec_lo, s15
	s_cbranch_vccnz .LBB6_1093
; %bb.1101:                             ;   in Loop: Header=BB6_1094 Depth=4
	s_and_saveexec_b32 s15, s36
	s_cbranch_execz .LBB6_1092
; %bb.1102:                             ;   in Loop: Header=BB6_1094 Depth=4
	s_or_b32 s14, s13, s14
	s_delay_alu instid0(SALU_CYCLE_1)
	s_and_saveexec_b32 s36, s14
	s_cbranch_execz .LBB6_1091
; %bb.1103:                             ;   in Loop: Header=BB6_1094 Depth=4
	v_cmp_gt_f16_e64 s14, v14, v15
	v_cmp_lt_u16_e32 vcc_lo, 0x7c00, v16
	s_delay_alu instid0(VALU_DEP_2)
	v_cndmask_b32_e64 v14, v14, v15, s14
	s_and_b32 s13, s13, vcc_lo
	s_delay_alu instid0(VALU_DEP_1) | instid1(SALU_CYCLE_1)
	v_cndmask_b32_e64 v14, v14, 0x7fff, s13
	s_branch .LBB6_1091
.LBB6_1104:                             ;   in Loop: Header=BB6_310 Depth=3
	s_or_b32 exec_lo, exec_lo, s34
.LBB6_1105:                             ;   in Loop: Header=BB6_310 Depth=3
	s_delay_alu instid0(SALU_CYCLE_1)
	s_or_b32 exec_lo, exec_lo, s16
.LBB6_1106:                             ;   in Loop: Header=BB6_310 Depth=3
	s_and_saveexec_b32 s13, s3
	s_cbranch_execz .LBB6_1128
; %bb.1107:                             ;   in Loop: Header=BB6_310 Depth=3
	s_and_saveexec_b32 s14, s4
	s_delay_alu instid0(SALU_CYCLE_1)
	s_xor_b32 s14, exec_lo, s14
	s_cbranch_execz .LBB6_1125
; %bb.1108:                             ;   in Loop: Header=BB6_310 Depth=3
	s_and_saveexec_b32 s15, s1
	s_cbranch_execz .LBB6_1124
; %bb.1109:                             ;   in Loop: Header=BB6_310 Depth=3
	s_mov_b32 s31, exec_lo
	s_mov_b32 s16, exec_lo
	v_mbcnt_lo_u32_b32 v2, s31, 0
	s_waitcnt lgkmcnt(0)
	s_waitcnt_vscnt null, 0x0
	buffer_gl1_inv
	buffer_gl0_inv
	v_cmpx_eq_u32_e32 0, v2
	s_cbranch_execz .LBB6_1111
; %bb.1110:                             ;   in Loop: Header=BB6_310 Depth=3
	s_bcnt1_i32_b32 vcc_lo, s31
	s_delay_alu instid0(SALU_CYCLE_1)
	v_mov_b32_e32 v2, vcc_lo
	ds_add_u64 v0, v[2:3]
	s_cbranch_execnz .LBB6_3773
.LBB6_1111:                             ;   in Loop: Header=BB6_310 Depth=3
	s_or_b32 exec_lo, exec_lo, s16
	s_cbranch_execnz .LBB6_3743
; %bb.1112:                             ;   in Loop: Header=BB6_310 Depth=3
	ds_load_b64 v[8:9], v0
	v_add_co_u32 v80, vcc_lo, v80, v145
	v_add_co_ci_u32_e32 v81, vcc_lo, 0, v81, vcc_lo
	s_mov_b32 s16, exec_lo
	s_waitcnt lgkmcnt(0)
	s_delay_alu instid0(VALU_DEP_1)
	v_cmpx_lt_u64_e64 v[8:9], v[80:81]
	s_cbranch_execz .LBB6_1123
; %bb.1113:                             ;   in Loop: Header=BB6_310 Depth=3
	s_mov_b32 s31, 0
	s_mov_b32 s36, 0
                                        ; implicit-def: $sgpr34
                                        ; implicit-def: $sgpr35
	s_branch .LBB6_1115
.LBB6_1114:                             ;   in Loop: Header=BB6_1115 Depth=4
	s_or_b32 exec_lo, exec_lo, s38
	s_delay_alu instid0(SALU_CYCLE_1) | instskip(NEXT) | instid1(SALU_CYCLE_1)
	s_and_b32 vcc_lo, exec_lo, vcc_lo
	s_or_b32 s31, vcc_lo, s31
	s_and_not1_b32 vcc_lo, s34, exec_lo
	s_and_b32 s34, s35, exec_lo
	s_delay_alu instid0(SALU_CYCLE_1)
	s_or_b32 s34, vcc_lo, s34
	s_and_not1_b32 exec_lo, exec_lo, s31
	s_cbranch_execz .LBB6_1121
.LBB6_1115:                             ;   Parent Loop BB6_51 Depth=1
                                        ;     Parent Loop BB6_308 Depth=2
                                        ;       Parent Loop BB6_310 Depth=3
                                        ; =>      This Inner Loop Header: Depth=4
	s_add_i32 s36, s36, 1
                                        ; implicit-def: $sgpr38
	s_delay_alu instid0(SALU_CYCLE_1) | instskip(SKIP_1) | instid1(SALU_CYCLE_1)
	s_cmpk_lg_i32 s36, 0x2710
	s_cselect_b32 s37, -1, 0
	s_and_b32 vcc_lo, exec_lo, s37
	s_cbranch_vccz .LBB6_1119
.LBB6_1116:                             ;   in Loop: Header=BB6_1115 Depth=4
	s_and_not1_b32 s35, s35, exec_lo
	s_and_b32 s38, s38, exec_lo
	s_mov_b32 vcc_lo, -1
	s_or_b32 s35, s35, s38
	s_and_saveexec_b32 s38, s37
	s_cbranch_execz .LBB6_1114
; %bb.1117:                             ;   in Loop: Header=BB6_1115 Depth=4
	s_sleep 1
	s_cbranch_execnz .LBB6_3825
; %bb.1118:                             ;   in Loop: Header=BB6_1115 Depth=4
	ds_load_b64 v[8:9], v0
	s_and_not1_b32 s35, s35, exec_lo
	s_waitcnt lgkmcnt(0)
	v_cmp_ge_u64_e32 vcc_lo, v[8:9], v[80:81]
	s_or_not1_b32 vcc_lo, vcc_lo, exec_lo
	s_branch .LBB6_1114
.LBB6_1119:                             ;   in Loop: Header=BB6_1115 Depth=4
	s_cbranch_execnz .LBB6_3841
; %bb.1120:                             ;   in Loop: Header=BB6_1115 Depth=4
	ds_load_b64 v[8:9], v0
	s_and_not1_b32 s37, s37, exec_lo
	s_mov_b32 s36, 0
	s_mov_b32 s38, -1
	s_waitcnt lgkmcnt(0)
	flat_load_b32 v2, v[8:9] glc
	s_waitcnt vmcnt(0) lgkmcnt(0)
	buffer_gl1_inv
	buffer_gl0_inv
	v_cmp_eq_u32_e32 vcc_lo, 0, v2
	s_and_b32 vcc_lo, vcc_lo, exec_lo
	s_delay_alu instid0(SALU_CYCLE_1)
	s_or_b32 s37, s37, vcc_lo
	s_branch .LBB6_1116
.LBB6_1121:                             ;   in Loop: Header=BB6_310 Depth=3
	s_or_b32 exec_lo, exec_lo, s31
	s_and_saveexec_b32 vcc_lo, s34
	s_delay_alu instid0(SALU_CYCLE_1)
	s_xor_b32 vcc_lo, exec_lo, vcc_lo
	s_cbranch_execz .LBB6_1123
; %bb.1122:                             ;   in Loop: Header=BB6_310 Depth=3
	ds_store_b32 v0, v182
	s_cbranch_execnz .LBB6_3961
.LBB6_1123:                             ;   in Loop: Header=BB6_310 Depth=3
	s_or_b32 exec_lo, exec_lo, s16
	;;#ASMSTART
	s_wakeup
	;;#ASMEND
.LBB6_1124:                             ;   in Loop: Header=BB6_310 Depth=3
	s_or_b32 exec_lo, exec_lo, s15
.LBB6_1125:                             ;   in Loop: Header=BB6_310 Depth=3
	s_and_not1_saveexec_b32 s14, s14
	s_cbranch_execz .LBB6_1127
; %bb.1126:                             ;   in Loop: Header=BB6_310 Depth=3
	s_waitcnt lgkmcnt(0)
	s_waitcnt_vscnt null, 0x0
	buffer_gl1_inv
	buffer_gl0_inv
	s_barrier
.LBB6_1127:                             ;   in Loop: Header=BB6_310 Depth=3
	s_or_b32 exec_lo, exec_lo, s14
.LBB6_1128:                             ;   in Loop: Header=BB6_310 Depth=3
	s_delay_alu instid0(SALU_CYCLE_1) | instskip(SKIP_1) | instid1(SALU_CYCLE_1)
	s_or_b32 exec_lo, exec_lo, s13
                                        ; implicit-def: $vgpr2
	s_and_saveexec_b32 s13, s7
	s_xor_b32 s14, exec_lo, s13
	s_cbranch_execz .LBB6_1132
; %bb.1129:                             ;   in Loop: Header=BB6_310 Depth=3
	v_and_b32_e32 v2, 16, v30
	v_cmp_lt_i32_e32 vcc_lo, 0, v103
	s_delay_alu instid0(VALU_DEP_2) | instskip(SKIP_1) | instid1(VALU_DEP_2)
	v_cmp_ne_u32_e64 s13, 0, v2
	v_and_b32_e32 v2, 16, v30
	s_and_b32 s15, s13, vcc_lo
	s_delay_alu instid0(SALU_CYCLE_1)
	s_and_saveexec_b32 s13, s15
	s_cbranch_execz .LBB6_1131
; %bb.1130:                             ;   in Loop: Header=BB6_310 Depth=3
	v_mov_b32_e32 v2, 1
	s_waitcnt lgkmcnt(0)
	s_waitcnt_vscnt null, 0x0
	buffer_gl1_inv
	buffer_gl0_inv
.LBB6_1131:                             ;   in Loop: Header=BB6_310 Depth=3
	s_or_b32 exec_lo, exec_lo, s13
.LBB6_1132:                             ;   in Loop: Header=BB6_310 Depth=3
	s_and_not1_saveexec_b32 s13, s14
	s_cbranch_execz .LBB6_1154
; %bb.1133:                             ;   in Loop: Header=BB6_310 Depth=3
	s_and_saveexec_b32 s14, s4
	s_delay_alu instid0(SALU_CYCLE_1)
	s_xor_b32 s14, exec_lo, s14
	s_cbranch_execz .LBB6_1151
; %bb.1134:                             ;   in Loop: Header=BB6_310 Depth=3
	s_and_saveexec_b32 s15, s1
	s_cbranch_execz .LBB6_1150
; %bb.1135:                             ;   in Loop: Header=BB6_310 Depth=3
	s_mov_b32 s31, exec_lo
	s_mov_b32 s16, exec_lo
	v_mbcnt_lo_u32_b32 v2, s31, 0
	;;#ASMSTART
	s_waitcnt lgkmcnt(0) vmcnt(0)
	;;#ASMEND
	s_delay_alu instid0(VALU_DEP_1)
	v_cmpx_eq_u32_e32 0, v2
	s_cbranch_execz .LBB6_1137
; %bb.1136:                             ;   in Loop: Header=BB6_310 Depth=3
	s_bcnt1_i32_b32 vcc_lo, s31
	s_delay_alu instid0(SALU_CYCLE_1)
	v_mov_b32_e32 v2, vcc_lo
	ds_add_u64 v0, v[2:3]
	s_cbranch_execnz .LBB6_3785
.LBB6_1137:                             ;   in Loop: Header=BB6_310 Depth=3
	s_or_b32 exec_lo, exec_lo, s16
	s_cbranch_execnz .LBB6_3753
; %bb.1138:                             ;   in Loop: Header=BB6_310 Depth=3
	ds_load_b64 v[8:9], v0
	v_add_co_u32 v80, vcc_lo, v80, v145
	v_add_co_ci_u32_e32 v81, vcc_lo, 0, v81, vcc_lo
	s_mov_b32 s16, exec_lo
	s_waitcnt lgkmcnt(0)
	s_delay_alu instid0(VALU_DEP_1)
	v_cmpx_lt_u64_e64 v[8:9], v[80:81]
	s_cbranch_execz .LBB6_1149
; %bb.1139:                             ;   in Loop: Header=BB6_310 Depth=3
	s_mov_b32 s31, 0
	s_mov_b32 s36, 0
                                        ; implicit-def: $sgpr34
                                        ; implicit-def: $sgpr35
	s_branch .LBB6_1141
.LBB6_1140:                             ;   in Loop: Header=BB6_1141 Depth=4
	s_or_b32 exec_lo, exec_lo, s38
	s_delay_alu instid0(SALU_CYCLE_1) | instskip(NEXT) | instid1(SALU_CYCLE_1)
	s_and_b32 vcc_lo, exec_lo, vcc_lo
	s_or_b32 s31, vcc_lo, s31
	s_and_not1_b32 vcc_lo, s34, exec_lo
	s_and_b32 s34, s35, exec_lo
	s_delay_alu instid0(SALU_CYCLE_1)
	s_or_b32 s34, vcc_lo, s34
	s_and_not1_b32 exec_lo, exec_lo, s31
	s_cbranch_execz .LBB6_1147
.LBB6_1141:                             ;   Parent Loop BB6_51 Depth=1
                                        ;     Parent Loop BB6_308 Depth=2
                                        ;       Parent Loop BB6_310 Depth=3
                                        ; =>      This Inner Loop Header: Depth=4
	s_add_i32 s36, s36, 1
                                        ; implicit-def: $sgpr38
	s_delay_alu instid0(SALU_CYCLE_1) | instskip(SKIP_1) | instid1(SALU_CYCLE_1)
	s_cmpk_lg_i32 s36, 0x2710
	s_cselect_b32 s37, -1, 0
	s_and_b32 vcc_lo, exec_lo, s37
	s_cbranch_vccz .LBB6_1145
.LBB6_1142:                             ;   in Loop: Header=BB6_1141 Depth=4
	s_and_not1_b32 s35, s35, exec_lo
	s_and_b32 s38, s38, exec_lo
	s_mov_b32 vcc_lo, -1
	s_or_b32 s35, s35, s38
	s_and_saveexec_b32 s38, s37
	s_cbranch_execz .LBB6_1140
; %bb.1143:                             ;   in Loop: Header=BB6_1141 Depth=4
	s_sleep 1
	s_cbranch_execnz .LBB6_3833
; %bb.1144:                             ;   in Loop: Header=BB6_1141 Depth=4
	ds_load_b64 v[8:9], v0
	s_and_not1_b32 s35, s35, exec_lo
	s_waitcnt lgkmcnt(0)
	v_cmp_ge_u64_e32 vcc_lo, v[8:9], v[80:81]
	s_or_not1_b32 vcc_lo, vcc_lo, exec_lo
	s_branch .LBB6_1140
.LBB6_1145:                             ;   in Loop: Header=BB6_1141 Depth=4
	s_cbranch_execnz .LBB6_3855
; %bb.1146:                             ;   in Loop: Header=BB6_1141 Depth=4
	ds_load_b64 v[8:9], v0
	s_and_not1_b32 s37, s37, exec_lo
	s_mov_b32 s36, 0
	s_mov_b32 s38, -1
	s_waitcnt lgkmcnt(0)
	s_waitcnt_vscnt null, 0x0
	flat_load_b32 v2, v[8:9] glc
	s_waitcnt vmcnt(0) lgkmcnt(0)
	buffer_gl1_inv
	buffer_gl0_inv
	v_cmp_eq_u32_e32 vcc_lo, 0, v2
	s_and_b32 vcc_lo, vcc_lo, exec_lo
	s_delay_alu instid0(SALU_CYCLE_1)
	s_or_b32 s37, s37, vcc_lo
	s_branch .LBB6_1142
.LBB6_1147:                             ;   in Loop: Header=BB6_310 Depth=3
	s_or_b32 exec_lo, exec_lo, s31
	s_and_saveexec_b32 vcc_lo, s34
	s_delay_alu instid0(SALU_CYCLE_1)
	s_xor_b32 vcc_lo, exec_lo, vcc_lo
	s_cbranch_execz .LBB6_1149
; %bb.1148:                             ;   in Loop: Header=BB6_310 Depth=3
	ds_store_b32 v0, v182
	s_cbranch_execnz .LBB6_3969
.LBB6_1149:                             ;   in Loop: Header=BB6_310 Depth=3
	s_or_b32 exec_lo, exec_lo, s16
	;;#ASMSTART
	s_wakeup
	;;#ASMEND
.LBB6_1150:                             ;   in Loop: Header=BB6_310 Depth=3
	s_or_b32 exec_lo, exec_lo, s15
.LBB6_1151:                             ;   in Loop: Header=BB6_310 Depth=3
	s_and_not1_saveexec_b32 s14, s14
	s_cbranch_execz .LBB6_1153
; %bb.1152:                             ;   in Loop: Header=BB6_310 Depth=3
	;;#ASMSTART
	s_waitcnt lgkmcnt(0) vmcnt(0)
	;;#ASMEND
	s_waitcnt lgkmcnt(0)
	s_waitcnt_vscnt null, 0x0
	s_barrier
.LBB6_1153:                             ;   in Loop: Header=BB6_310 Depth=3
	s_or_b32 exec_lo, exec_lo, s14
	v_and_b32_e32 v2, 16, v30
.LBB6_1154:                             ;   in Loop: Header=BB6_310 Depth=3
	s_or_b32 exec_lo, exec_lo, s13
	s_delay_alu instid0(VALU_DEP_1) | instskip(SKIP_1) | instid1(SALU_CYCLE_1)
	v_cmp_ne_u32_e32 vcc_lo, 0, v2
	s_xor_b32 s13, s10, -1
	s_and_b32 s14, vcc_lo, s13
	s_delay_alu instid0(SALU_CYCLE_1)
	s_and_saveexec_b32 s13, s14
	s_cbranch_execz .LBB6_1156
; %bb.1155:                             ;   in Loop: Header=BB6_310 Depth=3
	s_waitcnt lgkmcnt(0)
	s_waitcnt_vscnt null, 0x0
	flat_store_b32 v[70:71], v182
.LBB6_1156:                             ;   in Loop: Header=BB6_310 Depth=3
	s_or_b32 exec_lo, exec_lo, s13
	v_and_b32_e32 v2, 48, v30
	s_mov_b32 s13, exec_lo
	s_delay_alu instid0(VALU_DEP_1)
	v_cmpx_ne_u32_e32 0, v2
	s_cbranch_execz .LBB6_1158
; %bb.1157:                             ;   in Loop: Header=BB6_310 Depth=3
	v_add_co_u32 v66, vcc_lo, v66, 2
	v_add_co_ci_u32_e32 v67, vcc_lo, 0, v67, vcc_lo
	s_waitcnt lgkmcnt(0)
	s_waitcnt_vscnt null, 0x0
	flat_store_b64 v[64:65], v[66:67]
.LBB6_1158:                             ;   in Loop: Header=BB6_310 Depth=3
	s_or_b32 exec_lo, exec_lo, s13
	v_add_nc_u32_e32 v112, v102, v112
	v_readlane_b32 s13, v56, 9
	v_readlane_b32 s15, v56, 8
	;; [unrolled: 1-line block ×4, first 2 shown]
	v_cmp_ge_i32_e32 vcc_lo, v112, v130
	s_xor_b32 s13, s13, -1
	v_readlane_b32 s16, v56, 7
	v_readlane_b32 s35, v56, 6
	s_mov_b32 s36, 0
	s_or_b32 s13, s13, vcc_lo
	s_mov_b32 s37, 2
	s_and_b32 s14, exec_lo, s13
	v_readlane_b32 s13, v56, 10
	s_or_b32 s15, s14, s15
	v_readlane_b32 s14, v56, 4
	s_delay_alu instid0(VALU_DEP_2)
	v_mov_b32_e32 v2, s13
	s_and_not1_b32 exec_lo, exec_lo, s15
	s_cbranch_execnz .LBB6_310
; %bb.1159:                             ;   in Loop: Header=BB6_308 Depth=2
	s_or_b32 exec_lo, exec_lo, s15
.LBB6_1160:                             ;   in Loop: Header=BB6_308 Depth=2
	s_delay_alu instid0(SALU_CYCLE_1) | instskip(NEXT) | instid1(SALU_CYCLE_1)
	s_or_b32 exec_lo, exec_lo, s30
	s_mov_b32 s15, exec_lo
	v_cmpx_gt_i32_e32 2, v2
	s_cbranch_execz .LBB6_1246
; %bb.1161:                             ;   in Loop: Header=BB6_308 Depth=2
	v_cmp_eq_u32_e64 s13, 0, v2
	s_mov_b32 s30, 0
.LBB6_1162:                             ;   Parent Loop BB6_51 Depth=1
                                        ;     Parent Loop BB6_308 Depth=2
                                        ; =>    This Loop Header: Depth=3
                                        ;         Child Loop BB6_1168 Depth 4
                                        ;         Child Loop BB6_1200 Depth 4
	;; [unrolled: 1-line block ×3, first 2 shown]
	v_and_b32_e32 v2, 12, v30
	s_mov_b32 s37, -1
	s_mov_b32 s36, exec_lo
	s_delay_alu instid0(VALU_DEP_1)
	v_cmpx_ne_u32_e32 0, v2
	s_cbranch_execz .LBB6_1176
; %bb.1163:                             ;   in Loop: Header=BB6_1162 Depth=3
	v_and_b32_e32 v2, 8, v30
	s_delay_alu instid0(VALU_DEP_1) | instskip(SKIP_3) | instid1(VALU_DEP_1)
	v_add_co_u32 v10, vcc_lo, v82, v2
	v_add_co_ci_u32_e32 v11, vcc_lo, 0, v83, vcc_lo
	v_add_co_u32 v8, vcc_lo, v66, 2
	v_add_co_ci_u32_e32 v9, vcc_lo, 0, v67, vcc_lo
	v_cmp_lt_u64_e32 vcc_lo, v[10:11], v[8:9]
	v_mov_b32_e32 v10, 1
	s_and_saveexec_b32 s37, vcc_lo
	s_cbranch_execz .LBB6_1175
; %bb.1164:                             ;   in Loop: Header=BB6_1162 Depth=3
	v_mov_b32_e32 v10, 0
	s_mov_b32 s38, 0
                                        ; implicit-def: $sgpr39
	s_branch .LBB6_1168
.LBB6_1165:                             ;   in Loop: Header=BB6_1168 Depth=4
	s_or_b32 exec_lo, exec_lo, s43
	v_mov_b32_e32 v11, 0
	s_or_not1_b32 s42, s42, exec_lo
.LBB6_1166:                             ;   in Loop: Header=BB6_1168 Depth=4
	s_or_b32 exec_lo, exec_lo, s41
	s_delay_alu instid0(VALU_DEP_1) | instskip(SKIP_2) | instid1(SALU_CYCLE_1)
	v_mov_b32_e32 v10, v11
	s_and_not1_b32 vcc_lo, s39, exec_lo
	s_and_b32 s39, s42, exec_lo
	s_or_b32 s39, vcc_lo, s39
.LBB6_1167:                             ;   in Loop: Header=BB6_1168 Depth=4
	s_or_b32 exec_lo, exec_lo, s40
	s_waitcnt vmcnt(0) lgkmcnt(0)
	v_add_co_u32 v11, vcc_lo, v82, v2
	v_add_co_ci_u32_e32 v12, vcc_lo, 0, v83, vcc_lo
	s_xor_b32 s40, s39, -1
	s_delay_alu instid0(VALU_DEP_1) | instskip(SKIP_1) | instid1(SALU_CYCLE_1)
	v_cmp_ge_u64_e32 vcc_lo, v[11:12], v[8:9]
	s_or_b32 vcc_lo, s40, vcc_lo
	s_and_b32 vcc_lo, exec_lo, vcc_lo
	s_delay_alu instid0(SALU_CYCLE_1) | instskip(NEXT) | instid1(SALU_CYCLE_1)
	s_or_b32 s38, vcc_lo, s38
	s_and_not1_b32 exec_lo, exec_lo, s38
	s_cbranch_execz .LBB6_1174
.LBB6_1168:                             ;   Parent Loop BB6_51 Depth=1
                                        ;     Parent Loop BB6_308 Depth=2
                                        ;       Parent Loop BB6_1162 Depth=3
                                        ; =>      This Inner Loop Header: Depth=4
	s_sleep 1
	flat_load_b64 v[82:83], v[64:65] glc
	v_and_b32_e32 v11, 64, v30
	s_and_not1_b32 s39, s39, exec_lo
	s_mov_b32 s40, exec_lo
	s_delay_alu instid0(VALU_DEP_1)
	v_cmpx_eq_u32_e32 0, v11
	s_cbranch_execz .LBB6_1167
; %bb.1169:                             ;   in Loop: Header=BB6_1168 Depth=4
	v_add_nc_u32_e32 v11, 1, v10
	s_mov_b32 s42, -1
	s_mov_b32 s41, exec_lo
	v_cmpx_lt_i32_e32 0x270e, v10
	s_cbranch_execz .LBB6_1166
; %bb.1170:                             ;   in Loop: Header=BB6_1168 Depth=4
	s_cbranch_execnz .LBB6_3559
; %bb.1171:                             ;   in Loop: Header=BB6_1168 Depth=4
	ds_load_b64 v[10:11], v0
	s_mov_b32 s43, exec_lo
	s_waitcnt vmcnt(0) lgkmcnt(0)
	s_waitcnt_vscnt null, 0x0
	flat_load_b32 v10, v[10:11] glc
	s_waitcnt vmcnt(0) lgkmcnt(0)
	buffer_gl1_inv
	buffer_gl0_inv
	v_cmpx_ne_u32_e32 0, v10
	s_cbranch_execz .LBB6_1165
; %bb.1172:                             ;   in Loop: Header=BB6_1168 Depth=4
	ds_store_b32 v0, v10
	s_cbranch_execnz .LBB6_3607
; %bb.1173:                             ;   in Loop: Header=BB6_1168 Depth=4
	v_or_b32_e32 v30, 64, v30
	s_xor_b32 s42, exec_lo, -1
	s_branch .LBB6_1165
.LBB6_1174:                             ;   in Loop: Header=BB6_1162 Depth=3
	s_or_b32 exec_lo, exec_lo, s38
	v_and_b32_e32 v10, 12, v30
.LBB6_1175:                             ;   in Loop: Header=BB6_1162 Depth=3
	s_or_b32 exec_lo, exec_lo, s37
	s_delay_alu instid0(VALU_DEP_1)
	v_cmp_eq_u32_e32 vcc_lo, 0, v10
	;;#ASMSTART
	s_wakeup
	;;#ASMEND
	s_or_not1_b32 s37, vcc_lo, exec_lo
.LBB6_1176:                             ;   in Loop: Header=BB6_1162 Depth=3
	s_or_b32 exec_lo, exec_lo, s36
	v_sub_nc_u32_e32 v2, v130, v112
	s_xor_b32 s13, s13, -1
	s_delay_alu instid0(SALU_CYCLE_1) | instskip(NEXT) | instid1(SALU_CYCLE_1)
	s_and_b32 s13, exec_lo, s13
	s_or_b32 s30, s13, s30
	s_delay_alu instid0(VALU_DEP_1) | instskip(SKIP_1) | instid1(SALU_CYCLE_1)
	v_min_i32_e32 v102, v102, v2
	s_xor_b32 s13, s37, -1
	s_and_saveexec_b32 s36, s13
	s_cbranch_execz .LBB6_1191
; %bb.1177:                             ;   in Loop: Header=BB6_1162 Depth=3
	v_and_b32_e32 v2, 0x108, v30
	s_mov_b32 s13, exec_lo
	s_delay_alu instid0(VALU_DEP_1)
	v_cmpx_ne_u32_e32 0x108, v2
	s_xor_b32 s13, exec_lo, s13
                                        ; implicit-def: $vgpr8_vgpr9
; %bb.1178:                             ;   in Loop: Header=BB6_1162 Depth=3
	v_and_b32_e32 v8, 7, v66
; %bb.1179:                             ;   in Loop: Header=BB6_1162 Depth=3
	s_and_not1_saveexec_b32 s13, s13
	s_cbranch_execz .LBB6_1181
; %bb.1180:                             ;   in Loop: Header=BB6_1162 Depth=3
	v_and_b32_e32 v8, 7, v66
	v_ashrrev_i32_e32 v103, 31, v102
	s_delay_alu instid0(VALU_DEP_2) | instskip(NEXT) | instid1(VALU_DEP_2)
	v_mad_u64_u32 v[9:10], null, v8, 24, v[6:7]
	v_lshlrev_b64 v[11:12], 1, v[102:103]
	flat_store_b64 v[9:10], v[11:12] offset:8
.LBB6_1181:                             ;   in Loop: Header=BB6_1162 Depth=3
	s_or_b32 exec_lo, exec_lo, s13
	v_and_b32_e32 v2, 0x100, v30
	s_mov_b32 s13, -1
	s_mov_b32 s37, exec_lo
                                        ; implicit-def: $vgpr9_vgpr10
	s_delay_alu instid0(VALU_DEP_1)
	v_cmpx_ne_u32_e32 0, v2
	s_cbranch_execnz .LBB6_1184
; %bb.1182:                             ;   in Loop: Header=BB6_1162 Depth=3
	s_or_b32 exec_lo, exec_lo, s37
	s_and_saveexec_b32 vcc_lo, s13
	s_cbranch_execnz .LBB6_1187
.LBB6_1183:                             ;   in Loop: Header=BB6_1162 Depth=3
	s_or_b32 exec_lo, exec_lo, vcc_lo
	s_cbranch_execnz .LBB6_3551
	s_branch .LBB6_1188
.LBB6_1184:                             ;   in Loop: Header=BB6_1162 Depth=3
	v_mad_u64_u32 v[11:12], null, v8, 24, v[6:7]
	s_mov_b32 s38, exec_lo
	s_delay_alu instid0(VALU_DEP_1) | instskip(NEXT) | instid1(VALU_DEP_1)
	v_mov_b32_e32 v2, v12
	v_mad_u64_u32 v[9:10], null, v3, 24, v[2:3]
	s_delay_alu instid0(VALU_DEP_1)
	v_mov_b32_e32 v12, v9
                                        ; implicit-def: $vgpr9_vgpr10
	flat_load_b32 v2, v[11:12]
	s_waitcnt vmcnt(0) lgkmcnt(0)
	v_cmp_ne_u32_e32 vcc_lo, 1, v2
	v_cmpx_eq_u32_e32 1, v2
	s_cbranch_execz .LBB6_1186
; %bb.1185:                             ;   in Loop: Header=BB6_1162 Depth=3
	flat_load_b32 v9, v[11:12] offset:4 glc
	s_waitcnt vmcnt(0) lgkmcnt(0)
	v_ashrrev_i32_e32 v10, 31, v9
	s_delay_alu instid0(VALU_DEP_1)
	v_lshrrev_b64 v[9:10], 1, v[9:10]
.LBB6_1186:                             ;   in Loop: Header=BB6_1162 Depth=3
	s_or_b32 exec_lo, exec_lo, s38
	s_delay_alu instid0(SALU_CYCLE_1)
	s_or_not1_b32 s13, vcc_lo, exec_lo
	s_or_b32 exec_lo, exec_lo, s37
	s_and_saveexec_b32 vcc_lo, s13
	s_cbranch_execz .LBB6_1183
.LBB6_1187:                             ;   in Loop: Header=BB6_1162 Depth=3
	v_mul_lo_u32 v2, v3, v133
	v_mul_lo_u32 v11, v8, v134
	v_mad_u64_u32 v[9:10], null, v8, v133, 0
	s_delay_alu instid0(VALU_DEP_1)
	v_add3_u32 v10, v10, v11, v2
	s_or_b32 exec_lo, exec_lo, vcc_lo
	s_cbranch_execnz .LBB6_3551
.LBB6_1188:                             ;   in Loop: Header=BB6_1162 Depth=3
	s_delay_alu instid0(VALU_DEP_1) | instskip(SKIP_2) | instid1(VALU_DEP_2)
	v_lshlrev_b64 v[8:9], 1, v[9:10]
	v_and_b32_e32 v2, 0x2000, v30
	s_mov_b32 s13, exec_lo
	v_add_co_u32 v8, vcc_lo, v68, v8
	s_delay_alu instid0(VALU_DEP_3)
	v_add_co_ci_u32_e32 v9, vcc_lo, v69, v9, vcc_lo
	ds_store_b64 v0, v[8:9]
	v_cmpx_ne_u32_e32 0, v2
	s_cbranch_execz .LBB6_1190
; %bb.1189:                             ;   in Loop: Header=BB6_1162 Depth=3
	ds_load_b64 v[8:9], v0 offset:584
	s_waitcnt lgkmcnt(0)
	v_add_co_u32 v8, vcc_lo, v8, 1
	v_add_co_ci_u32_e32 v9, vcc_lo, 0, v9, vcc_lo
	ds_store_b64 v0, v[8:9] offset:584
.LBB6_1190:                             ;   in Loop: Header=BB6_1162 Depth=3
	s_or_b32 exec_lo, exec_lo, s13
	v_add_co_u32 v66, vcc_lo, v66, 2
	v_add_co_ci_u32_e32 v67, vcc_lo, 0, v67, vcc_lo
.LBB6_1191:                             ;   in Loop: Header=BB6_1162 Depth=3
	s_or_b32 exec_lo, exec_lo, s36
	s_and_saveexec_b32 s13, s3
	s_cbranch_execz .LBB6_1213
; %bb.1192:                             ;   in Loop: Header=BB6_1162 Depth=3
	s_and_saveexec_b32 vcc_lo, s4
	s_delay_alu instid0(SALU_CYCLE_1)
	s_xor_b32 s36, exec_lo, vcc_lo
	s_cbranch_execz .LBB6_1210
; %bb.1193:                             ;   in Loop: Header=BB6_1162 Depth=3
	s_and_saveexec_b32 s37, s1
	s_cbranch_execz .LBB6_1209
; %bb.1194:                             ;   in Loop: Header=BB6_1162 Depth=3
	s_mov_b32 s39, exec_lo
	s_mov_b32 s38, exec_lo
	v_mbcnt_lo_u32_b32 v2, s39, 0
	s_waitcnt lgkmcnt(0)
	s_waitcnt_vscnt null, 0x0
	buffer_gl1_inv
	buffer_gl0_inv
	v_cmpx_eq_u32_e32 0, v2
	s_cbranch_execz .LBB6_1196
; %bb.1195:                             ;   in Loop: Header=BB6_1162 Depth=3
	s_bcnt1_i32_b32 vcc_lo, s39
	s_delay_alu instid0(SALU_CYCLE_1)
	v_mov_b32_e32 v2, vcc_lo
	ds_add_u64 v0, v[2:3]
	s_cbranch_execnz .LBB6_3663
.LBB6_1196:                             ;   in Loop: Header=BB6_1162 Depth=3
	s_or_b32 exec_lo, exec_lo, s38
	s_cbranch_execnz .LBB6_3629
; %bb.1197:                             ;   in Loop: Header=BB6_1162 Depth=3
	ds_load_b64 v[8:9], v0
	v_add_co_u32 v80, vcc_lo, v80, v145
	v_add_co_ci_u32_e32 v81, vcc_lo, 0, v81, vcc_lo
	s_mov_b32 s38, exec_lo
	s_waitcnt lgkmcnt(0)
	s_delay_alu instid0(VALU_DEP_1)
	v_cmpx_lt_u64_e64 v[8:9], v[80:81]
	s_cbranch_execz .LBB6_1208
; %bb.1198:                             ;   in Loop: Header=BB6_1162 Depth=3
	s_mov_b32 s39, 0
	s_mov_b32 s42, 0
                                        ; implicit-def: $sgpr40
                                        ; implicit-def: $sgpr41
	s_branch .LBB6_1200
.LBB6_1199:                             ;   in Loop: Header=BB6_1200 Depth=4
	s_or_b32 exec_lo, exec_lo, s44
	s_delay_alu instid0(SALU_CYCLE_1) | instskip(NEXT) | instid1(SALU_CYCLE_1)
	s_and_b32 vcc_lo, exec_lo, vcc_lo
	s_or_b32 s39, vcc_lo, s39
	s_and_not1_b32 vcc_lo, s40, exec_lo
	s_and_b32 s40, s41, exec_lo
	s_delay_alu instid0(SALU_CYCLE_1)
	s_or_b32 s40, vcc_lo, s40
	s_and_not1_b32 exec_lo, exec_lo, s39
	s_cbranch_execz .LBB6_1206
.LBB6_1200:                             ;   Parent Loop BB6_51 Depth=1
                                        ;     Parent Loop BB6_308 Depth=2
                                        ;       Parent Loop BB6_1162 Depth=3
                                        ; =>      This Inner Loop Header: Depth=4
	s_add_i32 s42, s42, 1
                                        ; implicit-def: $sgpr44
	s_delay_alu instid0(SALU_CYCLE_1) | instskip(SKIP_1) | instid1(SALU_CYCLE_1)
	s_cmpk_lg_i32 s42, 0x2710
	s_cselect_b32 s43, -1, 0
	s_and_b32 vcc_lo, exec_lo, s43
	s_cbranch_vccz .LBB6_1204
.LBB6_1201:                             ;   in Loop: Header=BB6_1200 Depth=4
	s_and_not1_b32 s41, s41, exec_lo
	s_and_b32 s44, s44, exec_lo
	s_mov_b32 vcc_lo, -1
	s_or_b32 s41, s41, s44
	s_and_saveexec_b32 s44, s43
	s_cbranch_execz .LBB6_1199
; %bb.1202:                             ;   in Loop: Header=BB6_1200 Depth=4
	s_sleep 1
	s_cbranch_execnz .LBB6_3711
; %bb.1203:                             ;   in Loop: Header=BB6_1200 Depth=4
	ds_load_b64 v[8:9], v0
	s_and_not1_b32 s41, s41, exec_lo
	s_waitcnt lgkmcnt(0)
	v_cmp_ge_u64_e32 vcc_lo, v[8:9], v[80:81]
	s_or_not1_b32 vcc_lo, vcc_lo, exec_lo
	s_branch .LBB6_1199
.LBB6_1204:                             ;   in Loop: Header=BB6_1200 Depth=4
	s_cbranch_execnz .LBB6_3719
; %bb.1205:                             ;   in Loop: Header=BB6_1200 Depth=4
	ds_load_b64 v[8:9], v0
	s_and_not1_b32 s43, s43, exec_lo
	s_mov_b32 s42, 0
	s_mov_b32 s44, -1
	s_waitcnt lgkmcnt(0)
	flat_load_b32 v2, v[8:9] glc
	s_waitcnt vmcnt(0) lgkmcnt(0)
	buffer_gl1_inv
	buffer_gl0_inv
	v_cmp_eq_u32_e32 vcc_lo, 0, v2
	s_and_b32 vcc_lo, vcc_lo, exec_lo
	s_delay_alu instid0(SALU_CYCLE_1)
	s_or_b32 s43, s43, vcc_lo
	s_branch .LBB6_1201
.LBB6_1206:                             ;   in Loop: Header=BB6_1162 Depth=3
	s_or_b32 exec_lo, exec_lo, s39
	s_and_saveexec_b32 vcc_lo, s40
	s_delay_alu instid0(SALU_CYCLE_1)
	s_xor_b32 vcc_lo, exec_lo, vcc_lo
	s_cbranch_execz .LBB6_1208
; %bb.1207:                             ;   in Loop: Header=BB6_1162 Depth=3
	ds_store_b32 v0, v182
	s_cbranch_execnz .LBB6_3921
.LBB6_1208:                             ;   in Loop: Header=BB6_1162 Depth=3
	s_or_b32 exec_lo, exec_lo, s38
	;;#ASMSTART
	s_wakeup
	;;#ASMEND
.LBB6_1209:                             ;   in Loop: Header=BB6_1162 Depth=3
	s_or_b32 exec_lo, exec_lo, s37
.LBB6_1210:                             ;   in Loop: Header=BB6_1162 Depth=3
	s_and_not1_saveexec_b32 vcc_lo, s36
	s_cbranch_execz .LBB6_1212
; %bb.1211:                             ;   in Loop: Header=BB6_1162 Depth=3
	s_waitcnt lgkmcnt(0)
	s_waitcnt_vscnt null, 0x0
	buffer_gl1_inv
	buffer_gl0_inv
	s_barrier
.LBB6_1212:                             ;   in Loop: Header=BB6_1162 Depth=3
	s_or_b32 exec_lo, exec_lo, vcc_lo
.LBB6_1213:                             ;   in Loop: Header=BB6_1162 Depth=3
	s_delay_alu instid0(SALU_CYCLE_1) | instskip(SKIP_1) | instid1(SALU_CYCLE_1)
	s_or_b32 exec_lo, exec_lo, s13
                                        ; implicit-def: $vgpr2
	s_and_saveexec_b32 s13, vcc_hi
	s_xor_b32 s13, exec_lo, s13
	s_cbranch_execz .LBB6_1235
; %bb.1214:                             ;   in Loop: Header=BB6_1162 Depth=3
	s_and_saveexec_b32 vcc_lo, s4
	s_delay_alu instid0(SALU_CYCLE_1)
	s_xor_b32 s36, exec_lo, vcc_lo
	s_cbranch_execz .LBB6_1232
; %bb.1215:                             ;   in Loop: Header=BB6_1162 Depth=3
	s_and_saveexec_b32 s37, s1
	s_cbranch_execz .LBB6_1231
; %bb.1216:                             ;   in Loop: Header=BB6_1162 Depth=3
	s_mov_b32 s39, exec_lo
	s_mov_b32 s38, exec_lo
	v_mbcnt_lo_u32_b32 v2, s39, 0
	;;#ASMSTART
	s_waitcnt lgkmcnt(0) vmcnt(0)
	;;#ASMEND
	s_delay_alu instid0(VALU_DEP_1)
	v_cmpx_eq_u32_e32 0, v2
	s_cbranch_execz .LBB6_1218
; %bb.1217:                             ;   in Loop: Header=BB6_1162 Depth=3
	s_bcnt1_i32_b32 vcc_lo, s39
	s_delay_alu instid0(SALU_CYCLE_1)
	v_mov_b32_e32 v2, vcc_lo
	ds_add_u64 v0, v[2:3]
	s_cbranch_execnz .LBB6_3673
.LBB6_1218:                             ;   in Loop: Header=BB6_1162 Depth=3
	s_or_b32 exec_lo, exec_lo, s38
	s_cbranch_execnz .LBB6_3639
; %bb.1219:                             ;   in Loop: Header=BB6_1162 Depth=3
	ds_load_b64 v[8:9], v0
	v_add_co_u32 v80, vcc_lo, v80, v145
	v_add_co_ci_u32_e32 v81, vcc_lo, 0, v81, vcc_lo
	s_mov_b32 s38, exec_lo
	s_waitcnt lgkmcnt(0)
	s_delay_alu instid0(VALU_DEP_1)
	v_cmpx_lt_u64_e64 v[8:9], v[80:81]
	s_cbranch_execz .LBB6_1230
; %bb.1220:                             ;   in Loop: Header=BB6_1162 Depth=3
	s_mov_b32 s39, 0
	s_mov_b32 s42, 0
                                        ; implicit-def: $sgpr40
                                        ; implicit-def: $sgpr41
	s_branch .LBB6_1222
.LBB6_1221:                             ;   in Loop: Header=BB6_1222 Depth=4
	s_or_b32 exec_lo, exec_lo, s44
	s_delay_alu instid0(SALU_CYCLE_1) | instskip(NEXT) | instid1(SALU_CYCLE_1)
	s_and_b32 vcc_lo, exec_lo, vcc_lo
	s_or_b32 s39, vcc_lo, s39
	s_and_not1_b32 vcc_lo, s40, exec_lo
	s_and_b32 s40, s41, exec_lo
	s_delay_alu instid0(SALU_CYCLE_1)
	s_or_b32 s40, vcc_lo, s40
	s_and_not1_b32 exec_lo, exec_lo, s39
	s_cbranch_execz .LBB6_1228
.LBB6_1222:                             ;   Parent Loop BB6_51 Depth=1
                                        ;     Parent Loop BB6_308 Depth=2
                                        ;       Parent Loop BB6_1162 Depth=3
                                        ; =>      This Inner Loop Header: Depth=4
	s_add_i32 s42, s42, 1
                                        ; implicit-def: $sgpr44
	s_delay_alu instid0(SALU_CYCLE_1) | instskip(SKIP_1) | instid1(SALU_CYCLE_1)
	s_cmpk_lg_i32 s42, 0x2710
	s_cselect_b32 s43, -1, 0
	s_and_b32 vcc_lo, exec_lo, s43
	s_cbranch_vccz .LBB6_1226
.LBB6_1223:                             ;   in Loop: Header=BB6_1222 Depth=4
	s_and_not1_b32 s41, s41, exec_lo
	s_and_b32 s44, s44, exec_lo
	s_mov_b32 vcc_lo, -1
	s_or_b32 s41, s41, s44
	s_and_saveexec_b32 s44, s43
	s_cbranch_execz .LBB6_1221
; %bb.1224:                             ;   in Loop: Header=BB6_1222 Depth=4
	s_sleep 1
	s_cbranch_execnz .LBB6_3713
; %bb.1225:                             ;   in Loop: Header=BB6_1222 Depth=4
	ds_load_b64 v[8:9], v0
	s_and_not1_b32 s41, s41, exec_lo
	s_waitcnt lgkmcnt(0)
	v_cmp_ge_u64_e32 vcc_lo, v[8:9], v[80:81]
	s_or_not1_b32 vcc_lo, vcc_lo, exec_lo
	s_branch .LBB6_1221
.LBB6_1226:                             ;   in Loop: Header=BB6_1222 Depth=4
	s_cbranch_execnz .LBB6_3729
; %bb.1227:                             ;   in Loop: Header=BB6_1222 Depth=4
	ds_load_b64 v[8:9], v0
	s_and_not1_b32 s43, s43, exec_lo
	s_mov_b32 s42, 0
	s_mov_b32 s44, -1
	s_waitcnt lgkmcnt(0)
	s_waitcnt_vscnt null, 0x0
	flat_load_b32 v2, v[8:9] glc
	s_waitcnt vmcnt(0) lgkmcnt(0)
	buffer_gl1_inv
	buffer_gl0_inv
	v_cmp_eq_u32_e32 vcc_lo, 0, v2
	s_and_b32 vcc_lo, vcc_lo, exec_lo
	s_delay_alu instid0(SALU_CYCLE_1)
	s_or_b32 s43, s43, vcc_lo
	s_branch .LBB6_1223
.LBB6_1228:                             ;   in Loop: Header=BB6_1162 Depth=3
	s_or_b32 exec_lo, exec_lo, s39
	s_and_saveexec_b32 vcc_lo, s40
	s_delay_alu instid0(SALU_CYCLE_1)
	s_xor_b32 vcc_lo, exec_lo, vcc_lo
	s_cbranch_execz .LBB6_1230
; %bb.1229:                             ;   in Loop: Header=BB6_1162 Depth=3
	ds_store_b32 v0, v182
	s_cbranch_execnz .LBB6_3925
.LBB6_1230:                             ;   in Loop: Header=BB6_1162 Depth=3
	s_or_b32 exec_lo, exec_lo, s38
	;;#ASMSTART
	s_wakeup
	;;#ASMEND
.LBB6_1231:                             ;   in Loop: Header=BB6_1162 Depth=3
	s_or_b32 exec_lo, exec_lo, s37
.LBB6_1232:                             ;   in Loop: Header=BB6_1162 Depth=3
	s_and_not1_saveexec_b32 vcc_lo, s36
	s_cbranch_execz .LBB6_1234
; %bb.1233:                             ;   in Loop: Header=BB6_1162 Depth=3
	;;#ASMSTART
	s_waitcnt lgkmcnt(0) vmcnt(0)
	;;#ASMEND
	s_waitcnt lgkmcnt(0)
	s_waitcnt_vscnt null, 0x0
	s_barrier
.LBB6_1234:                             ;   in Loop: Header=BB6_1162 Depth=3
	s_or_b32 exec_lo, exec_lo, vcc_lo
	v_and_b32_e32 v2, 16, v30
.LBB6_1235:                             ;   in Loop: Header=BB6_1162 Depth=3
	s_and_not1_saveexec_b32 s36, s13
	s_cbranch_execz .LBB6_1240
; %bb.1236:                             ;   in Loop: Header=BB6_1162 Depth=3
	s_cbranch_execnz .LBB6_3573
; %bb.1237:                             ;   in Loop: Header=BB6_1162 Depth=3
	ds_load_b32 v2, v0
	v_cmp_lt_i32_e32 vcc_lo, 0, v102
	s_waitcnt lgkmcnt(0)
	v_readfirstlane_b32 s13, v2
	v_and_b32_e32 v2, 16, v30
	s_delay_alu instid0(VALU_DEP_2) | instskip(NEXT) | instid1(VALU_DEP_1)
	s_cmp_eq_u32 s13, 0
	v_cmp_ne_u32_e64 s13, 0, v2
	s_cselect_b32 s37, -1, 0
	v_and_b32_e32 v2, 16, v30
	s_and_b32 vcc_lo, vcc_lo, s37
	s_delay_alu instid0(VALU_DEP_2) | instid1(SALU_CYCLE_1)
	s_and_b32 vcc_lo, s13, vcc_lo
	s_delay_alu instid0(SALU_CYCLE_1)
	s_and_saveexec_b32 s13, vcc_lo
	s_cbranch_execz .LBB6_1239
; %bb.1238:                             ;   in Loop: Header=BB6_1162 Depth=3
	v_mov_b32_e32 v2, 1
	s_waitcnt_vscnt null, 0x0
	buffer_gl1_inv
	buffer_gl0_inv
.LBB6_1239:                             ;   in Loop: Header=BB6_1162 Depth=3
	s_or_b32 exec_lo, exec_lo, s13
.LBB6_1240:                             ;   in Loop: Header=BB6_1162 Depth=3
	s_delay_alu instid0(SALU_CYCLE_1) | instskip(NEXT) | instid1(VALU_DEP_1)
	s_or_b32 exec_lo, exec_lo, s36
	v_cmp_ne_u32_e32 vcc_lo, 0, v2
	s_xor_b32 s13, s10, -1
	s_delay_alu instid0(SALU_CYCLE_1) | instskip(NEXT) | instid1(SALU_CYCLE_1)
	s_and_b32 vcc_lo, vcc_lo, s13
	s_and_saveexec_b32 s13, vcc_lo
	s_cbranch_execz .LBB6_1242
; %bb.1241:                             ;   in Loop: Header=BB6_1162 Depth=3
	s_waitcnt lgkmcnt(0)
	s_waitcnt_vscnt null, 0x0
	flat_store_b32 v[70:71], v182
.LBB6_1242:                             ;   in Loop: Header=BB6_1162 Depth=3
	s_or_b32 exec_lo, exec_lo, s13
	v_and_b32_e32 v2, 48, v30
	s_mov_b32 s13, exec_lo
	s_delay_alu instid0(VALU_DEP_1)
	v_cmpx_ne_u32_e32 0, v2
	s_cbranch_execz .LBB6_1244
; %bb.1243:                             ;   in Loop: Header=BB6_1162 Depth=3
	v_add_co_u32 v66, vcc_lo, v66, 2
	v_add_co_ci_u32_e32 v67, vcc_lo, 0, v67, vcc_lo
	s_waitcnt lgkmcnt(0)
	s_waitcnt_vscnt null, 0x0
	flat_store_b64 v[64:65], v[66:67]
.LBB6_1244:                             ;   in Loop: Header=BB6_1162 Depth=3
	s_or_b32 exec_lo, exec_lo, s13
	v_add_nc_u32_e32 v112, v102, v112
	s_mov_b32 s13, 0
	s_and_not1_b32 exec_lo, exec_lo, s30
	s_cbranch_execnz .LBB6_1162
; %bb.1245:                             ;   in Loop: Header=BB6_308 Depth=2
	s_or_b32 exec_lo, exec_lo, s30
.LBB6_1246:                             ;   in Loop: Header=BB6_308 Depth=2
	s_delay_alu instid0(SALU_CYCLE_1) | instskip(SKIP_1) | instid1(SALU_CYCLE_1)
	s_or_b32 exec_lo, exec_lo, s15
	s_add_i32 s17, s17, 1
	s_cmp_eq_u32 s17, s19
	s_cbranch_scc0 .LBB6_308
.LBB6_1247:                             ;   in Loop: Header=BB6_51 Depth=1
	v_mul_lo_u32 v2, v97, s19
	v_mul_lo_u32 v10, v96, s21
	v_mad_u64_u32 v[8:9], null, v96, s19, 0
	v_mov_b32_e32 v112, 0
	s_mov_b32 s36, 0
	s_delay_alu instid0(VALU_DEP_2) | instskip(NEXT) | instid1(VALU_DEP_3)
	v_add3_u32 v9, v9, v10, v2
	v_sub_co_u32 v10, vcc_lo, v98, v8
	s_delay_alu instid0(VALU_DEP_2) | instskip(NEXT) | instid1(VALU_DEP_1)
	v_sub_co_ci_u32_e32 v11, vcc_lo, v99, v9, vcc_lo
	v_cmp_lt_i64_e32 vcc_lo, v[96:97], v[10:11]
	v_cndmask_b32_e32 v10, v10, v96, vcc_lo
	s_delay_alu instid0(VALU_DEP_1) | instskip(NEXT) | instid1(VALU_DEP_1)
	v_max_i32_e32 v183, 0, v10
	v_add_nc_u32_e32 v2, 31, v183
	s_delay_alu instid0(VALU_DEP_1) | instskip(NEXT) | instid1(VALU_DEP_1)
	v_lshrrev_b32_e32 v2, 1, v2
	v_and_b32_e32 v11, 0x3ffffff0, v2
	v_cmp_lt_i32_e32 vcc_lo, 0, v10
	v_mov_b32_e32 v2, 0
	s_delay_alu instid0(VALU_DEP_3) | instskip(SKIP_1) | instid1(SALU_CYCLE_1)
	v_max_i32_e32 v102, s28, v11
	s_and_b32 s13, s16, vcc_lo
	s_and_saveexec_b32 s17, s13
	s_cbranch_execz .LBB6_2822
; %bb.1248:                             ;   in Loop: Header=BB6_51 Depth=1
	v_add_co_u32 v8, vcc_lo, v8, v100
	v_add_co_ci_u32_e32 v9, vcc_lo, v9, v101, vcc_lo
	v_mov_b32_e32 v112, 0
	s_mov_b32 s30, 1
	s_mov_b32 s37, -1
	s_delay_alu instid0(VALU_DEP_2)
	v_lshlrev_b64 v[114:115], 1, v[8:9]
.LBB6_1249:                             ;   Parent Loop BB6_51 Depth=1
                                        ; =>  This Loop Header: Depth=2
                                        ;       Child Loop BB6_1258 Depth 3
                                        ;       Child Loop BB6_1288 Depth 3
	;; [unrolled: 1-line block ×5, first 2 shown]
                                        ;         Child Loop BB6_1823 Depth 4
                                        ;       Child Loop BB6_1837 Depth 3
                                        ;       Child Loop BB6_2032 Depth 3
                                        ;         Child Loop BB6_2045 Depth 4
                                        ;       Child Loop BB6_2062 Depth 3
                                        ;       Child Loop BB6_2452 Depth 3
	;; [unrolled: 1-line block ×6, first 2 shown]
	s_and_saveexec_b32 s15, s0
	s_cbranch_execz .LBB6_1252
; %bb.1250:                             ;   in Loop: Header=BB6_1249 Depth=2
	s_cbranch_execnz .LBB6_3541
; %bb.1251:                             ;   in Loop: Header=BB6_1249 Depth=2
	ds_load_2addr_b64 v[8:11], v0 offset1:1
	ds_load_b64 v[12:13], v0
	v_ashrrev_i32_e32 v113, 31, v112
	s_delay_alu instid0(VALU_DEP_1)
	v_lshlrev_b64 v[14:15], 1, v[112:113]
	s_waitcnt lgkmcnt(1)
	v_add_co_u32 v2, vcc_lo, v8, v114
	v_add_co_ci_u32_e32 v9, vcc_lo, v9, v115, vcc_lo
	v_add_co_u32 v10, vcc_lo, v10, v114
	v_add_co_ci_u32_e32 v11, vcc_lo, v11, v115, vcc_lo
	s_waitcnt lgkmcnt(0)
	v_add_co_u32 v16, vcc_lo, v12, v114
	v_add_co_ci_u32_e32 v17, vcc_lo, v13, v115, vcc_lo
	v_add_co_u32 v8, vcc_lo, v2, v14
	v_add_co_ci_u32_e32 v9, vcc_lo, v9, v15, vcc_lo
	s_delay_alu instid0(VALU_DEP_4) | instskip(NEXT) | instid1(VALU_DEP_4)
	v_add_co_u32 v2, vcc_lo, v16, v14
	v_add_co_ci_u32_e32 v16, vcc_lo, v17, v15, vcc_lo
	v_cmp_ne_u64_e32 vcc_lo, 0, v[12:13]
	v_add_co_u32 v10, s13, v10, v14
	s_delay_alu instid0(VALU_DEP_1) | instskip(NEXT) | instid1(VALU_DEP_4)
	v_add_co_ci_u32_e64 v11, s13, v11, v15, s13
	v_dual_cndmask_b32 v13, 0, v16 :: v_dual_cndmask_b32 v12, 0, v2
	ds_store_b64 v0, v[8:9]
	ds_store_b64 v0, v[10:11]
	;; [unrolled: 1-line block ×3, first 2 shown]
.LBB6_1252:                             ;   in Loop: Header=BB6_1249 Depth=2
	s_or_b32 exec_lo, exec_lo, s15
	v_and_b32_e32 v2, 12, v30
	s_mov_b32 s38, -1
	s_mov_b32 s13, exec_lo
	s_delay_alu instid0(VALU_DEP_1)
	v_cmpx_ne_u32_e32 0, v2
	s_cbranch_execz .LBB6_1266
; %bb.1253:                             ;   in Loop: Header=BB6_1249 Depth=2
	v_and_b32_e32 v2, 8, v30
	s_mov_b32 s15, s30
	s_mov_b32 s30, s37
	s_delay_alu instid0(VALU_DEP_1) | instskip(SKIP_3) | instid1(VALU_DEP_1)
	v_add_co_u32 v10, vcc_lo, v82, v2
	v_add_co_ci_u32_e32 v11, vcc_lo, 0, v83, vcc_lo
	v_add_co_u32 v8, vcc_lo, v66, 2
	v_add_co_ci_u32_e32 v9, vcc_lo, 0, v67, vcc_lo
	v_cmp_lt_u64_e32 vcc_lo, v[10:11], v[8:9]
	v_mov_b32_e32 v10, 1
	s_and_saveexec_b32 s37, vcc_lo
	s_cbranch_execz .LBB6_1265
; %bb.1254:                             ;   in Loop: Header=BB6_1249 Depth=2
	v_mov_b32_e32 v10, 0
	s_mov_b32 s38, 0
                                        ; implicit-def: $sgpr39
	s_branch .LBB6_1258
.LBB6_1255:                             ;   in Loop: Header=BB6_1258 Depth=3
	s_or_b32 exec_lo, exec_lo, s43
	v_mov_b32_e32 v11, 0
	s_or_not1_b32 s42, s42, exec_lo
.LBB6_1256:                             ;   in Loop: Header=BB6_1258 Depth=3
	s_or_b32 exec_lo, exec_lo, s41
	s_delay_alu instid0(VALU_DEP_1) | instskip(SKIP_2) | instid1(SALU_CYCLE_1)
	v_mov_b32_e32 v10, v11
	s_and_not1_b32 vcc_lo, s39, exec_lo
	s_and_b32 s39, s42, exec_lo
	s_or_b32 s39, vcc_lo, s39
.LBB6_1257:                             ;   in Loop: Header=BB6_1258 Depth=3
	s_or_b32 exec_lo, exec_lo, s40
	s_waitcnt vmcnt(0) lgkmcnt(0)
	v_add_co_u32 v11, vcc_lo, v82, v2
	v_add_co_ci_u32_e32 v12, vcc_lo, 0, v83, vcc_lo
	s_xor_b32 s40, s39, -1
	s_delay_alu instid0(VALU_DEP_1) | instskip(SKIP_1) | instid1(SALU_CYCLE_1)
	v_cmp_ge_u64_e32 vcc_lo, v[11:12], v[8:9]
	s_or_b32 vcc_lo, s40, vcc_lo
	s_and_b32 vcc_lo, exec_lo, vcc_lo
	s_delay_alu instid0(SALU_CYCLE_1) | instskip(NEXT) | instid1(SALU_CYCLE_1)
	s_or_b32 s38, vcc_lo, s38
	s_and_not1_b32 exec_lo, exec_lo, s38
	s_cbranch_execz .LBB6_1264
.LBB6_1258:                             ;   Parent Loop BB6_51 Depth=1
                                        ;     Parent Loop BB6_1249 Depth=2
                                        ; =>    This Inner Loop Header: Depth=3
	s_sleep 1
	flat_load_b64 v[82:83], v[64:65] glc
	v_and_b32_e32 v11, 64, v30
	s_and_not1_b32 s39, s39, exec_lo
	s_mov_b32 s40, exec_lo
	s_delay_alu instid0(VALU_DEP_1)
	v_cmpx_eq_u32_e32 0, v11
	s_cbranch_execz .LBB6_1257
; %bb.1259:                             ;   in Loop: Header=BB6_1258 Depth=3
	v_add_nc_u32_e32 v11, 1, v10
	s_mov_b32 s42, -1
	s_mov_b32 s41, exec_lo
	v_cmpx_lt_i32_e32 0x270e, v10
	s_cbranch_execz .LBB6_1256
; %bb.1260:                             ;   in Loop: Header=BB6_1258 Depth=3
	s_cbranch_execnz .LBB6_3567
; %bb.1261:                             ;   in Loop: Header=BB6_1258 Depth=3
	ds_load_b64 v[10:11], v0
	s_mov_b32 s43, exec_lo
	s_waitcnt vmcnt(0) lgkmcnt(0)
	s_waitcnt_vscnt null, 0x0
	flat_load_b32 v10, v[10:11] glc
	s_waitcnt vmcnt(0) lgkmcnt(0)
	buffer_gl1_inv
	buffer_gl0_inv
	v_cmpx_ne_u32_e32 0, v10
	s_cbranch_execz .LBB6_1255
; %bb.1262:                             ;   in Loop: Header=BB6_1258 Depth=3
	ds_store_b32 v0, v10
	s_cbranch_execnz .LBB6_3621
; %bb.1263:                             ;   in Loop: Header=BB6_1258 Depth=3
	v_or_b32_e32 v30, 64, v30
	s_xor_b32 s42, exec_lo, -1
	s_branch .LBB6_1255
.LBB6_1264:                             ;   in Loop: Header=BB6_1249 Depth=2
	s_or_b32 exec_lo, exec_lo, s38
	v_and_b32_e32 v10, 12, v30
.LBB6_1265:                             ;   in Loop: Header=BB6_1249 Depth=2
	s_or_b32 exec_lo, exec_lo, s37
	s_delay_alu instid0(VALU_DEP_1)
	v_cmp_eq_u32_e32 vcc_lo, 0, v10
	s_mov_b32 s37, s30
	s_mov_b32 s30, s15
	;;#ASMSTART
	s_wakeup
	;;#ASMEND
	s_or_not1_b32 s38, vcc_lo, exec_lo
.LBB6_1266:                             ;   in Loop: Header=BB6_1249 Depth=2
	s_or_b32 exec_lo, exec_lo, s13
	v_sub_nc_u32_e32 v2, v183, v112
	s_xor_b32 s13, s38, -1
	s_delay_alu instid0(VALU_DEP_1)
	v_min_i32_e32 v102, v102, v2
	s_and_saveexec_b32 s15, s13
	s_cbranch_execz .LBB6_1279
; %bb.1267:                             ;   in Loop: Header=BB6_1249 Depth=2
	v_and_b32_e32 v2, 0x108, v30
	s_delay_alu instid0(VALU_DEP_1) | instskip(SKIP_2) | instid1(SALU_CYCLE_1)
	v_cmp_ne_u32_e32 vcc_lo, 0x108, v2
	v_and_b32_e32 v2, 7, v66
	s_and_saveexec_b32 s13, vcc_lo
	s_xor_b32 s13, exec_lo, s13
	s_delay_alu instid0(SALU_CYCLE_1)
	s_and_not1_saveexec_b32 s13, s13
	s_cbranch_execz .LBB6_1269
; %bb.1268:                             ;   in Loop: Header=BB6_1249 Depth=2
	v_ashrrev_i32_e32 v103, 31, v102
	v_mad_u64_u32 v[8:9], null, v2, 24, v[6:7]
	s_delay_alu instid0(VALU_DEP_2)
	v_lshlrev_b64 v[10:11], 1, v[102:103]
	flat_store_b64 v[8:9], v[10:11] offset:8
.LBB6_1269:                             ;   in Loop: Header=BB6_1249 Depth=2
	s_or_b32 exec_lo, exec_lo, s13
	v_and_b32_e32 v8, 0x100, v30
	s_mov_b32 s13, -1
	s_delay_alu instid0(VALU_DEP_1)
	v_cmp_ne_u32_e32 vcc_lo, 0, v8
                                        ; implicit-def: $vgpr8_vgpr9
	s_and_saveexec_b32 s38, vcc_lo
	s_cbranch_execnz .LBB6_1272
; %bb.1270:                             ;   in Loop: Header=BB6_1249 Depth=2
	s_or_b32 exec_lo, exec_lo, s38
	s_and_saveexec_b32 vcc_lo, s13
	s_cbranch_execnz .LBB6_1275
.LBB6_1271:                             ;   in Loop: Header=BB6_1249 Depth=2
	s_or_b32 exec_lo, exec_lo, vcc_lo
	s_cbranch_execnz .LBB6_3561
	s_branch .LBB6_1276
.LBB6_1272:                             ;   in Loop: Header=BB6_1249 Depth=2
	v_mad_u64_u32 v[10:11], null, v2, 24, v[6:7]
	s_delay_alu instid0(VALU_DEP_1) | instskip(NEXT) | instid1(VALU_DEP_1)
	v_mov_b32_e32 v8, v11
	v_mad_u64_u32 v[11:12], null, v3, 24, v[8:9]
	flat_load_b32 v8, v[10:11]
	s_waitcnt vmcnt(0) lgkmcnt(0)
	v_cmp_ne_u32_e32 vcc_lo, 1, v8
	v_cmp_eq_u32_e64 s13, 1, v8
                                        ; implicit-def: $vgpr8_vgpr9
	s_delay_alu instid0(VALU_DEP_1)
	s_and_saveexec_b32 s39, s13
	s_cbranch_execz .LBB6_1274
; %bb.1273:                             ;   in Loop: Header=BB6_1249 Depth=2
	flat_load_b32 v8, v[10:11] offset:4 glc
	s_waitcnt vmcnt(0) lgkmcnt(0)
	v_ashrrev_i32_e32 v9, 31, v8
	s_delay_alu instid0(VALU_DEP_1)
	v_lshrrev_b64 v[8:9], 1, v[8:9]
.LBB6_1274:                             ;   in Loop: Header=BB6_1249 Depth=2
	s_or_b32 exec_lo, exec_lo, s39
	s_delay_alu instid0(SALU_CYCLE_1)
	s_or_not1_b32 s13, vcc_lo, exec_lo
	s_or_b32 exec_lo, exec_lo, s38
	s_and_saveexec_b32 vcc_lo, s13
	s_cbranch_execz .LBB6_1271
.LBB6_1275:                             ;   in Loop: Header=BB6_1249 Depth=2
	v_mul_lo_u32 v10, v3, v133
	v_mul_lo_u32 v11, v2, v134
	v_mad_u64_u32 v[8:9], null, v2, v133, 0
	s_delay_alu instid0(VALU_DEP_1)
	v_add3_u32 v9, v9, v11, v10
	s_or_b32 exec_lo, exec_lo, vcc_lo
	s_cbranch_execnz .LBB6_3561
.LBB6_1276:                             ;   in Loop: Header=BB6_1249 Depth=2
	s_delay_alu instid0(VALU_DEP_1) | instskip(SKIP_2) | instid1(VALU_DEP_2)
	v_lshlrev_b64 v[8:9], 1, v[8:9]
	v_and_b32_e32 v2, 0x2000, v30
	s_mov_b32 s13, exec_lo
	v_add_co_u32 v8, vcc_lo, v68, v8
	s_delay_alu instid0(VALU_DEP_3)
	v_add_co_ci_u32_e32 v9, vcc_lo, v69, v9, vcc_lo
	ds_store_b64 v0, v[8:9]
	v_cmpx_ne_u32_e32 0, v2
	s_cbranch_execz .LBB6_1278
; %bb.1277:                             ;   in Loop: Header=BB6_1249 Depth=2
	ds_load_b64 v[8:9], v0 offset:584
	s_waitcnt lgkmcnt(0)
	v_add_co_u32 v8, vcc_lo, v8, 1
	v_add_co_ci_u32_e32 v9, vcc_lo, 0, v9, vcc_lo
	ds_store_b64 v0, v[8:9] offset:584
.LBB6_1278:                             ;   in Loop: Header=BB6_1249 Depth=2
	s_or_b32 exec_lo, exec_lo, s13
	v_add_co_u32 v66, vcc_lo, v66, 2
	v_add_co_ci_u32_e32 v67, vcc_lo, 0, v67, vcc_lo
.LBB6_1279:                             ;   in Loop: Header=BB6_1249 Depth=2
	v_writelane_b32 v56, s37, 0
	v_writelane_b32 v56, s30, 1
	;; [unrolled: 1-line block ×8, first 2 shown]
	s_or_b32 exec_lo, exec_lo, s15
	s_and_saveexec_b32 s13, s3
	s_cbranch_execz .LBB6_1301
; %bb.1280:                             ;   in Loop: Header=BB6_1249 Depth=2
	s_and_saveexec_b32 s14, s4
	s_delay_alu instid0(SALU_CYCLE_1)
	s_xor_b32 s14, exec_lo, s14
	s_cbranch_execz .LBB6_1298
; %bb.1281:                             ;   in Loop: Header=BB6_1249 Depth=2
	s_and_saveexec_b32 s15, s1
	s_cbranch_execz .LBB6_1297
; %bb.1282:                             ;   in Loop: Header=BB6_1249 Depth=2
	s_mov_b32 s30, exec_lo
	s_mov_b32 s16, exec_lo
	v_mbcnt_lo_u32_b32 v2, s30, 0
	s_waitcnt lgkmcnt(0)
	s_waitcnt_vscnt null, 0x0
	buffer_gl1_inv
	buffer_gl0_inv
	v_cmpx_eq_u32_e32 0, v2
	s_cbranch_execz .LBB6_1284
; %bb.1283:                             ;   in Loop: Header=BB6_1249 Depth=2
	s_bcnt1_i32_b32 vcc_lo, s30
	s_delay_alu instid0(SALU_CYCLE_1)
	v_mov_b32_e32 v2, vcc_lo
	ds_add_u64 v0, v[2:3]
	s_cbranch_execnz .LBB6_3677
.LBB6_1284:                             ;   in Loop: Header=BB6_1249 Depth=2
	s_or_b32 exec_lo, exec_lo, s16
	s_cbranch_execnz .LBB6_3651
; %bb.1285:                             ;   in Loop: Header=BB6_1249 Depth=2
	ds_load_b64 v[8:9], v0
	v_add_co_u32 v80, vcc_lo, v80, v145
	v_add_co_ci_u32_e32 v81, vcc_lo, 0, v81, vcc_lo
	s_mov_b32 s16, exec_lo
	s_waitcnt lgkmcnt(0)
	s_delay_alu instid0(VALU_DEP_1)
	v_cmpx_lt_u64_e64 v[8:9], v[80:81]
	s_cbranch_execz .LBB6_1296
; %bb.1286:                             ;   in Loop: Header=BB6_1249 Depth=2
	s_mov_b32 s30, 0
	s_mov_b32 s35, 0
                                        ; implicit-def: $sgpr31
                                        ; implicit-def: $sgpr34
	s_branch .LBB6_1288
.LBB6_1287:                             ;   in Loop: Header=BB6_1288 Depth=3
	s_or_b32 exec_lo, exec_lo, s37
	s_delay_alu instid0(SALU_CYCLE_1) | instskip(NEXT) | instid1(SALU_CYCLE_1)
	s_and_b32 vcc_lo, exec_lo, vcc_lo
	s_or_b32 s30, vcc_lo, s30
	s_and_not1_b32 vcc_lo, s31, exec_lo
	s_and_b32 s31, s34, exec_lo
	s_delay_alu instid0(SALU_CYCLE_1)
	s_or_b32 s31, vcc_lo, s31
	s_and_not1_b32 exec_lo, exec_lo, s30
	s_cbranch_execz .LBB6_1294
.LBB6_1288:                             ;   Parent Loop BB6_51 Depth=1
                                        ;     Parent Loop BB6_1249 Depth=2
                                        ; =>    This Inner Loop Header: Depth=3
	s_add_i32 s35, s35, 1
                                        ; implicit-def: $sgpr37
	s_delay_alu instid0(SALU_CYCLE_1) | instskip(SKIP_1) | instid1(SALU_CYCLE_1)
	s_cmpk_lg_i32 s35, 0x2710
	s_cselect_b32 s36, -1, 0
	s_and_b32 vcc_lo, exec_lo, s36
	s_cbranch_vccz .LBB6_1292
.LBB6_1289:                             ;   in Loop: Header=BB6_1288 Depth=3
	s_and_not1_b32 s34, s34, exec_lo
	s_and_b32 s37, s37, exec_lo
	s_mov_b32 vcc_lo, -1
	s_or_b32 s34, s34, s37
	s_and_saveexec_b32 s37, s36
	s_cbranch_execz .LBB6_1287
; %bb.1290:                             ;   in Loop: Header=BB6_1288 Depth=3
	s_sleep 1
	s_cbranch_execnz .LBB6_3721
; %bb.1291:                             ;   in Loop: Header=BB6_1288 Depth=3
	ds_load_b64 v[8:9], v0
	s_and_not1_b32 s34, s34, exec_lo
	s_waitcnt lgkmcnt(0)
	v_cmp_ge_u64_e32 vcc_lo, v[8:9], v[80:81]
	s_or_not1_b32 vcc_lo, vcc_lo, exec_lo
	s_branch .LBB6_1287
.LBB6_1292:                             ;   in Loop: Header=BB6_1288 Depth=3
	s_cbranch_execnz .LBB6_3733
; %bb.1293:                             ;   in Loop: Header=BB6_1288 Depth=3
	ds_load_b64 v[8:9], v0
	s_and_not1_b32 s36, s36, exec_lo
	s_mov_b32 s35, 0
	s_mov_b32 s37, -1
	s_waitcnt lgkmcnt(0)
	flat_load_b32 v2, v[8:9] glc
	s_waitcnt vmcnt(0) lgkmcnt(0)
	buffer_gl1_inv
	buffer_gl0_inv
	v_cmp_eq_u32_e32 vcc_lo, 0, v2
	s_and_b32 vcc_lo, vcc_lo, exec_lo
	s_delay_alu instid0(SALU_CYCLE_1)
	s_or_b32 s36, s36, vcc_lo
	s_branch .LBB6_1289
.LBB6_1294:                             ;   in Loop: Header=BB6_1249 Depth=2
	s_or_b32 exec_lo, exec_lo, s30
	s_and_saveexec_b32 vcc_lo, s31
	s_delay_alu instid0(SALU_CYCLE_1)
	s_xor_b32 vcc_lo, exec_lo, vcc_lo
	s_cbranch_execz .LBB6_1296
; %bb.1295:                             ;   in Loop: Header=BB6_1249 Depth=2
	ds_store_b32 v0, v182
	s_cbranch_execnz .LBB6_3931
.LBB6_1296:                             ;   in Loop: Header=BB6_1249 Depth=2
	s_or_b32 exec_lo, exec_lo, s16
	;;#ASMSTART
	s_wakeup
	;;#ASMEND
.LBB6_1297:                             ;   in Loop: Header=BB6_1249 Depth=2
	s_or_b32 exec_lo, exec_lo, s15
.LBB6_1298:                             ;   in Loop: Header=BB6_1249 Depth=2
	s_and_not1_saveexec_b32 s14, s14
	s_cbranch_execz .LBB6_1300
; %bb.1299:                             ;   in Loop: Header=BB6_1249 Depth=2
	s_waitcnt lgkmcnt(0)
	s_waitcnt_vscnt null, 0x0
	buffer_gl1_inv
	buffer_gl0_inv
	s_barrier
.LBB6_1300:                             ;   in Loop: Header=BB6_1249 Depth=2
	s_or_b32 exec_lo, exec_lo, s14
.LBB6_1301:                             ;   in Loop: Header=BB6_1249 Depth=2
	s_delay_alu instid0(SALU_CYCLE_1)
	s_or_b32 exec_lo, exec_lo, s13
	s_cbranch_execnz .LBB6_3547
; %bb.1302:                             ;   in Loop: Header=BB6_1249 Depth=2
	ds_load_b32 v8, v0
	v_and_b32_e32 v2, 0x4000, v30
	s_xor_b32 s13, s2, -1
	s_delay_alu instid0(VALU_DEP_1) | instskip(SKIP_1) | instid1(SALU_CYCLE_1)
	v_cmp_ne_u32_e32 vcc_lo, 0, v2
	s_and_b32 s14, s13, vcc_lo
	s_and_saveexec_b32 s13, s14
	s_cbranch_execz .LBB6_1324
; %bb.1303:                             ;   in Loop: Header=BB6_1249 Depth=2
	s_and_saveexec_b32 s14, s4
	s_delay_alu instid0(SALU_CYCLE_1)
	s_xor_b32 s14, exec_lo, s14
	s_cbranch_execz .LBB6_1321
; %bb.1304:                             ;   in Loop: Header=BB6_1249 Depth=2
	s_and_saveexec_b32 s15, s1
	s_cbranch_execz .LBB6_1320
; %bb.1305:                             ;   in Loop: Header=BB6_1249 Depth=2
	s_mov_b32 s30, exec_lo
	s_mov_b32 s16, exec_lo
	v_mbcnt_lo_u32_b32 v2, s30, 0
	s_waitcnt lgkmcnt(0)
	s_waitcnt_vscnt null, 0x0
	buffer_gl1_inv
	buffer_gl0_inv
	v_cmpx_eq_u32_e32 0, v2
	s_cbranch_execz .LBB6_1307
; %bb.1306:                             ;   in Loop: Header=BB6_1249 Depth=2
	s_bcnt1_i32_b32 vcc_lo, s30
	s_delay_alu instid0(SALU_CYCLE_1)
	v_mov_b32_e32 v2, vcc_lo
	ds_add_u64 v0, v[2:3]
	s_cbranch_execnz .LBB6_3715
.LBB6_1307:                             ;   in Loop: Header=BB6_1249 Depth=2
	s_or_b32 exec_lo, exec_lo, s16
	s_cbranch_execnz .LBB6_3687
; %bb.1308:                             ;   in Loop: Header=BB6_1249 Depth=2
	ds_load_b64 v[9:10], v0
	v_add_co_u32 v80, vcc_lo, v80, v145
	v_add_co_ci_u32_e32 v81, vcc_lo, 0, v81, vcc_lo
	s_mov_b32 s16, exec_lo
	s_waitcnt lgkmcnt(0)
	s_delay_alu instid0(VALU_DEP_1)
	v_cmpx_lt_u64_e64 v[9:10], v[80:81]
	s_cbranch_execz .LBB6_1319
; %bb.1309:                             ;   in Loop: Header=BB6_1249 Depth=2
	s_mov_b32 s30, 0
	s_mov_b32 s35, 0
                                        ; implicit-def: $sgpr31
                                        ; implicit-def: $sgpr34
	s_branch .LBB6_1311
.LBB6_1310:                             ;   in Loop: Header=BB6_1311 Depth=3
	s_or_b32 exec_lo, exec_lo, s37
	s_delay_alu instid0(SALU_CYCLE_1) | instskip(NEXT) | instid1(SALU_CYCLE_1)
	s_and_b32 vcc_lo, exec_lo, vcc_lo
	s_or_b32 s30, vcc_lo, s30
	s_and_not1_b32 vcc_lo, s31, exec_lo
	s_and_b32 s31, s34, exec_lo
	s_delay_alu instid0(SALU_CYCLE_1)
	s_or_b32 s31, vcc_lo, s31
	s_and_not1_b32 exec_lo, exec_lo, s30
	s_cbranch_execz .LBB6_1317
.LBB6_1311:                             ;   Parent Loop BB6_51 Depth=1
                                        ;     Parent Loop BB6_1249 Depth=2
                                        ; =>    This Inner Loop Header: Depth=3
	s_add_i32 s35, s35, 1
                                        ; implicit-def: $sgpr37
	s_delay_alu instid0(SALU_CYCLE_1) | instskip(SKIP_1) | instid1(SALU_CYCLE_1)
	s_cmpk_lg_i32 s35, 0x2710
	s_cselect_b32 s36, -1, 0
	s_and_b32 vcc_lo, exec_lo, s36
	s_cbranch_vccz .LBB6_1315
.LBB6_1312:                             ;   in Loop: Header=BB6_1311 Depth=3
	s_and_not1_b32 s34, s34, exec_lo
	s_and_b32 s37, s37, exec_lo
	s_mov_b32 vcc_lo, -1
	s_or_b32 s34, s34, s37
	s_and_saveexec_b32 s37, s36
	s_cbranch_execz .LBB6_1310
; %bb.1313:                             ;   in Loop: Header=BB6_1311 Depth=3
	s_sleep 1
	s_cbranch_execnz .LBB6_3775
; %bb.1314:                             ;   in Loop: Header=BB6_1311 Depth=3
	ds_load_b64 v[9:10], v0
	s_and_not1_b32 s34, s34, exec_lo
	s_waitcnt lgkmcnt(0)
	v_cmp_ge_u64_e32 vcc_lo, v[9:10], v[80:81]
	s_or_not1_b32 vcc_lo, vcc_lo, exec_lo
	s_branch .LBB6_1310
.LBB6_1315:                             ;   in Loop: Header=BB6_1311 Depth=3
	s_cbranch_execnz .LBB6_3789
; %bb.1316:                             ;   in Loop: Header=BB6_1311 Depth=3
	ds_load_b64 v[9:10], v0
	s_and_not1_b32 s36, s36, exec_lo
	s_mov_b32 s35, 0
	s_mov_b32 s37, -1
	s_waitcnt lgkmcnt(0)
	flat_load_b32 v2, v[9:10] glc
	s_waitcnt vmcnt(0) lgkmcnt(0)
	buffer_gl1_inv
	buffer_gl0_inv
	v_cmp_eq_u32_e32 vcc_lo, 0, v2
	s_and_b32 vcc_lo, vcc_lo, exec_lo
	s_delay_alu instid0(SALU_CYCLE_1)
	s_or_b32 s36, s36, vcc_lo
	s_branch .LBB6_1312
.LBB6_1317:                             ;   in Loop: Header=BB6_1249 Depth=2
	s_or_b32 exec_lo, exec_lo, s30
	s_and_saveexec_b32 vcc_lo, s31
	s_delay_alu instid0(SALU_CYCLE_1)
	s_xor_b32 vcc_lo, exec_lo, vcc_lo
	s_cbranch_execz .LBB6_1319
; %bb.1318:                             ;   in Loop: Header=BB6_1249 Depth=2
	ds_store_b32 v0, v182
	s_cbranch_execnz .LBB6_3955
.LBB6_1319:                             ;   in Loop: Header=BB6_1249 Depth=2
	s_or_b32 exec_lo, exec_lo, s16
	;;#ASMSTART
	s_wakeup
	;;#ASMEND
.LBB6_1320:                             ;   in Loop: Header=BB6_1249 Depth=2
	s_or_b32 exec_lo, exec_lo, s15
.LBB6_1321:                             ;   in Loop: Header=BB6_1249 Depth=2
	s_and_not1_saveexec_b32 s14, s14
	s_cbranch_execz .LBB6_1323
; %bb.1322:                             ;   in Loop: Header=BB6_1249 Depth=2
	s_waitcnt lgkmcnt(0)
	s_waitcnt_vscnt null, 0x0
	buffer_gl1_inv
	buffer_gl0_inv
	s_barrier
.LBB6_1323:                             ;   in Loop: Header=BB6_1249 Depth=2
	s_or_b32 exec_lo, exec_lo, s14
.LBB6_1324:                             ;   in Loop: Header=BB6_1249 Depth=2
	s_delay_alu instid0(SALU_CYCLE_1)
	s_or_b32 exec_lo, exec_lo, s13
	s_cbranch_execnz .LBB6_3581
; %bb.1325:                             ;   in Loop: Header=BB6_1249 Depth=2
	ds_load_b64 v[9:10], v0
	v_mov_b32_e32 v103, 0
	s_waitcnt lgkmcnt(0)
	v_cmp_eq_u64_e32 vcc_lo, 0, v[9:10]
	s_or_b32 s13, vcc_lo, vcc_lo
	s_delay_alu instid0(SALU_CYCLE_1)
	s_and_b32 vcc_lo, exec_lo, s13
	s_cbranch_vccnz .LBB6_2768
; %bb.1326:                             ;   in Loop: Header=BB6_1249 Depth=2
	v_cmp_eq_u32_e32 vcc_lo, 0, v8
	s_cbranch_execnz .LBB6_3643
; %bb.1327:                             ;   in Loop: Header=BB6_1249 Depth=2
	ds_load_b64 v[8:9], v0
	v_cndmask_b32_e32 v103, 0, v102, vcc_lo
	s_mov_b32 s13, -1
	s_delay_alu instid0(VALU_DEP_1)
	v_lshlrev_b32_e32 v2, 1, v103
	s_waitcnt lgkmcnt(0)
	v_cmp_ne_u64_e32 vcc_lo, 0, v[8:9]
	v_readfirstlane_b32 s30, v8
	s_cbranch_vccz .LBB6_2049
; %bb.1328:                             ;   in Loop: Header=BB6_1249 Depth=2
	s_and_saveexec_b32 s14, s12
	s_cbranch_execz .LBB6_1330
; %bb.1329:                             ;   in Loop: Header=BB6_1249 Depth=2
	ds_load_b32 v8, v0 offset:720
	s_waitcnt lgkmcnt(0)
	v_and_b32_e32 v8, 15, v8
	s_delay_alu instid0(VALU_DEP_1)
	v_cmp_eq_u32_e32 vcc_lo, 0, v8
	s_or_not1_b32 s13, vcc_lo, exec_lo
.LBB6_1330:                             ;   in Loop: Header=BB6_1249 Depth=2
	s_or_b32 exec_lo, exec_lo, s14
	s_and_saveexec_b32 s14, s12
	s_cbranch_execz .LBB6_1332
; %bb.1331:                             ;   in Loop: Header=BB6_1249 Depth=2
	ds_load_b32 v8, v0 offset:784
	s_waitcnt lgkmcnt(0)
	v_and_b32_e32 v8, 15, v8
	s_delay_alu instid0(VALU_DEP_1) | instskip(SKIP_3) | instid1(SALU_CYCLE_1)
	v_cmp_eq_u32_e32 vcc_lo, 0, v8
	s_and_b32 s15, s13, vcc_lo
	s_and_not1_b32 s13, s13, exec_lo
	s_and_b32 s15, s15, exec_lo
	s_or_b32 s13, s13, s15
.LBB6_1332:                             ;   in Loop: Header=BB6_1249 Depth=2
	s_or_b32 exec_lo, exec_lo, s14
	s_xor_b32 s13, s13, -1
	v_dual_mov_b32 v16, 0 :: v_dual_mov_b32 v17, v2
	v_cndmask_b32_e64 v8, 0, 1, s13
	;;#ASMSTART
	;;#ASMEND
	s_delay_alu instid0(VALU_DEP_1)
	v_cmp_ne_u32_e32 vcc_lo, 0, v8
	v_mov_b32_e32 v18, v0
	v_mov_b32_e32 v8, v135
	s_mov_b32 s13, -1
	s_cbranch_vccnz .LBB6_1830
; %bb.1333:                             ;   in Loop: Header=BB6_1249 Depth=2
	v_ashrrev_i32_e32 v8, 31, v2
	s_mov_b32 s16, exec_lo
	s_delay_alu instid0(VALU_DEP_1) | instskip(NEXT) | instid1(VALU_DEP_1)
	v_lshrrev_b32_e32 v8, 21, v8
	v_add_nc_u32_e32 v8, v2, v8
	s_delay_alu instid0(VALU_DEP_1) | instskip(NEXT) | instid1(VALU_DEP_1)
	v_ashrrev_i32_e32 v40, 11, v8
	v_sub_nc_u32_e32 v113, v40, v135
	s_delay_alu instid0(VALU_DEP_1)
	v_cmpx_lt_i32_e32 0, v113
	s_cbranch_execz .LBB6_1722
; %bb.1334:                             ;   in Loop: Header=BB6_1249 Depth=2
	s_cbranch_execnz .LBB6_3809
; %bb.1335:                             ;   in Loop: Header=BB6_1249 Depth=2
	ds_load_b128 v[8:11], v0
	s_bitcmp1_b32 s30, 0
	s_mov_b32 s31, 0
	s_cselect_b32 s34, -1, 0
	s_waitcnt lgkmcnt(0)
	v_add_co_u32 v116, vcc_lo, v8, v178
	v_add_co_ci_u32_e32 v117, vcc_lo, v9, v179, vcc_lo
	v_add_co_u32 v118, vcc_lo, v10, v178
	v_add_co_ci_u32_e32 v119, vcc_lo, v11, v179, vcc_lo
	s_delay_alu instid0(VALU_DEP_3) | instskip(NEXT) | instid1(VALU_DEP_2)
	v_dual_mov_b32 v129, v117 :: v_dual_mov_b32 v128, v116
	v_dual_mov_b32 v131, v119 :: v_dual_mov_b32 v130, v118
	s_branch .LBB6_1339
.LBB6_1336:                             ;   in Loop: Header=BB6_1339 Depth=3
	s_or_b32 exec_lo, exec_lo, s35
	s_delay_alu instid0(VALU_DEP_1)
	v_mov_b32_e32 v44, v42
.LBB6_1337:                             ;   in Loop: Header=BB6_1339 Depth=3
	s_or_b32 exec_lo, exec_lo, s15
	s_delay_alu instid0(VALU_DEP_1)
	v_mov_b32_e32 v11, v44
.LBB6_1338:                             ;   in Loop: Header=BB6_1339 Depth=3
	v_lshlrev_b32_e32 v15, 16, v20
	v_and_b32_e32 v17, 0xffff, v17
	v_lshlrev_b32_e32 v16, 16, v16
	v_and_b32_e32 v20, 0xffff, v35
	;; [unrolled: 2-line block ×3, first 2 shown]
	v_and_b32_e32 v25, 0xffff, v25
	v_lshlrev_b32_e32 v8, 16, v8
	v_or_b32_e32 v20, v16, v20
	v_or3_b32 v16, v15, v17, 0
	v_or_b32_e32 v17, v18, v21
	v_lshlrev_b32_e32 v18, 16, v19
	v_and_b32_e32 v19, 0xffff, v22
	v_lshlrev_b32_e32 v21, 16, v32
	v_lshlrev_b32_e32 v22, 16, v24
	v_and_b32_e32 v24, 0xffff, v51
	v_or3_b32 v15, 0, 0, v20
	v_or3_b32 v18, v18, v19, 0
	;; [unrolled: 1-line block ×3, first 2 shown]
	v_lshlrev_b32_e32 v21, 16, v26
	v_or_b32_e32 v19, v22, v24
	v_and_b32_e32 v22, 0xffff, v33
	v_lshlrev_b32_e32 v24, 16, v27
	v_and_b32_e32 v25, 0xffff, v34
	v_lshlrev_b32_e32 v26, 16, v36
	v_and_b32_e32 v27, 0xffff, v41
	v_or_b32_e32 v21, v21, v22
	v_and_b32_e32 v32, 0xffff, v49
	v_or3_b32 v22, v24, v25, 0
	v_lshlrev_b32_e32 v24, 16, v48
	v_and_b32_e32 v25, 0xffff, v37
	v_or_b32_e32 v26, v26, v27
	v_lshlrev_b32_e32 v27, 16, v50
	v_and_b32_e32 v23, 0xffff, v23
	v_lshlrev_b32_e32 v10, 16, v10
	v_and_b32_e32 v13, 0xffff, v13
	v_lshlrev_b32_e32 v33, 16, v39
	v_and_b32_e32 v34, 0xffff, v38
	v_or3_b32 v25, v24, v25, 0
	v_or3_b32 v24, 0, 0, v26
	v_or_b32_e32 v26, v27, v32
	v_lshlrev_b32_e32 v12, 16, v12
	v_and_b32_e32 v9, 0xffff, v9
	v_or_b32_e32 v8, v8, v23
	v_lshlrev_b32_e32 v11, 16, v11
	v_and_b32_e32 v14, 0xffff, v14
	v_or_b32_e32 v10, v10, v13
	v_add_co_u32 v116, vcc_lo, v116, v180
	v_or3_b32 v27, v33, v34, 0
	v_or3_b32 v26, 0, 0, v26
	;; [unrolled: 1-line block ×4, first 2 shown]
	v_add_co_ci_u32_e32 v117, vcc_lo, v117, v181, vcc_lo
	v_or3_b32 v17, 0, 0, v17
	v_add_co_u32 v118, vcc_lo, v118, v180
	v_or3_b32 v9, v12, v9, 0
	v_or3_b32 v8, 0, 0, v8
	;; [unrolled: 1-line block ×4, first 2 shown]
	v_sub_nc_u32_e32 v113, v113, v145
	v_add_co_ci_u32_e32 v119, vcc_lo, v119, v181, vcc_lo
	s_clause 0x3
	global_store_b128 v[128:129], v[24:27], off glc slc dlc
	global_store_b128 v[128:129], v[19:22], off offset:512 glc slc dlc
	global_store_b128 v[128:129], v[15:18], off offset:1024 glc slc dlc
	;; [unrolled: 1-line block ×3, first 2 shown]
	s_clause 0x3
	global_store_b128 v[130:131], v[24:27], off glc slc dlc
	global_store_b128 v[130:131], v[19:22], off offset:512 glc slc dlc
	global_store_b128 v[130:131], v[15:18], off offset:1024 glc slc dlc
	;; [unrolled: 1-line block ×3, first 2 shown]
	v_add_co_u32 v128, vcc_lo, v128, v180
	v_add_co_ci_u32_e32 v129, vcc_lo, v129, v181, vcc_lo
	v_cmp_gt_i32_e32 vcc_lo, 1, v113
	v_add_co_u32 v130, s13, v130, v180
	s_delay_alu instid0(VALU_DEP_1) | instskip(SKIP_1) | instid1(SALU_CYCLE_1)
	v_add_co_ci_u32_e64 v131, s13, v131, v181, s13
	s_or_b32 s31, vcc_lo, s31
	s_and_not1_b32 exec_lo, exec_lo, s31
	s_cbranch_execz .LBB6_1721
.LBB6_1339:                             ;   Parent Loop BB6_51 Depth=1
                                        ;     Parent Loop BB6_1249 Depth=2
                                        ; =>    This Inner Loop Header: Depth=3
	global_load_b128 v[48:51], v[116:117], off slc dlc
	global_load_b128 v[36:39], v[118:119], off slc dlc
	s_clause 0x2
	global_load_b128 v[32:35], v[116:117], off offset:512 slc dlc
	global_load_b128 v[20:23], v[116:117], off offset:1024 slc dlc
	;; [unrolled: 1-line block ×3, first 2 shown]
	s_clause 0x2
	global_load_b128 v[24:27], v[118:119], off offset:512 slc dlc
	global_load_b128 v[16:19], v[118:119], off offset:1024 slc dlc
	;; [unrolled: 1-line block ×3, first 2 shown]
	s_mov_b32 s15, -1
	s_and_b32 vcc_lo, exec_lo, s34
	s_waitcnt vmcnt(7)
	v_and_b32_e32 v41, 0x7fff, v48
	s_waitcnt vmcnt(6)
	v_and_b32_e32 v42, 0x7fff, v36
	v_perm_b32 v43, v36, v48, 0x5040100
	s_delay_alu instid0(VALU_DEP_3) | instskip(NEXT) | instid1(VALU_DEP_3)
	v_cmp_lt_u16_e64 s13, 0x7c00, v41
	v_cmp_gt_u16_e64 s14, 0x7c01, v42
                                        ; implicit-def: $vgpr41
	s_delay_alu instid0(VALU_DEP_1) | instskip(NEXT) | instid1(SALU_CYCLE_1)
	s_and_b32 s35, s13, s14
	s_xor_b32 s35, s35, -1
	s_cbranch_vccz .LBB6_1345
; %bb.1340:                             ;   in Loop: Header=BB6_1339 Depth=3
	v_mov_b32_e32 v41, v36
	s_and_saveexec_b32 s36, s35
	s_cbranch_execz .LBB6_1344
; %bb.1341:                             ;   in Loop: Header=BB6_1339 Depth=3
	v_mov_b32_e32 v41, v48
	s_or_b32 s15, s13, s14
	s_delay_alu instid0(SALU_CYCLE_1)
	s_and_saveexec_b32 s37, s15
; %bb.1342:                             ;   in Loop: Header=BB6_1339 Depth=3
	v_lshrrev_b32_e32 v41, 16, v43
	v_cmp_lt_u16_e32 vcc_lo, 0x7c00, v42
	s_delay_alu instid0(VALU_DEP_2) | instskip(NEXT) | instid1(VALU_DEP_1)
	v_cmp_gt_f16_e64 s15, v43, v41
	v_cndmask_b32_e64 v41, v41, v43, s15
	s_and_b32 s15, s13, vcc_lo
	s_delay_alu instid0(VALU_DEP_1) | instid1(SALU_CYCLE_1)
	v_cndmask_b32_e64 v41, v41, 0x7fff, s15
; %bb.1343:                             ;   in Loop: Header=BB6_1339 Depth=3
	s_or_b32 exec_lo, exec_lo, s37
.LBB6_1344:                             ;   in Loop: Header=BB6_1339 Depth=3
	s_delay_alu instid0(SALU_CYCLE_1)
	s_or_b32 exec_lo, exec_lo, s36
	s_mov_b32 s15, 0
.LBB6_1345:                             ;   in Loop: Header=BB6_1339 Depth=3
	s_delay_alu instid0(SALU_CYCLE_1)
	s_and_not1_b32 vcc_lo, exec_lo, s15
	s_cbranch_vccnz .LBB6_1351
; %bb.1346:                             ;   in Loop: Header=BB6_1339 Depth=3
	v_mov_b32_e32 v41, v36
	s_and_saveexec_b32 s15, s35
	s_cbranch_execz .LBB6_1350
; %bb.1347:                             ;   in Loop: Header=BB6_1339 Depth=3
	v_mov_b32_e32 v41, v48
	s_or_b32 s14, s13, s14
	s_delay_alu instid0(SALU_CYCLE_1)
	s_and_saveexec_b32 s35, s14
; %bb.1348:                             ;   in Loop: Header=BB6_1339 Depth=3
	v_lshrrev_b32_e32 v41, 16, v43
	v_cmp_lt_u16_e32 vcc_lo, 0x7c00, v42
	s_delay_alu instid0(VALU_DEP_2) | instskip(SKIP_1) | instid1(VALU_DEP_1)
	v_cmp_gt_f16_e64 s14, v43, v41
	s_and_b32 s13, s13, vcc_lo
	v_cndmask_b32_e64 v41, v43, v41, s14
	s_delay_alu instid0(VALU_DEP_1)
	v_cndmask_b32_e64 v41, v41, 0x7fff, s13
; %bb.1349:                             ;   in Loop: Header=BB6_1339 Depth=3
	s_or_b32 exec_lo, exec_lo, s35
.LBB6_1350:                             ;   in Loop: Header=BB6_1339 Depth=3
	s_delay_alu instid0(SALU_CYCLE_1)
	s_or_b32 exec_lo, exec_lo, s15
.LBB6_1351:                             ;   in Loop: Header=BB6_1339 Depth=3
	v_mov_b32_e32 v45, v48
	v_mov_b32_e32 v46, v36
	;; [unrolled: 1-line block ×4, first 2 shown]
	s_mov_b32 s15, -1
	v_lshrrev_b32_e32 v42, 16, v45
	v_lshrrev_b32_e32 v44, 16, v46
	s_and_b32 vcc_lo, exec_lo, s34
	s_delay_alu instid0(VALU_DEP_2) | instskip(NEXT) | instid1(VALU_DEP_2)
	v_and_b32_e32 v36, 0x7fff, v42
	v_and_b32_e32 v43, 0x7fff, v44
	v_perm_b32 v37, v46, v45, 0x7060302
	s_delay_alu instid0(VALU_DEP_3) | instskip(NEXT) | instid1(VALU_DEP_3)
	v_cmp_lt_u16_e64 s13, 0x7c00, v36
	v_cmp_gt_u16_e64 s14, 0x7c01, v43
                                        ; implicit-def: $vgpr36
	s_delay_alu instid0(VALU_DEP_1) | instskip(NEXT) | instid1(SALU_CYCLE_1)
	s_and_b32 s35, s13, s14
	s_xor_b32 s35, s35, -1
	s_cbranch_vccz .LBB6_1357
; %bb.1352:                             ;   in Loop: Header=BB6_1339 Depth=3
	v_mov_b32_e32 v36, v44
	s_and_saveexec_b32 s36, s35
	s_cbranch_execz .LBB6_1356
; %bb.1353:                             ;   in Loop: Header=BB6_1339 Depth=3
	v_mov_b32_e32 v36, v42
	s_or_b32 s15, s13, s14
	s_delay_alu instid0(SALU_CYCLE_1)
	s_and_saveexec_b32 s37, s15
; %bb.1354:                             ;   in Loop: Header=BB6_1339 Depth=3
	v_lshrrev_b32_e32 v36, 16, v37
	v_cmp_lt_u16_e32 vcc_lo, 0x7c00, v43
	s_delay_alu instid0(VALU_DEP_2) | instskip(NEXT) | instid1(VALU_DEP_1)
	v_cmp_gt_f16_e64 s15, v37, v36
	v_cndmask_b32_e64 v36, v36, v37, s15
	s_and_b32 s15, s13, vcc_lo
	s_delay_alu instid0(VALU_DEP_1) | instid1(SALU_CYCLE_1)
	v_cndmask_b32_e64 v36, v36, 0x7fff, s15
; %bb.1355:                             ;   in Loop: Header=BB6_1339 Depth=3
	s_or_b32 exec_lo, exec_lo, s37
.LBB6_1356:                             ;   in Loop: Header=BB6_1339 Depth=3
	s_delay_alu instid0(SALU_CYCLE_1)
	s_or_b32 exec_lo, exec_lo, s36
	s_mov_b32 s15, 0
.LBB6_1357:                             ;   in Loop: Header=BB6_1339 Depth=3
	s_delay_alu instid0(SALU_CYCLE_1)
	s_and_not1_b32 vcc_lo, exec_lo, s15
	s_cbranch_vccnz .LBB6_1363
; %bb.1358:                             ;   in Loop: Header=BB6_1339 Depth=3
	s_and_saveexec_b32 s15, s35
	s_cbranch_execz .LBB6_1362
; %bb.1359:                             ;   in Loop: Header=BB6_1339 Depth=3
	s_or_b32 s14, s13, s14
	s_delay_alu instid0(SALU_CYCLE_1)
	s_and_saveexec_b32 s35, s14
; %bb.1360:                             ;   in Loop: Header=BB6_1339 Depth=3
	v_lshrrev_b32_e32 v36, 16, v37
	v_cmp_lt_u16_e32 vcc_lo, 0x7c00, v43
	s_delay_alu instid0(VALU_DEP_2) | instskip(SKIP_1) | instid1(VALU_DEP_1)
	v_cmp_gt_f16_e64 s14, v37, v36
	s_and_b32 s13, s13, vcc_lo
	v_cndmask_b32_e64 v36, v37, v36, s14
	s_delay_alu instid0(VALU_DEP_1)
	v_cndmask_b32_e64 v42, v36, 0x7fff, s13
; %bb.1361:                             ;   in Loop: Header=BB6_1339 Depth=3
	s_or_b32 exec_lo, exec_lo, s35
	s_delay_alu instid0(VALU_DEP_1)
	v_mov_b32_e32 v44, v42
.LBB6_1362:                             ;   in Loop: Header=BB6_1339 Depth=3
	s_or_b32 exec_lo, exec_lo, s15
	s_delay_alu instid0(VALU_DEP_1)
	v_mov_b32_e32 v36, v44
.LBB6_1363:                             ;   in Loop: Header=BB6_1339 Depth=3
	v_and_b32_e32 v37, 0x7fff, v48
	v_and_b32_e32 v42, 0x7fff, v49
	v_perm_b32 v43, v49, v48, 0x5040100
	s_mov_b32 s15, -1
	s_and_b32 vcc_lo, exec_lo, s34
	v_cmp_lt_u16_e64 s13, 0x7c00, v37
	v_cmp_gt_u16_e64 s14, 0x7c01, v42
                                        ; implicit-def: $vgpr37
	s_delay_alu instid0(VALU_DEP_1) | instskip(NEXT) | instid1(SALU_CYCLE_1)
	s_and_b32 s35, s13, s14
	s_xor_b32 s35, s35, -1
	s_cbranch_vccz .LBB6_1369
; %bb.1364:                             ;   in Loop: Header=BB6_1339 Depth=3
	v_mov_b32_e32 v37, v49
	s_and_saveexec_b32 s36, s35
	s_cbranch_execz .LBB6_1368
; %bb.1365:                             ;   in Loop: Header=BB6_1339 Depth=3
	v_mov_b32_e32 v37, v48
	s_or_b32 s15, s13, s14
	s_delay_alu instid0(SALU_CYCLE_1)
	s_and_saveexec_b32 s37, s15
; %bb.1366:                             ;   in Loop: Header=BB6_1339 Depth=3
	v_lshrrev_b32_e32 v37, 16, v43
	v_cmp_lt_u16_e32 vcc_lo, 0x7c00, v42
	s_delay_alu instid0(VALU_DEP_2) | instskip(NEXT) | instid1(VALU_DEP_1)
	v_cmp_gt_f16_e64 s15, v43, v37
	v_cndmask_b32_e64 v37, v37, v43, s15
	s_and_b32 s15, s13, vcc_lo
	s_delay_alu instid0(VALU_DEP_1) | instid1(SALU_CYCLE_1)
	v_cndmask_b32_e64 v37, v37, 0x7fff, s15
; %bb.1367:                             ;   in Loop: Header=BB6_1339 Depth=3
	s_or_b32 exec_lo, exec_lo, s37
.LBB6_1368:                             ;   in Loop: Header=BB6_1339 Depth=3
	s_delay_alu instid0(SALU_CYCLE_1)
	s_or_b32 exec_lo, exec_lo, s36
	s_mov_b32 s15, 0
.LBB6_1369:                             ;   in Loop: Header=BB6_1339 Depth=3
	s_delay_alu instid0(SALU_CYCLE_1)
	s_and_not1_b32 vcc_lo, exec_lo, s15
	s_cbranch_vccnz .LBB6_1375
; %bb.1370:                             ;   in Loop: Header=BB6_1339 Depth=3
	v_mov_b32_e32 v37, v49
	s_and_saveexec_b32 s15, s35
	s_cbranch_execz .LBB6_1374
; %bb.1371:                             ;   in Loop: Header=BB6_1339 Depth=3
	v_mov_b32_e32 v37, v48
	s_or_b32 s14, s13, s14
	s_delay_alu instid0(SALU_CYCLE_1)
	s_and_saveexec_b32 s35, s14
; %bb.1372:                             ;   in Loop: Header=BB6_1339 Depth=3
	v_lshrrev_b32_e32 v37, 16, v43
	v_cmp_lt_u16_e32 vcc_lo, 0x7c00, v42
	s_delay_alu instid0(VALU_DEP_2) | instskip(SKIP_1) | instid1(VALU_DEP_1)
	v_cmp_gt_f16_e64 s14, v43, v37
	s_and_b32 s13, s13, vcc_lo
	v_cndmask_b32_e64 v37, v43, v37, s14
	s_delay_alu instid0(VALU_DEP_1)
	v_cndmask_b32_e64 v37, v37, 0x7fff, s13
; %bb.1373:                             ;   in Loop: Header=BB6_1339 Depth=3
	s_or_b32 exec_lo, exec_lo, s35
.LBB6_1374:                             ;   in Loop: Header=BB6_1339 Depth=3
	s_delay_alu instid0(SALU_CYCLE_1)
	s_or_b32 exec_lo, exec_lo, s15
.LBB6_1375:                             ;   in Loop: Header=BB6_1339 Depth=3
	v_lshrrev_b32_e32 v42, 16, v48
	v_lshrrev_b32_e32 v44, 16, v49
	v_perm_b32 v49, v49, v48, 0x7060302
	s_mov_b32 s15, -1
	s_and_b32 vcc_lo, exec_lo, s34
	v_and_b32_e32 v45, 0x7fff, v42
	v_and_b32_e32 v43, 0x7fff, v44
                                        ; implicit-def: $vgpr48
	s_delay_alu instid0(VALU_DEP_2) | instskip(NEXT) | instid1(VALU_DEP_2)
	v_cmp_lt_u16_e64 s13, 0x7c00, v45
	v_cmp_gt_u16_e64 s14, 0x7c01, v43
	s_delay_alu instid0(VALU_DEP_1) | instskip(NEXT) | instid1(SALU_CYCLE_1)
	s_and_b32 s35, s13, s14
	s_xor_b32 s35, s35, -1
	s_cbranch_vccz .LBB6_1381
; %bb.1376:                             ;   in Loop: Header=BB6_1339 Depth=3
	v_mov_b32_e32 v48, v44
	s_and_saveexec_b32 s36, s35
	s_cbranch_execz .LBB6_1380
; %bb.1377:                             ;   in Loop: Header=BB6_1339 Depth=3
	v_mov_b32_e32 v48, v42
	s_or_b32 s15, s13, s14
	s_delay_alu instid0(SALU_CYCLE_1)
	s_and_saveexec_b32 s37, s15
; %bb.1378:                             ;   in Loop: Header=BB6_1339 Depth=3
	v_lshrrev_b32_e32 v48, 16, v49
	v_cmp_lt_u16_e32 vcc_lo, 0x7c00, v43
	s_delay_alu instid0(VALU_DEP_2) | instskip(NEXT) | instid1(VALU_DEP_1)
	v_cmp_gt_f16_e64 s15, v49, v48
	v_cndmask_b32_e64 v48, v48, v49, s15
	s_and_b32 s15, s13, vcc_lo
	s_delay_alu instid0(VALU_DEP_1) | instid1(SALU_CYCLE_1)
	v_cndmask_b32_e64 v48, v48, 0x7fff, s15
; %bb.1379:                             ;   in Loop: Header=BB6_1339 Depth=3
	s_or_b32 exec_lo, exec_lo, s37
.LBB6_1380:                             ;   in Loop: Header=BB6_1339 Depth=3
	s_delay_alu instid0(SALU_CYCLE_1)
	s_or_b32 exec_lo, exec_lo, s36
	s_mov_b32 s15, 0
.LBB6_1381:                             ;   in Loop: Header=BB6_1339 Depth=3
	s_delay_alu instid0(SALU_CYCLE_1)
	s_and_not1_b32 vcc_lo, exec_lo, s15
	s_cbranch_vccnz .LBB6_1387
; %bb.1382:                             ;   in Loop: Header=BB6_1339 Depth=3
	s_and_saveexec_b32 s15, s35
	s_cbranch_execz .LBB6_1386
; %bb.1383:                             ;   in Loop: Header=BB6_1339 Depth=3
	s_or_b32 s14, s13, s14
	s_delay_alu instid0(SALU_CYCLE_1)
	s_and_saveexec_b32 s35, s14
; %bb.1384:                             ;   in Loop: Header=BB6_1339 Depth=3
	v_lshrrev_b32_e32 v48, 16, v49
	v_cmp_lt_u16_e32 vcc_lo, 0x7c00, v43
	s_delay_alu instid0(VALU_DEP_2) | instskip(SKIP_1) | instid1(VALU_DEP_1)
	v_cmp_gt_f16_e64 s14, v49, v48
	s_and_b32 s13, s13, vcc_lo
	v_cndmask_b32_e64 v48, v49, v48, s14
	s_delay_alu instid0(VALU_DEP_1)
	v_cndmask_b32_e64 v42, v48, 0x7fff, s13
; %bb.1385:                             ;   in Loop: Header=BB6_1339 Depth=3
	s_or_b32 exec_lo, exec_lo, s35
	s_delay_alu instid0(VALU_DEP_1)
	v_mov_b32_e32 v44, v42
.LBB6_1386:                             ;   in Loop: Header=BB6_1339 Depth=3
	s_or_b32 exec_lo, exec_lo, s15
	s_delay_alu instid0(VALU_DEP_1)
	v_mov_b32_e32 v48, v44
.LBB6_1387:                             ;   in Loop: Header=BB6_1339 Depth=3
	v_and_b32_e32 v49, 0x7fff, v50
	v_and_b32_e32 v42, 0x7fff, v38
	v_perm_b32 v43, v38, v50, 0x5040100
	s_mov_b32 s15, -1
	s_and_b32 vcc_lo, exec_lo, s34
	v_cmp_lt_u16_e64 s13, 0x7c00, v49
	v_cmp_gt_u16_e64 s14, 0x7c01, v42
                                        ; implicit-def: $vgpr49
	s_delay_alu instid0(VALU_DEP_1) | instskip(NEXT) | instid1(SALU_CYCLE_1)
	s_and_b32 s35, s13, s14
	s_xor_b32 s35, s35, -1
	s_cbranch_vccz .LBB6_1393
; %bb.1388:                             ;   in Loop: Header=BB6_1339 Depth=3
	v_mov_b32_e32 v49, v38
	s_and_saveexec_b32 s36, s35
	s_cbranch_execz .LBB6_1392
; %bb.1389:                             ;   in Loop: Header=BB6_1339 Depth=3
	v_mov_b32_e32 v49, v50
	s_or_b32 s15, s13, s14
	s_delay_alu instid0(SALU_CYCLE_1)
	s_and_saveexec_b32 s37, s15
; %bb.1390:                             ;   in Loop: Header=BB6_1339 Depth=3
	v_lshrrev_b32_e32 v49, 16, v43
	v_cmp_lt_u16_e32 vcc_lo, 0x7c00, v42
	s_delay_alu instid0(VALU_DEP_2) | instskip(NEXT) | instid1(VALU_DEP_1)
	v_cmp_gt_f16_e64 s15, v43, v49
	v_cndmask_b32_e64 v49, v49, v43, s15
	s_and_b32 s15, s13, vcc_lo
	s_delay_alu instid0(VALU_DEP_1) | instid1(SALU_CYCLE_1)
	v_cndmask_b32_e64 v49, v49, 0x7fff, s15
; %bb.1391:                             ;   in Loop: Header=BB6_1339 Depth=3
	s_or_b32 exec_lo, exec_lo, s37
.LBB6_1392:                             ;   in Loop: Header=BB6_1339 Depth=3
	s_delay_alu instid0(SALU_CYCLE_1)
	s_or_b32 exec_lo, exec_lo, s36
	s_mov_b32 s15, 0
.LBB6_1393:                             ;   in Loop: Header=BB6_1339 Depth=3
	s_delay_alu instid0(SALU_CYCLE_1)
	s_and_not1_b32 vcc_lo, exec_lo, s15
	s_cbranch_vccnz .LBB6_1399
; %bb.1394:                             ;   in Loop: Header=BB6_1339 Depth=3
	v_mov_b32_e32 v49, v38
	s_and_saveexec_b32 s15, s35
	s_cbranch_execz .LBB6_1398
; %bb.1395:                             ;   in Loop: Header=BB6_1339 Depth=3
	v_mov_b32_e32 v49, v50
	s_or_b32 s14, s13, s14
	s_delay_alu instid0(SALU_CYCLE_1)
	s_and_saveexec_b32 s35, s14
; %bb.1396:                             ;   in Loop: Header=BB6_1339 Depth=3
	v_lshrrev_b32_e32 v49, 16, v43
	v_cmp_lt_u16_e32 vcc_lo, 0x7c00, v42
	s_delay_alu instid0(VALU_DEP_2) | instskip(SKIP_1) | instid1(VALU_DEP_1)
	v_cmp_gt_f16_e64 s14, v43, v49
	s_and_b32 s13, s13, vcc_lo
	v_cndmask_b32_e64 v49, v43, v49, s14
	s_delay_alu instid0(VALU_DEP_1)
	v_cndmask_b32_e64 v49, v49, 0x7fff, s13
; %bb.1397:                             ;   in Loop: Header=BB6_1339 Depth=3
	s_or_b32 exec_lo, exec_lo, s35
.LBB6_1398:                             ;   in Loop: Header=BB6_1339 Depth=3
	s_delay_alu instid0(SALU_CYCLE_1)
	s_or_b32 exec_lo, exec_lo, s15
.LBB6_1399:                             ;   in Loop: Header=BB6_1339 Depth=3
	v_mov_b32_e32 v45, v50
	v_lshrrev_b32_e32 v44, 16, v38
	s_mov_b32 s15, -1
	s_and_b32 vcc_lo, exec_lo, s34
	s_delay_alu instid0(VALU_DEP_2) | instskip(NEXT) | instid1(VALU_DEP_2)
	v_lshrrev_b32_e32 v42, 16, v45
	v_and_b32_e32 v43, 0x7fff, v44
	s_delay_alu instid0(VALU_DEP_2) | instskip(NEXT) | instid1(VALU_DEP_2)
	v_and_b32_e32 v50, 0x7fff, v42
	v_cmp_gt_u16_e64 s14, 0x7c01, v43
	v_perm_b32 v38, v38, v45, 0x7060302
	s_delay_alu instid0(VALU_DEP_3) | instskip(NEXT) | instid1(VALU_DEP_1)
	v_cmp_lt_u16_e64 s13, 0x7c00, v50
                                        ; implicit-def: $vgpr50
	s_and_b32 s35, s13, s14
	s_delay_alu instid0(SALU_CYCLE_1)
	s_xor_b32 s35, s35, -1
	s_cbranch_vccz .LBB6_1405
; %bb.1400:                             ;   in Loop: Header=BB6_1339 Depth=3
	v_mov_b32_e32 v50, v44
	s_and_saveexec_b32 s36, s35
	s_cbranch_execz .LBB6_1404
; %bb.1401:                             ;   in Loop: Header=BB6_1339 Depth=3
	v_mov_b32_e32 v50, v42
	s_or_b32 s15, s13, s14
	s_delay_alu instid0(SALU_CYCLE_1)
	s_and_saveexec_b32 s37, s15
; %bb.1402:                             ;   in Loop: Header=BB6_1339 Depth=3
	v_lshrrev_b32_e32 v50, 16, v38
	v_cmp_lt_u16_e32 vcc_lo, 0x7c00, v43
	s_delay_alu instid0(VALU_DEP_2) | instskip(NEXT) | instid1(VALU_DEP_1)
	v_cmp_gt_f16_e64 s15, v38, v50
	v_cndmask_b32_e64 v50, v50, v38, s15
	s_and_b32 s15, s13, vcc_lo
	s_delay_alu instid0(VALU_DEP_1) | instid1(SALU_CYCLE_1)
	v_cndmask_b32_e64 v50, v50, 0x7fff, s15
; %bb.1403:                             ;   in Loop: Header=BB6_1339 Depth=3
	s_or_b32 exec_lo, exec_lo, s37
.LBB6_1404:                             ;   in Loop: Header=BB6_1339 Depth=3
	s_delay_alu instid0(SALU_CYCLE_1)
	s_or_b32 exec_lo, exec_lo, s36
	s_mov_b32 s15, 0
.LBB6_1405:                             ;   in Loop: Header=BB6_1339 Depth=3
	s_delay_alu instid0(SALU_CYCLE_1)
	s_and_not1_b32 vcc_lo, exec_lo, s15
	s_cbranch_vccnz .LBB6_1411
; %bb.1406:                             ;   in Loop: Header=BB6_1339 Depth=3
	s_and_saveexec_b32 s15, s35
	s_cbranch_execz .LBB6_1410
; %bb.1407:                             ;   in Loop: Header=BB6_1339 Depth=3
	s_or_b32 s14, s13, s14
	s_delay_alu instid0(SALU_CYCLE_1)
	s_and_saveexec_b32 s35, s14
; %bb.1408:                             ;   in Loop: Header=BB6_1339 Depth=3
	v_lshrrev_b32_e32 v50, 16, v38
	v_cmp_lt_u16_e32 vcc_lo, 0x7c00, v43
	s_delay_alu instid0(VALU_DEP_2) | instskip(SKIP_1) | instid1(VALU_DEP_1)
	v_cmp_gt_f16_e64 s14, v38, v50
	s_and_b32 s13, s13, vcc_lo
	v_cndmask_b32_e64 v38, v38, v50, s14
	s_delay_alu instid0(VALU_DEP_1)
	v_cndmask_b32_e64 v42, v38, 0x7fff, s13
; %bb.1409:                             ;   in Loop: Header=BB6_1339 Depth=3
	s_or_b32 exec_lo, exec_lo, s35
	s_delay_alu instid0(VALU_DEP_1)
	v_mov_b32_e32 v44, v42
.LBB6_1410:                             ;   in Loop: Header=BB6_1339 Depth=3
	s_or_b32 exec_lo, exec_lo, s15
	s_delay_alu instid0(VALU_DEP_1)
	v_mov_b32_e32 v50, v44
.LBB6_1411:                             ;   in Loop: Header=BB6_1339 Depth=3
	v_and_b32_e32 v38, 0x7fff, v51
	v_and_b32_e32 v42, 0x7fff, v39
	v_perm_b32 v43, v39, v51, 0x5040100
	s_mov_b32 s15, -1
	s_and_b32 vcc_lo, exec_lo, s34
	v_cmp_lt_u16_e64 s13, 0x7c00, v38
	v_cmp_gt_u16_e64 s14, 0x7c01, v42
                                        ; implicit-def: $vgpr38
	s_delay_alu instid0(VALU_DEP_1) | instskip(NEXT) | instid1(SALU_CYCLE_1)
	s_and_b32 s35, s13, s14
	s_xor_b32 s35, s35, -1
	s_cbranch_vccz .LBB6_1417
; %bb.1412:                             ;   in Loop: Header=BB6_1339 Depth=3
	v_mov_b32_e32 v38, v39
	s_and_saveexec_b32 s36, s35
	s_cbranch_execz .LBB6_1416
; %bb.1413:                             ;   in Loop: Header=BB6_1339 Depth=3
	v_mov_b32_e32 v38, v51
	s_or_b32 s15, s13, s14
	s_delay_alu instid0(SALU_CYCLE_1)
	s_and_saveexec_b32 s37, s15
; %bb.1414:                             ;   in Loop: Header=BB6_1339 Depth=3
	v_lshrrev_b32_e32 v38, 16, v43
	v_cmp_lt_u16_e32 vcc_lo, 0x7c00, v42
	s_delay_alu instid0(VALU_DEP_2) | instskip(NEXT) | instid1(VALU_DEP_1)
	v_cmp_gt_f16_e64 s15, v43, v38
	v_cndmask_b32_e64 v38, v38, v43, s15
	s_and_b32 s15, s13, vcc_lo
	s_delay_alu instid0(VALU_DEP_1) | instid1(SALU_CYCLE_1)
	v_cndmask_b32_e64 v38, v38, 0x7fff, s15
; %bb.1415:                             ;   in Loop: Header=BB6_1339 Depth=3
	s_or_b32 exec_lo, exec_lo, s37
.LBB6_1416:                             ;   in Loop: Header=BB6_1339 Depth=3
	s_delay_alu instid0(SALU_CYCLE_1)
	s_or_b32 exec_lo, exec_lo, s36
	s_mov_b32 s15, 0
.LBB6_1417:                             ;   in Loop: Header=BB6_1339 Depth=3
	s_delay_alu instid0(SALU_CYCLE_1)
	s_and_not1_b32 vcc_lo, exec_lo, s15
	s_cbranch_vccnz .LBB6_1423
; %bb.1418:                             ;   in Loop: Header=BB6_1339 Depth=3
	v_mov_b32_e32 v38, v39
	s_and_saveexec_b32 s15, s35
	s_cbranch_execz .LBB6_1422
; %bb.1419:                             ;   in Loop: Header=BB6_1339 Depth=3
	v_mov_b32_e32 v38, v51
	s_or_b32 s14, s13, s14
	s_delay_alu instid0(SALU_CYCLE_1)
	s_and_saveexec_b32 s35, s14
; %bb.1420:                             ;   in Loop: Header=BB6_1339 Depth=3
	v_lshrrev_b32_e32 v38, 16, v43
	v_cmp_lt_u16_e32 vcc_lo, 0x7c00, v42
	s_delay_alu instid0(VALU_DEP_2) | instskip(SKIP_1) | instid1(VALU_DEP_1)
	v_cmp_gt_f16_e64 s14, v43, v38
	s_and_b32 s13, s13, vcc_lo
	v_cndmask_b32_e64 v38, v43, v38, s14
	s_delay_alu instid0(VALU_DEP_1)
	v_cndmask_b32_e64 v38, v38, 0x7fff, s13
; %bb.1421:                             ;   in Loop: Header=BB6_1339 Depth=3
	s_or_b32 exec_lo, exec_lo, s35
.LBB6_1422:                             ;   in Loop: Header=BB6_1339 Depth=3
	s_delay_alu instid0(SALU_CYCLE_1)
	s_or_b32 exec_lo, exec_lo, s15
.LBB6_1423:                             ;   in Loop: Header=BB6_1339 Depth=3
	v_lshrrev_b32_e32 v42, 16, v51
	v_lshrrev_b32_e32 v44, 16, v39
	v_perm_b32 v51, v39, v51, 0x7060302
	s_mov_b32 s15, -1
	s_and_b32 vcc_lo, exec_lo, s34
	v_and_b32_e32 v45, 0x7fff, v42
	v_and_b32_e32 v43, 0x7fff, v44
                                        ; implicit-def: $vgpr39
	s_delay_alu instid0(VALU_DEP_2) | instskip(NEXT) | instid1(VALU_DEP_2)
	v_cmp_lt_u16_e64 s13, 0x7c00, v45
	v_cmp_gt_u16_e64 s14, 0x7c01, v43
	s_delay_alu instid0(VALU_DEP_1) | instskip(NEXT) | instid1(SALU_CYCLE_1)
	s_and_b32 s35, s13, s14
	s_xor_b32 s35, s35, -1
	s_cbranch_vccz .LBB6_1429
; %bb.1424:                             ;   in Loop: Header=BB6_1339 Depth=3
	v_mov_b32_e32 v39, v44
	s_and_saveexec_b32 s36, s35
	s_cbranch_execz .LBB6_1428
; %bb.1425:                             ;   in Loop: Header=BB6_1339 Depth=3
	v_mov_b32_e32 v39, v42
	s_or_b32 s15, s13, s14
	s_delay_alu instid0(SALU_CYCLE_1)
	s_and_saveexec_b32 s37, s15
; %bb.1426:                             ;   in Loop: Header=BB6_1339 Depth=3
	v_lshrrev_b32_e32 v39, 16, v51
	v_cmp_lt_u16_e32 vcc_lo, 0x7c00, v43
	s_delay_alu instid0(VALU_DEP_2) | instskip(NEXT) | instid1(VALU_DEP_1)
	v_cmp_gt_f16_e64 s15, v51, v39
	v_cndmask_b32_e64 v39, v39, v51, s15
	s_and_b32 s15, s13, vcc_lo
	s_delay_alu instid0(VALU_DEP_1) | instid1(SALU_CYCLE_1)
	v_cndmask_b32_e64 v39, v39, 0x7fff, s15
; %bb.1427:                             ;   in Loop: Header=BB6_1339 Depth=3
	s_or_b32 exec_lo, exec_lo, s37
.LBB6_1428:                             ;   in Loop: Header=BB6_1339 Depth=3
	s_delay_alu instid0(SALU_CYCLE_1)
	s_or_b32 exec_lo, exec_lo, s36
	s_mov_b32 s15, 0
.LBB6_1429:                             ;   in Loop: Header=BB6_1339 Depth=3
	s_delay_alu instid0(SALU_CYCLE_1)
	s_and_not1_b32 vcc_lo, exec_lo, s15
	s_cbranch_vccnz .LBB6_1435
; %bb.1430:                             ;   in Loop: Header=BB6_1339 Depth=3
	s_and_saveexec_b32 s15, s35
	s_cbranch_execz .LBB6_1434
; %bb.1431:                             ;   in Loop: Header=BB6_1339 Depth=3
	s_or_b32 s14, s13, s14
	s_delay_alu instid0(SALU_CYCLE_1)
	s_and_saveexec_b32 s35, s14
; %bb.1432:                             ;   in Loop: Header=BB6_1339 Depth=3
	v_lshrrev_b32_e32 v39, 16, v51
	v_cmp_lt_u16_e32 vcc_lo, 0x7c00, v43
	s_delay_alu instid0(VALU_DEP_2) | instskip(SKIP_1) | instid1(VALU_DEP_1)
	v_cmp_gt_f16_e64 s14, v51, v39
	s_and_b32 s13, s13, vcc_lo
	v_cndmask_b32_e64 v39, v51, v39, s14
	s_delay_alu instid0(VALU_DEP_1)
	v_cndmask_b32_e64 v42, v39, 0x7fff, s13
; %bb.1433:                             ;   in Loop: Header=BB6_1339 Depth=3
	s_or_b32 exec_lo, exec_lo, s35
	s_delay_alu instid0(VALU_DEP_1)
	v_mov_b32_e32 v44, v42
.LBB6_1434:                             ;   in Loop: Header=BB6_1339 Depth=3
	s_or_b32 exec_lo, exec_lo, s15
	s_delay_alu instid0(VALU_DEP_1)
	v_mov_b32_e32 v39, v44
.LBB6_1435:                             ;   in Loop: Header=BB6_1339 Depth=3
	s_waitcnt vmcnt(5)
	v_and_b32_e32 v51, 0x7fff, v32
	s_waitcnt vmcnt(2)
	v_and_b32_e32 v42, 0x7fff, v24
	v_perm_b32 v43, v24, v32, 0x5040100
	s_mov_b32 s15, -1
	s_and_not1_b32 vcc_lo, exec_lo, s34
	v_cmp_lt_u16_e64 s13, 0x7c00, v51
	v_cmp_gt_u16_e64 s14, 0x7c01, v42
                                        ; implicit-def: $vgpr51
	s_delay_alu instid0(VALU_DEP_1) | instskip(NEXT) | instid1(SALU_CYCLE_1)
	s_and_b32 s35, s13, s14
	s_xor_b32 s35, s35, -1
	s_cbranch_vccnz .LBB6_1441
; %bb.1436:                             ;   in Loop: Header=BB6_1339 Depth=3
	v_mov_b32_e32 v51, v24
	s_and_saveexec_b32 s36, s35
	s_cbranch_execz .LBB6_1440
; %bb.1437:                             ;   in Loop: Header=BB6_1339 Depth=3
	v_mov_b32_e32 v51, v32
	s_or_b32 s15, s13, s14
	s_delay_alu instid0(SALU_CYCLE_1)
	s_and_saveexec_b32 s37, s15
; %bb.1438:                             ;   in Loop: Header=BB6_1339 Depth=3
	v_lshrrev_b32_e32 v51, 16, v43
	v_cmp_lt_u16_e32 vcc_lo, 0x7c00, v42
	s_delay_alu instid0(VALU_DEP_2) | instskip(NEXT) | instid1(VALU_DEP_1)
	v_cmp_gt_f16_e64 s15, v43, v51
	v_cndmask_b32_e64 v51, v51, v43, s15
	s_and_b32 s15, s13, vcc_lo
	s_delay_alu instid0(VALU_DEP_1) | instid1(SALU_CYCLE_1)
	v_cndmask_b32_e64 v51, v51, 0x7fff, s15
; %bb.1439:                             ;   in Loop: Header=BB6_1339 Depth=3
	s_or_b32 exec_lo, exec_lo, s37
.LBB6_1440:                             ;   in Loop: Header=BB6_1339 Depth=3
	s_delay_alu instid0(SALU_CYCLE_1)
	s_or_b32 exec_lo, exec_lo, s36
	s_mov_b32 s15, 0
.LBB6_1441:                             ;   in Loop: Header=BB6_1339 Depth=3
	s_delay_alu instid0(SALU_CYCLE_1)
	s_and_not1_b32 vcc_lo, exec_lo, s15
	s_cbranch_vccnz .LBB6_1447
; %bb.1442:                             ;   in Loop: Header=BB6_1339 Depth=3
	v_mov_b32_e32 v51, v24
	s_and_saveexec_b32 s15, s35
	s_cbranch_execz .LBB6_1446
; %bb.1443:                             ;   in Loop: Header=BB6_1339 Depth=3
	v_mov_b32_e32 v51, v32
	s_or_b32 s14, s13, s14
	s_delay_alu instid0(SALU_CYCLE_1)
	s_and_saveexec_b32 s35, s14
; %bb.1444:                             ;   in Loop: Header=BB6_1339 Depth=3
	v_lshrrev_b32_e32 v51, 16, v43
	v_cmp_lt_u16_e32 vcc_lo, 0x7c00, v42
	s_delay_alu instid0(VALU_DEP_2) | instskip(SKIP_1) | instid1(VALU_DEP_1)
	v_cmp_gt_f16_e64 s14, v43, v51
	s_and_b32 s13, s13, vcc_lo
	v_cndmask_b32_e64 v51, v43, v51, s14
	s_delay_alu instid0(VALU_DEP_1)
	v_cndmask_b32_e64 v51, v51, 0x7fff, s13
; %bb.1445:                             ;   in Loop: Header=BB6_1339 Depth=3
	s_or_b32 exec_lo, exec_lo, s35
.LBB6_1446:                             ;   in Loop: Header=BB6_1339 Depth=3
	s_delay_alu instid0(SALU_CYCLE_1)
	s_or_b32 exec_lo, exec_lo, s15
.LBB6_1447:                             ;   in Loop: Header=BB6_1339 Depth=3
	v_mov_b32_e32 v45, v32
	v_lshrrev_b32_e32 v44, 16, v24
	s_mov_b32 s15, -1
	s_and_not1_b32 vcc_lo, exec_lo, s34
	s_delay_alu instid0(VALU_DEP_2) | instskip(NEXT) | instid1(VALU_DEP_2)
	v_lshrrev_b32_e32 v42, 16, v45
	v_and_b32_e32 v43, 0x7fff, v44
	s_delay_alu instid0(VALU_DEP_2) | instskip(NEXT) | instid1(VALU_DEP_1)
	v_and_b32_e32 v32, 0x7fff, v42
	v_cmp_lt_u16_e64 s13, 0x7c00, v32
	v_mov_b32_e32 v32, v33
	s_delay_alu instid0(VALU_DEP_4) | instskip(SKIP_2) | instid1(VALU_DEP_3)
	v_cmp_gt_u16_e64 s14, 0x7c01, v43
	v_mov_b32_e32 v33, v25
	v_perm_b32 v25, v24, v45, 0x7060302
                                        ; implicit-def: $vgpr24
	s_and_b32 s35, s13, s14
	s_delay_alu instid0(SALU_CYCLE_1)
	s_xor_b32 s35, s35, -1
	s_cbranch_vccnz .LBB6_1453
; %bb.1448:                             ;   in Loop: Header=BB6_1339 Depth=3
	v_mov_b32_e32 v24, v44
	s_and_saveexec_b32 s36, s35
	s_cbranch_execz .LBB6_1452
; %bb.1449:                             ;   in Loop: Header=BB6_1339 Depth=3
	v_mov_b32_e32 v24, v42
	s_or_b32 s15, s13, s14
	s_delay_alu instid0(SALU_CYCLE_1)
	s_and_saveexec_b32 s37, s15
; %bb.1450:                             ;   in Loop: Header=BB6_1339 Depth=3
	v_lshrrev_b32_e32 v24, 16, v25
	v_cmp_lt_u16_e32 vcc_lo, 0x7c00, v43
	s_delay_alu instid0(VALU_DEP_2) | instskip(NEXT) | instid1(VALU_DEP_1)
	v_cmp_gt_f16_e64 s15, v25, v24
	v_cndmask_b32_e64 v24, v24, v25, s15
	s_and_b32 s15, s13, vcc_lo
	s_delay_alu instid0(VALU_DEP_1) | instid1(SALU_CYCLE_1)
	v_cndmask_b32_e64 v24, v24, 0x7fff, s15
; %bb.1451:                             ;   in Loop: Header=BB6_1339 Depth=3
	s_or_b32 exec_lo, exec_lo, s37
.LBB6_1452:                             ;   in Loop: Header=BB6_1339 Depth=3
	s_delay_alu instid0(SALU_CYCLE_1)
	s_or_b32 exec_lo, exec_lo, s36
	s_mov_b32 s15, 0
.LBB6_1453:                             ;   in Loop: Header=BB6_1339 Depth=3
	s_delay_alu instid0(SALU_CYCLE_1)
	s_and_not1_b32 vcc_lo, exec_lo, s15
	s_cbranch_vccnz .LBB6_1459
; %bb.1454:                             ;   in Loop: Header=BB6_1339 Depth=3
	s_and_saveexec_b32 s15, s35
	s_cbranch_execz .LBB6_1458
; %bb.1455:                             ;   in Loop: Header=BB6_1339 Depth=3
	s_or_b32 s14, s13, s14
	s_delay_alu instid0(SALU_CYCLE_1)
	s_and_saveexec_b32 s35, s14
; %bb.1456:                             ;   in Loop: Header=BB6_1339 Depth=3
	v_lshrrev_b32_e32 v24, 16, v25
	v_cmp_lt_u16_e32 vcc_lo, 0x7c00, v43
	s_delay_alu instid0(VALU_DEP_2) | instskip(SKIP_1) | instid1(VALU_DEP_1)
	v_cmp_gt_f16_e64 s14, v25, v24
	s_and_b32 s13, s13, vcc_lo
	v_cndmask_b32_e64 v24, v25, v24, s14
	s_delay_alu instid0(VALU_DEP_1)
	v_cndmask_b32_e64 v42, v24, 0x7fff, s13
; %bb.1457:                             ;   in Loop: Header=BB6_1339 Depth=3
	s_or_b32 exec_lo, exec_lo, s35
	s_delay_alu instid0(VALU_DEP_1)
	v_mov_b32_e32 v44, v42
.LBB6_1458:                             ;   in Loop: Header=BB6_1339 Depth=3
	s_or_b32 exec_lo, exec_lo, s15
	s_delay_alu instid0(VALU_DEP_1)
	v_mov_b32_e32 v24, v44
.LBB6_1459:                             ;   in Loop: Header=BB6_1339 Depth=3
	v_and_b32_e32 v25, 0x7fff, v32
	v_and_b32_e32 v42, 0x7fff, v33
	v_perm_b32 v43, v33, v32, 0x5040100
	s_mov_b32 s15, -1
	s_and_not1_b32 vcc_lo, exec_lo, s34
	v_cmp_lt_u16_e64 s13, 0x7c00, v25
	v_cmp_gt_u16_e64 s14, 0x7c01, v42
                                        ; implicit-def: $vgpr25
	s_delay_alu instid0(VALU_DEP_1) | instskip(NEXT) | instid1(SALU_CYCLE_1)
	s_and_b32 s35, s13, s14
	s_xor_b32 s35, s35, -1
	s_cbranch_vccnz .LBB6_1465
; %bb.1460:                             ;   in Loop: Header=BB6_1339 Depth=3
	v_mov_b32_e32 v25, v33
	s_and_saveexec_b32 s36, s35
	s_cbranch_execz .LBB6_1464
; %bb.1461:                             ;   in Loop: Header=BB6_1339 Depth=3
	v_mov_b32_e32 v25, v32
	s_or_b32 s15, s13, s14
	s_delay_alu instid0(SALU_CYCLE_1)
	s_and_saveexec_b32 s37, s15
; %bb.1462:                             ;   in Loop: Header=BB6_1339 Depth=3
	v_lshrrev_b32_e32 v25, 16, v43
	v_cmp_lt_u16_e32 vcc_lo, 0x7c00, v42
	s_delay_alu instid0(VALU_DEP_2) | instskip(NEXT) | instid1(VALU_DEP_1)
	v_cmp_gt_f16_e64 s15, v43, v25
	v_cndmask_b32_e64 v25, v25, v43, s15
	s_and_b32 s15, s13, vcc_lo
	s_delay_alu instid0(VALU_DEP_1) | instid1(SALU_CYCLE_1)
	v_cndmask_b32_e64 v25, v25, 0x7fff, s15
; %bb.1463:                             ;   in Loop: Header=BB6_1339 Depth=3
	s_or_b32 exec_lo, exec_lo, s37
.LBB6_1464:                             ;   in Loop: Header=BB6_1339 Depth=3
	s_delay_alu instid0(SALU_CYCLE_1)
	s_or_b32 exec_lo, exec_lo, s36
	s_mov_b32 s15, 0
.LBB6_1465:                             ;   in Loop: Header=BB6_1339 Depth=3
	s_delay_alu instid0(SALU_CYCLE_1)
	s_and_not1_b32 vcc_lo, exec_lo, s15
	s_cbranch_vccnz .LBB6_1471
; %bb.1466:                             ;   in Loop: Header=BB6_1339 Depth=3
	v_mov_b32_e32 v25, v33
	s_and_saveexec_b32 s15, s35
	s_cbranch_execz .LBB6_1470
; %bb.1467:                             ;   in Loop: Header=BB6_1339 Depth=3
	v_mov_b32_e32 v25, v32
	s_or_b32 s14, s13, s14
	s_delay_alu instid0(SALU_CYCLE_1)
	s_and_saveexec_b32 s35, s14
; %bb.1468:                             ;   in Loop: Header=BB6_1339 Depth=3
	v_lshrrev_b32_e32 v25, 16, v43
	v_cmp_lt_u16_e32 vcc_lo, 0x7c00, v42
	s_delay_alu instid0(VALU_DEP_2) | instskip(SKIP_1) | instid1(VALU_DEP_1)
	v_cmp_gt_f16_e64 s14, v43, v25
	s_and_b32 s13, s13, vcc_lo
	v_cndmask_b32_e64 v25, v43, v25, s14
	s_delay_alu instid0(VALU_DEP_1)
	v_cndmask_b32_e64 v25, v25, 0x7fff, s13
; %bb.1469:                             ;   in Loop: Header=BB6_1339 Depth=3
	s_or_b32 exec_lo, exec_lo, s35
.LBB6_1470:                             ;   in Loop: Header=BB6_1339 Depth=3
	s_delay_alu instid0(SALU_CYCLE_1)
	s_or_b32 exec_lo, exec_lo, s15
.LBB6_1471:                             ;   in Loop: Header=BB6_1339 Depth=3
	v_lshrrev_b32_e32 v42, 16, v32
	v_lshrrev_b32_e32 v44, 16, v33
	v_perm_b32 v33, v33, v32, 0x7060302
	s_mov_b32 s15, -1
	s_and_not1_b32 vcc_lo, exec_lo, s34
	v_and_b32_e32 v45, 0x7fff, v42
	v_and_b32_e32 v43, 0x7fff, v44
                                        ; implicit-def: $vgpr32
	s_delay_alu instid0(VALU_DEP_2) | instskip(NEXT) | instid1(VALU_DEP_2)
	v_cmp_lt_u16_e64 s13, 0x7c00, v45
	v_cmp_gt_u16_e64 s14, 0x7c01, v43
	s_delay_alu instid0(VALU_DEP_1) | instskip(NEXT) | instid1(SALU_CYCLE_1)
	s_and_b32 s35, s13, s14
	s_xor_b32 s35, s35, -1
	s_cbranch_vccnz .LBB6_1477
; %bb.1472:                             ;   in Loop: Header=BB6_1339 Depth=3
	v_mov_b32_e32 v32, v44
	s_and_saveexec_b32 s36, s35
	s_cbranch_execz .LBB6_1476
; %bb.1473:                             ;   in Loop: Header=BB6_1339 Depth=3
	v_mov_b32_e32 v32, v42
	s_or_b32 s15, s13, s14
	s_delay_alu instid0(SALU_CYCLE_1)
	s_and_saveexec_b32 s37, s15
; %bb.1474:                             ;   in Loop: Header=BB6_1339 Depth=3
	v_lshrrev_b32_e32 v32, 16, v33
	v_cmp_lt_u16_e32 vcc_lo, 0x7c00, v43
	s_delay_alu instid0(VALU_DEP_2) | instskip(NEXT) | instid1(VALU_DEP_1)
	v_cmp_gt_f16_e64 s15, v33, v32
	v_cndmask_b32_e64 v32, v32, v33, s15
	s_and_b32 s15, s13, vcc_lo
	s_delay_alu instid0(VALU_DEP_1) | instid1(SALU_CYCLE_1)
	v_cndmask_b32_e64 v32, v32, 0x7fff, s15
; %bb.1475:                             ;   in Loop: Header=BB6_1339 Depth=3
	s_or_b32 exec_lo, exec_lo, s37
.LBB6_1476:                             ;   in Loop: Header=BB6_1339 Depth=3
	s_delay_alu instid0(SALU_CYCLE_1)
	s_or_b32 exec_lo, exec_lo, s36
	s_mov_b32 s15, 0
.LBB6_1477:                             ;   in Loop: Header=BB6_1339 Depth=3
	s_delay_alu instid0(SALU_CYCLE_1)
	s_and_not1_b32 vcc_lo, exec_lo, s15
	s_cbranch_vccnz .LBB6_1483
; %bb.1478:                             ;   in Loop: Header=BB6_1339 Depth=3
	s_and_saveexec_b32 s15, s35
	s_cbranch_execz .LBB6_1482
; %bb.1479:                             ;   in Loop: Header=BB6_1339 Depth=3
	s_or_b32 s14, s13, s14
	s_delay_alu instid0(SALU_CYCLE_1)
	s_and_saveexec_b32 s35, s14
; %bb.1480:                             ;   in Loop: Header=BB6_1339 Depth=3
	v_lshrrev_b32_e32 v32, 16, v33
	v_cmp_lt_u16_e32 vcc_lo, 0x7c00, v43
	s_delay_alu instid0(VALU_DEP_2) | instskip(SKIP_1) | instid1(VALU_DEP_1)
	v_cmp_gt_f16_e64 s14, v33, v32
	s_and_b32 s13, s13, vcc_lo
	v_cndmask_b32_e64 v32, v33, v32, s14
	s_delay_alu instid0(VALU_DEP_1)
	v_cndmask_b32_e64 v42, v32, 0x7fff, s13
; %bb.1481:                             ;   in Loop: Header=BB6_1339 Depth=3
	s_or_b32 exec_lo, exec_lo, s35
	s_delay_alu instid0(VALU_DEP_1)
	v_mov_b32_e32 v44, v42
.LBB6_1482:                             ;   in Loop: Header=BB6_1339 Depth=3
	s_or_b32 exec_lo, exec_lo, s15
	s_delay_alu instid0(VALU_DEP_1)
	v_mov_b32_e32 v32, v44
.LBB6_1483:                             ;   in Loop: Header=BB6_1339 Depth=3
	v_and_b32_e32 v33, 0x7fff, v34
	v_and_b32_e32 v42, 0x7fff, v26
	v_perm_b32 v43, v26, v34, 0x5040100
	s_mov_b32 s15, -1
	s_and_not1_b32 vcc_lo, exec_lo, s34
	v_cmp_lt_u16_e64 s13, 0x7c00, v33
	v_cmp_gt_u16_e64 s14, 0x7c01, v42
                                        ; implicit-def: $vgpr33
	s_delay_alu instid0(VALU_DEP_1) | instskip(NEXT) | instid1(SALU_CYCLE_1)
	s_and_b32 s35, s13, s14
	s_xor_b32 s35, s35, -1
	s_cbranch_vccnz .LBB6_1489
; %bb.1484:                             ;   in Loop: Header=BB6_1339 Depth=3
	v_mov_b32_e32 v33, v26
	s_and_saveexec_b32 s36, s35
	s_cbranch_execz .LBB6_1488
; %bb.1485:                             ;   in Loop: Header=BB6_1339 Depth=3
	v_mov_b32_e32 v33, v34
	s_or_b32 s15, s13, s14
	s_delay_alu instid0(SALU_CYCLE_1)
	s_and_saveexec_b32 s37, s15
; %bb.1486:                             ;   in Loop: Header=BB6_1339 Depth=3
	v_lshrrev_b32_e32 v33, 16, v43
	v_cmp_lt_u16_e32 vcc_lo, 0x7c00, v42
	s_delay_alu instid0(VALU_DEP_2) | instskip(NEXT) | instid1(VALU_DEP_1)
	v_cmp_gt_f16_e64 s15, v43, v33
	v_cndmask_b32_e64 v33, v33, v43, s15
	s_and_b32 s15, s13, vcc_lo
	s_delay_alu instid0(VALU_DEP_1) | instid1(SALU_CYCLE_1)
	v_cndmask_b32_e64 v33, v33, 0x7fff, s15
; %bb.1487:                             ;   in Loop: Header=BB6_1339 Depth=3
	s_or_b32 exec_lo, exec_lo, s37
.LBB6_1488:                             ;   in Loop: Header=BB6_1339 Depth=3
	s_delay_alu instid0(SALU_CYCLE_1)
	s_or_b32 exec_lo, exec_lo, s36
	s_mov_b32 s15, 0
.LBB6_1489:                             ;   in Loop: Header=BB6_1339 Depth=3
	s_delay_alu instid0(SALU_CYCLE_1)
	s_and_not1_b32 vcc_lo, exec_lo, s15
	s_cbranch_vccnz .LBB6_1495
; %bb.1490:                             ;   in Loop: Header=BB6_1339 Depth=3
	v_mov_b32_e32 v33, v26
	s_and_saveexec_b32 s15, s35
	s_cbranch_execz .LBB6_1494
; %bb.1491:                             ;   in Loop: Header=BB6_1339 Depth=3
	v_mov_b32_e32 v33, v34
	s_or_b32 s14, s13, s14
	s_delay_alu instid0(SALU_CYCLE_1)
	s_and_saveexec_b32 s35, s14
; %bb.1492:                             ;   in Loop: Header=BB6_1339 Depth=3
	v_lshrrev_b32_e32 v33, 16, v43
	v_cmp_lt_u16_e32 vcc_lo, 0x7c00, v42
	s_delay_alu instid0(VALU_DEP_2) | instskip(SKIP_1) | instid1(VALU_DEP_1)
	v_cmp_gt_f16_e64 s14, v43, v33
	s_and_b32 s13, s13, vcc_lo
	v_cndmask_b32_e64 v33, v43, v33, s14
	s_delay_alu instid0(VALU_DEP_1)
	v_cndmask_b32_e64 v33, v33, 0x7fff, s13
; %bb.1493:                             ;   in Loop: Header=BB6_1339 Depth=3
	s_or_b32 exec_lo, exec_lo, s35
.LBB6_1494:                             ;   in Loop: Header=BB6_1339 Depth=3
	s_delay_alu instid0(SALU_CYCLE_1)
	s_or_b32 exec_lo, exec_lo, s15
.LBB6_1495:                             ;   in Loop: Header=BB6_1339 Depth=3
	v_mov_b32_e32 v44, v34
	v_lshrrev_b32_e32 v43, 16, v26
	s_mov_b32 s15, -1
	s_and_not1_b32 vcc_lo, exec_lo, s34
	s_delay_alu instid0(VALU_DEP_2) | instskip(NEXT) | instid1(VALU_DEP_2)
	v_lshrrev_b32_e32 v34, 16, v44
	v_and_b32_e32 v42, 0x7fff, v43
	s_delay_alu instid0(VALU_DEP_2) | instskip(NEXT) | instid1(VALU_DEP_2)
	v_and_b32_e32 v45, 0x7fff, v34
	v_cmp_gt_u16_e64 s14, 0x7c01, v42
	v_perm_b32 v44, v26, v44, 0x7060302
                                        ; implicit-def: $vgpr26
	s_delay_alu instid0(VALU_DEP_3) | instskip(NEXT) | instid1(VALU_DEP_1)
	v_cmp_lt_u16_e64 s13, 0x7c00, v45
	s_and_b32 s35, s13, s14
	s_delay_alu instid0(SALU_CYCLE_1)
	s_xor_b32 s35, s35, -1
	s_cbranch_vccnz .LBB6_1501
; %bb.1496:                             ;   in Loop: Header=BB6_1339 Depth=3
	v_mov_b32_e32 v26, v43
	s_and_saveexec_b32 s36, s35
	s_cbranch_execz .LBB6_1500
; %bb.1497:                             ;   in Loop: Header=BB6_1339 Depth=3
	v_mov_b32_e32 v26, v34
	s_or_b32 s15, s13, s14
	s_delay_alu instid0(SALU_CYCLE_1)
	s_and_saveexec_b32 s37, s15
; %bb.1498:                             ;   in Loop: Header=BB6_1339 Depth=3
	v_lshrrev_b32_e32 v26, 16, v44
	v_cmp_lt_u16_e32 vcc_lo, 0x7c00, v42
	s_delay_alu instid0(VALU_DEP_2) | instskip(NEXT) | instid1(VALU_DEP_1)
	v_cmp_gt_f16_e64 s15, v44, v26
	v_cndmask_b32_e64 v26, v26, v44, s15
	s_and_b32 s15, s13, vcc_lo
	s_delay_alu instid0(VALU_DEP_1) | instid1(SALU_CYCLE_1)
	v_cndmask_b32_e64 v26, v26, 0x7fff, s15
; %bb.1499:                             ;   in Loop: Header=BB6_1339 Depth=3
	s_or_b32 exec_lo, exec_lo, s37
.LBB6_1500:                             ;   in Loop: Header=BB6_1339 Depth=3
	s_delay_alu instid0(SALU_CYCLE_1)
	s_or_b32 exec_lo, exec_lo, s36
	s_mov_b32 s15, 0
.LBB6_1501:                             ;   in Loop: Header=BB6_1339 Depth=3
	s_delay_alu instid0(SALU_CYCLE_1)
	s_and_not1_b32 vcc_lo, exec_lo, s15
	s_cbranch_vccnz .LBB6_1507
; %bb.1502:                             ;   in Loop: Header=BB6_1339 Depth=3
	s_and_saveexec_b32 s15, s35
	s_cbranch_execz .LBB6_1506
; %bb.1503:                             ;   in Loop: Header=BB6_1339 Depth=3
	s_or_b32 s14, s13, s14
	s_delay_alu instid0(SALU_CYCLE_1)
	s_and_saveexec_b32 s35, s14
; %bb.1504:                             ;   in Loop: Header=BB6_1339 Depth=3
	v_lshrrev_b32_e32 v26, 16, v44
	v_cmp_lt_u16_e32 vcc_lo, 0x7c00, v42
	s_delay_alu instid0(VALU_DEP_2) | instskip(SKIP_1) | instid1(VALU_DEP_1)
	v_cmp_gt_f16_e64 s14, v44, v26
	s_and_b32 s13, s13, vcc_lo
	v_cndmask_b32_e64 v26, v44, v26, s14
	s_delay_alu instid0(VALU_DEP_1)
	v_cndmask_b32_e64 v34, v26, 0x7fff, s13
; %bb.1505:                             ;   in Loop: Header=BB6_1339 Depth=3
	s_or_b32 exec_lo, exec_lo, s35
	s_delay_alu instid0(VALU_DEP_1)
	v_mov_b32_e32 v43, v34
.LBB6_1506:                             ;   in Loop: Header=BB6_1339 Depth=3
	s_or_b32 exec_lo, exec_lo, s15
	s_delay_alu instid0(VALU_DEP_1)
	v_mov_b32_e32 v26, v43
.LBB6_1507:                             ;   in Loop: Header=BB6_1339 Depth=3
	v_and_b32_e32 v34, 0x7fff, v35
	v_and_b32_e32 v42, 0x7fff, v27
	v_perm_b32 v43, v27, v35, 0x5040100
	s_mov_b32 s15, -1
	s_and_not1_b32 vcc_lo, exec_lo, s34
	v_cmp_lt_u16_e64 s13, 0x7c00, v34
	v_cmp_gt_u16_e64 s14, 0x7c01, v42
                                        ; implicit-def: $vgpr34
	s_delay_alu instid0(VALU_DEP_1) | instskip(NEXT) | instid1(SALU_CYCLE_1)
	s_and_b32 s35, s13, s14
	s_xor_b32 s35, s35, -1
	s_cbranch_vccnz .LBB6_1513
; %bb.1508:                             ;   in Loop: Header=BB6_1339 Depth=3
	v_mov_b32_e32 v34, v27
	s_and_saveexec_b32 s36, s35
	s_cbranch_execz .LBB6_1512
; %bb.1509:                             ;   in Loop: Header=BB6_1339 Depth=3
	v_mov_b32_e32 v34, v35
	s_or_b32 s15, s13, s14
	s_delay_alu instid0(SALU_CYCLE_1)
	s_and_saveexec_b32 s37, s15
; %bb.1510:                             ;   in Loop: Header=BB6_1339 Depth=3
	v_lshrrev_b32_e32 v34, 16, v43
	v_cmp_lt_u16_e32 vcc_lo, 0x7c00, v42
	s_delay_alu instid0(VALU_DEP_2) | instskip(NEXT) | instid1(VALU_DEP_1)
	v_cmp_gt_f16_e64 s15, v43, v34
	v_cndmask_b32_e64 v34, v34, v43, s15
	s_and_b32 s15, s13, vcc_lo
	s_delay_alu instid0(VALU_DEP_1) | instid1(SALU_CYCLE_1)
	v_cndmask_b32_e64 v34, v34, 0x7fff, s15
; %bb.1511:                             ;   in Loop: Header=BB6_1339 Depth=3
	s_or_b32 exec_lo, exec_lo, s37
.LBB6_1512:                             ;   in Loop: Header=BB6_1339 Depth=3
	s_delay_alu instid0(SALU_CYCLE_1)
	s_or_b32 exec_lo, exec_lo, s36
	s_mov_b32 s15, 0
.LBB6_1513:                             ;   in Loop: Header=BB6_1339 Depth=3
	s_delay_alu instid0(SALU_CYCLE_1)
	s_and_not1_b32 vcc_lo, exec_lo, s15
	s_cbranch_vccnz .LBB6_1519
; %bb.1514:                             ;   in Loop: Header=BB6_1339 Depth=3
	v_mov_b32_e32 v34, v27
	s_and_saveexec_b32 s15, s35
	s_cbranch_execz .LBB6_1518
; %bb.1515:                             ;   in Loop: Header=BB6_1339 Depth=3
	v_mov_b32_e32 v34, v35
	s_or_b32 s14, s13, s14
	s_delay_alu instid0(SALU_CYCLE_1)
	s_and_saveexec_b32 s35, s14
; %bb.1516:                             ;   in Loop: Header=BB6_1339 Depth=3
	v_lshrrev_b32_e32 v34, 16, v43
	v_cmp_lt_u16_e32 vcc_lo, 0x7c00, v42
	s_delay_alu instid0(VALU_DEP_2) | instskip(SKIP_1) | instid1(VALU_DEP_1)
	v_cmp_gt_f16_e64 s14, v43, v34
	s_and_b32 s13, s13, vcc_lo
	v_cndmask_b32_e64 v34, v43, v34, s14
	s_delay_alu instid0(VALU_DEP_1)
	v_cndmask_b32_e64 v34, v34, 0x7fff, s13
; %bb.1517:                             ;   in Loop: Header=BB6_1339 Depth=3
	s_or_b32 exec_lo, exec_lo, s35
.LBB6_1518:                             ;   in Loop: Header=BB6_1339 Depth=3
	s_delay_alu instid0(SALU_CYCLE_1)
	s_or_b32 exec_lo, exec_lo, s15
.LBB6_1519:                             ;   in Loop: Header=BB6_1339 Depth=3
	v_lshrrev_b32_e32 v42, 16, v35
	v_lshrrev_b32_e32 v44, 16, v27
	v_perm_b32 v35, v27, v35, 0x7060302
	s_mov_b32 s15, -1
	s_and_not1_b32 vcc_lo, exec_lo, s34
	v_and_b32_e32 v45, 0x7fff, v42
	v_and_b32_e32 v43, 0x7fff, v44
                                        ; implicit-def: $vgpr27
	s_delay_alu instid0(VALU_DEP_2) | instskip(NEXT) | instid1(VALU_DEP_2)
	v_cmp_lt_u16_e64 s13, 0x7c00, v45
	v_cmp_gt_u16_e64 s14, 0x7c01, v43
	s_delay_alu instid0(VALU_DEP_1) | instskip(NEXT) | instid1(SALU_CYCLE_1)
	s_and_b32 s35, s13, s14
	s_xor_b32 s35, s35, -1
	s_cbranch_vccnz .LBB6_1525
; %bb.1520:                             ;   in Loop: Header=BB6_1339 Depth=3
	v_mov_b32_e32 v27, v44
	s_and_saveexec_b32 s36, s35
	s_cbranch_execz .LBB6_1524
; %bb.1521:                             ;   in Loop: Header=BB6_1339 Depth=3
	v_mov_b32_e32 v27, v42
	s_or_b32 s15, s13, s14
	s_delay_alu instid0(SALU_CYCLE_1)
	s_and_saveexec_b32 s37, s15
; %bb.1522:                             ;   in Loop: Header=BB6_1339 Depth=3
	v_lshrrev_b32_e32 v27, 16, v35
	v_cmp_lt_u16_e32 vcc_lo, 0x7c00, v43
	s_delay_alu instid0(VALU_DEP_2) | instskip(NEXT) | instid1(VALU_DEP_1)
	v_cmp_gt_f16_e64 s15, v35, v27
	v_cndmask_b32_e64 v27, v27, v35, s15
	s_and_b32 s15, s13, vcc_lo
	s_delay_alu instid0(VALU_DEP_1) | instid1(SALU_CYCLE_1)
	v_cndmask_b32_e64 v27, v27, 0x7fff, s15
; %bb.1523:                             ;   in Loop: Header=BB6_1339 Depth=3
	s_or_b32 exec_lo, exec_lo, s37
.LBB6_1524:                             ;   in Loop: Header=BB6_1339 Depth=3
	s_delay_alu instid0(SALU_CYCLE_1)
	s_or_b32 exec_lo, exec_lo, s36
	s_mov_b32 s15, 0
.LBB6_1525:                             ;   in Loop: Header=BB6_1339 Depth=3
	s_delay_alu instid0(SALU_CYCLE_1)
	s_and_not1_b32 vcc_lo, exec_lo, s15
	s_cbranch_vccnz .LBB6_1531
; %bb.1526:                             ;   in Loop: Header=BB6_1339 Depth=3
	s_and_saveexec_b32 s15, s35
	s_cbranch_execz .LBB6_1530
; %bb.1527:                             ;   in Loop: Header=BB6_1339 Depth=3
	s_or_b32 s14, s13, s14
	s_delay_alu instid0(SALU_CYCLE_1)
	s_and_saveexec_b32 s35, s14
; %bb.1528:                             ;   in Loop: Header=BB6_1339 Depth=3
	v_lshrrev_b32_e32 v27, 16, v35
	v_cmp_lt_u16_e32 vcc_lo, 0x7c00, v43
	s_delay_alu instid0(VALU_DEP_2) | instskip(SKIP_1) | instid1(VALU_DEP_1)
	v_cmp_gt_f16_e64 s14, v35, v27
	s_and_b32 s13, s13, vcc_lo
	v_cndmask_b32_e64 v27, v35, v27, s14
	s_delay_alu instid0(VALU_DEP_1)
	v_cndmask_b32_e64 v42, v27, 0x7fff, s13
; %bb.1529:                             ;   in Loop: Header=BB6_1339 Depth=3
	s_or_b32 exec_lo, exec_lo, s35
	s_delay_alu instid0(VALU_DEP_1)
	v_mov_b32_e32 v44, v42
.LBB6_1530:                             ;   in Loop: Header=BB6_1339 Depth=3
	s_or_b32 exec_lo, exec_lo, s15
	s_delay_alu instid0(VALU_DEP_1)
	v_mov_b32_e32 v27, v44
.LBB6_1531:                             ;   in Loop: Header=BB6_1339 Depth=3
	v_and_b32_e32 v35, 0x7fff, v20
	s_waitcnt vmcnt(1)
	v_and_b32_e32 v42, 0x7fff, v16
	v_perm_b32 v43, v16, v20, 0x5040100
	s_mov_b32 s15, -1
	s_and_not1_b32 vcc_lo, exec_lo, s34
	v_cmp_lt_u16_e64 s13, 0x7c00, v35
	v_cmp_gt_u16_e64 s14, 0x7c01, v42
                                        ; implicit-def: $vgpr35
	s_delay_alu instid0(VALU_DEP_1) | instskip(NEXT) | instid1(SALU_CYCLE_1)
	s_and_b32 s35, s13, s14
	s_xor_b32 s35, s35, -1
	s_cbranch_vccnz .LBB6_1537
; %bb.1532:                             ;   in Loop: Header=BB6_1339 Depth=3
	v_mov_b32_e32 v35, v16
	s_and_saveexec_b32 s36, s35
	s_cbranch_execz .LBB6_1536
; %bb.1533:                             ;   in Loop: Header=BB6_1339 Depth=3
	v_mov_b32_e32 v35, v20
	s_or_b32 s15, s13, s14
	s_delay_alu instid0(SALU_CYCLE_1)
	s_and_saveexec_b32 s37, s15
; %bb.1534:                             ;   in Loop: Header=BB6_1339 Depth=3
	v_lshrrev_b32_e32 v35, 16, v43
	v_cmp_lt_u16_e32 vcc_lo, 0x7c00, v42
	s_delay_alu instid0(VALU_DEP_2) | instskip(NEXT) | instid1(VALU_DEP_1)
	v_cmp_gt_f16_e64 s15, v43, v35
	v_cndmask_b32_e64 v35, v35, v43, s15
	s_and_b32 s15, s13, vcc_lo
	s_delay_alu instid0(VALU_DEP_1) | instid1(SALU_CYCLE_1)
	v_cndmask_b32_e64 v35, v35, 0x7fff, s15
; %bb.1535:                             ;   in Loop: Header=BB6_1339 Depth=3
	s_or_b32 exec_lo, exec_lo, s37
.LBB6_1536:                             ;   in Loop: Header=BB6_1339 Depth=3
	s_delay_alu instid0(SALU_CYCLE_1)
	s_or_b32 exec_lo, exec_lo, s36
	s_mov_b32 s15, 0
.LBB6_1537:                             ;   in Loop: Header=BB6_1339 Depth=3
	s_delay_alu instid0(SALU_CYCLE_1)
	s_and_not1_b32 vcc_lo, exec_lo, s15
	s_cbranch_vccnz .LBB6_1543
; %bb.1538:                             ;   in Loop: Header=BB6_1339 Depth=3
	v_mov_b32_e32 v35, v16
	s_and_saveexec_b32 s15, s35
	s_cbranch_execz .LBB6_1542
; %bb.1539:                             ;   in Loop: Header=BB6_1339 Depth=3
	v_mov_b32_e32 v35, v20
	s_or_b32 s14, s13, s14
	s_delay_alu instid0(SALU_CYCLE_1)
	s_and_saveexec_b32 s35, s14
; %bb.1540:                             ;   in Loop: Header=BB6_1339 Depth=3
	v_lshrrev_b32_e32 v35, 16, v43
	v_cmp_lt_u16_e32 vcc_lo, 0x7c00, v42
	s_delay_alu instid0(VALU_DEP_2) | instskip(SKIP_1) | instid1(VALU_DEP_1)
	v_cmp_gt_f16_e64 s14, v43, v35
	s_and_b32 s13, s13, vcc_lo
	v_cndmask_b32_e64 v35, v43, v35, s14
	s_delay_alu instid0(VALU_DEP_1)
	v_cndmask_b32_e64 v35, v35, 0x7fff, s13
; %bb.1541:                             ;   in Loop: Header=BB6_1339 Depth=3
	s_or_b32 exec_lo, exec_lo, s35
.LBB6_1542:                             ;   in Loop: Header=BB6_1339 Depth=3
	s_delay_alu instid0(SALU_CYCLE_1)
	s_or_b32 exec_lo, exec_lo, s15
.LBB6_1543:                             ;   in Loop: Header=BB6_1339 Depth=3
	v_mov_b32_e32 v45, v20
	v_lshrrev_b32_e32 v44, 16, v16
	s_mov_b32 s15, -1
	s_and_not1_b32 vcc_lo, exec_lo, s34
	s_delay_alu instid0(VALU_DEP_2) | instskip(NEXT) | instid1(VALU_DEP_2)
	v_lshrrev_b32_e32 v42, 16, v45
	v_and_b32_e32 v43, 0x7fff, v44
	s_delay_alu instid0(VALU_DEP_2) | instskip(NEXT) | instid1(VALU_DEP_1)
	v_and_b32_e32 v20, 0x7fff, v42
	v_cmp_lt_u16_e64 s13, 0x7c00, v20
	v_mov_b32_e32 v20, v21
	s_delay_alu instid0(VALU_DEP_4) | instskip(SKIP_2) | instid1(VALU_DEP_3)
	v_cmp_gt_u16_e64 s14, 0x7c01, v43
	v_mov_b32_e32 v21, v17
	v_perm_b32 v17, v16, v45, 0x7060302
                                        ; implicit-def: $vgpr16
	s_and_b32 s35, s13, s14
	s_delay_alu instid0(SALU_CYCLE_1)
	s_xor_b32 s35, s35, -1
	s_cbranch_vccnz .LBB6_1549
; %bb.1544:                             ;   in Loop: Header=BB6_1339 Depth=3
	v_mov_b32_e32 v16, v44
	s_and_saveexec_b32 s36, s35
	s_cbranch_execz .LBB6_1548
; %bb.1545:                             ;   in Loop: Header=BB6_1339 Depth=3
	v_mov_b32_e32 v16, v42
	s_or_b32 s15, s13, s14
	s_delay_alu instid0(SALU_CYCLE_1)
	s_and_saveexec_b32 s37, s15
; %bb.1546:                             ;   in Loop: Header=BB6_1339 Depth=3
	v_lshrrev_b32_e32 v16, 16, v17
	v_cmp_lt_u16_e32 vcc_lo, 0x7c00, v43
	s_delay_alu instid0(VALU_DEP_2) | instskip(NEXT) | instid1(VALU_DEP_1)
	v_cmp_gt_f16_e64 s15, v17, v16
	v_cndmask_b32_e64 v16, v16, v17, s15
	s_and_b32 s15, s13, vcc_lo
	s_delay_alu instid0(VALU_DEP_1) | instid1(SALU_CYCLE_1)
	v_cndmask_b32_e64 v16, v16, 0x7fff, s15
; %bb.1547:                             ;   in Loop: Header=BB6_1339 Depth=3
	s_or_b32 exec_lo, exec_lo, s37
.LBB6_1548:                             ;   in Loop: Header=BB6_1339 Depth=3
	s_delay_alu instid0(SALU_CYCLE_1)
	s_or_b32 exec_lo, exec_lo, s36
	s_mov_b32 s15, 0
.LBB6_1549:                             ;   in Loop: Header=BB6_1339 Depth=3
	s_delay_alu instid0(SALU_CYCLE_1)
	s_and_not1_b32 vcc_lo, exec_lo, s15
	s_cbranch_vccnz .LBB6_1555
; %bb.1550:                             ;   in Loop: Header=BB6_1339 Depth=3
	s_and_saveexec_b32 s15, s35
	s_cbranch_execz .LBB6_1554
; %bb.1551:                             ;   in Loop: Header=BB6_1339 Depth=3
	s_or_b32 s14, s13, s14
	s_delay_alu instid0(SALU_CYCLE_1)
	s_and_saveexec_b32 s35, s14
; %bb.1552:                             ;   in Loop: Header=BB6_1339 Depth=3
	v_lshrrev_b32_e32 v16, 16, v17
	v_cmp_lt_u16_e32 vcc_lo, 0x7c00, v43
	s_delay_alu instid0(VALU_DEP_2) | instskip(SKIP_1) | instid1(VALU_DEP_1)
	v_cmp_gt_f16_e64 s14, v17, v16
	s_and_b32 s13, s13, vcc_lo
	v_cndmask_b32_e64 v16, v17, v16, s14
	s_delay_alu instid0(VALU_DEP_1)
	v_cndmask_b32_e64 v42, v16, 0x7fff, s13
; %bb.1553:                             ;   in Loop: Header=BB6_1339 Depth=3
	s_or_b32 exec_lo, exec_lo, s35
	s_delay_alu instid0(VALU_DEP_1)
	v_mov_b32_e32 v44, v42
.LBB6_1554:                             ;   in Loop: Header=BB6_1339 Depth=3
	s_or_b32 exec_lo, exec_lo, s15
	s_delay_alu instid0(VALU_DEP_1)
	v_mov_b32_e32 v16, v44
.LBB6_1555:                             ;   in Loop: Header=BB6_1339 Depth=3
	v_and_b32_e32 v17, 0x7fff, v20
	v_and_b32_e32 v42, 0x7fff, v21
	v_perm_b32 v43, v21, v20, 0x5040100
	s_mov_b32 s15, -1
	s_and_not1_b32 vcc_lo, exec_lo, s34
	v_cmp_lt_u16_e64 s13, 0x7c00, v17
	v_cmp_gt_u16_e64 s14, 0x7c01, v42
                                        ; implicit-def: $vgpr17
	s_delay_alu instid0(VALU_DEP_1) | instskip(NEXT) | instid1(SALU_CYCLE_1)
	s_and_b32 s35, s13, s14
	s_xor_b32 s35, s35, -1
	s_cbranch_vccnz .LBB6_1561
; %bb.1556:                             ;   in Loop: Header=BB6_1339 Depth=3
	v_mov_b32_e32 v17, v21
	s_and_saveexec_b32 s36, s35
	s_cbranch_execz .LBB6_1560
; %bb.1557:                             ;   in Loop: Header=BB6_1339 Depth=3
	v_mov_b32_e32 v17, v20
	s_or_b32 s15, s13, s14
	s_delay_alu instid0(SALU_CYCLE_1)
	s_and_saveexec_b32 s37, s15
; %bb.1558:                             ;   in Loop: Header=BB6_1339 Depth=3
	v_lshrrev_b32_e32 v17, 16, v43
	v_cmp_lt_u16_e32 vcc_lo, 0x7c00, v42
	s_delay_alu instid0(VALU_DEP_2) | instskip(NEXT) | instid1(VALU_DEP_1)
	v_cmp_gt_f16_e64 s15, v43, v17
	v_cndmask_b32_e64 v17, v17, v43, s15
	s_and_b32 s15, s13, vcc_lo
	s_delay_alu instid0(VALU_DEP_1) | instid1(SALU_CYCLE_1)
	v_cndmask_b32_e64 v17, v17, 0x7fff, s15
; %bb.1559:                             ;   in Loop: Header=BB6_1339 Depth=3
	s_or_b32 exec_lo, exec_lo, s37
.LBB6_1560:                             ;   in Loop: Header=BB6_1339 Depth=3
	s_delay_alu instid0(SALU_CYCLE_1)
	s_or_b32 exec_lo, exec_lo, s36
	s_mov_b32 s15, 0
.LBB6_1561:                             ;   in Loop: Header=BB6_1339 Depth=3
	s_delay_alu instid0(SALU_CYCLE_1)
	s_and_not1_b32 vcc_lo, exec_lo, s15
	s_cbranch_vccnz .LBB6_1567
; %bb.1562:                             ;   in Loop: Header=BB6_1339 Depth=3
	v_mov_b32_e32 v17, v21
	s_and_saveexec_b32 s15, s35
	s_cbranch_execz .LBB6_1566
; %bb.1563:                             ;   in Loop: Header=BB6_1339 Depth=3
	v_mov_b32_e32 v17, v20
	s_or_b32 s14, s13, s14
	s_delay_alu instid0(SALU_CYCLE_1)
	s_and_saveexec_b32 s35, s14
; %bb.1564:                             ;   in Loop: Header=BB6_1339 Depth=3
	v_lshrrev_b32_e32 v17, 16, v43
	v_cmp_lt_u16_e32 vcc_lo, 0x7c00, v42
	s_delay_alu instid0(VALU_DEP_2) | instskip(SKIP_1) | instid1(VALU_DEP_1)
	v_cmp_gt_f16_e64 s14, v43, v17
	s_and_b32 s13, s13, vcc_lo
	v_cndmask_b32_e64 v17, v43, v17, s14
	s_delay_alu instid0(VALU_DEP_1)
	v_cndmask_b32_e64 v17, v17, 0x7fff, s13
; %bb.1565:                             ;   in Loop: Header=BB6_1339 Depth=3
	s_or_b32 exec_lo, exec_lo, s35
.LBB6_1566:                             ;   in Loop: Header=BB6_1339 Depth=3
	s_delay_alu instid0(SALU_CYCLE_1)
	s_or_b32 exec_lo, exec_lo, s15
.LBB6_1567:                             ;   in Loop: Header=BB6_1339 Depth=3
	v_lshrrev_b32_e32 v42, 16, v20
	v_lshrrev_b32_e32 v44, 16, v21
	v_perm_b32 v21, v21, v20, 0x7060302
	s_mov_b32 s15, -1
	s_and_not1_b32 vcc_lo, exec_lo, s34
	v_and_b32_e32 v45, 0x7fff, v42
	v_and_b32_e32 v43, 0x7fff, v44
                                        ; implicit-def: $vgpr20
	s_delay_alu instid0(VALU_DEP_2) | instskip(NEXT) | instid1(VALU_DEP_2)
	v_cmp_lt_u16_e64 s13, 0x7c00, v45
	v_cmp_gt_u16_e64 s14, 0x7c01, v43
	s_delay_alu instid0(VALU_DEP_1) | instskip(NEXT) | instid1(SALU_CYCLE_1)
	s_and_b32 s35, s13, s14
	s_xor_b32 s35, s35, -1
	s_cbranch_vccnz .LBB6_1573
; %bb.1568:                             ;   in Loop: Header=BB6_1339 Depth=3
	v_mov_b32_e32 v20, v44
	s_and_saveexec_b32 s36, s35
	s_cbranch_execz .LBB6_1572
; %bb.1569:                             ;   in Loop: Header=BB6_1339 Depth=3
	v_mov_b32_e32 v20, v42
	s_or_b32 s15, s13, s14
	s_delay_alu instid0(SALU_CYCLE_1)
	s_and_saveexec_b32 s37, s15
; %bb.1570:                             ;   in Loop: Header=BB6_1339 Depth=3
	v_lshrrev_b32_e32 v20, 16, v21
	v_cmp_lt_u16_e32 vcc_lo, 0x7c00, v43
	s_delay_alu instid0(VALU_DEP_2) | instskip(NEXT) | instid1(VALU_DEP_1)
	v_cmp_gt_f16_e64 s15, v21, v20
	v_cndmask_b32_e64 v20, v20, v21, s15
	s_and_b32 s15, s13, vcc_lo
	s_delay_alu instid0(VALU_DEP_1) | instid1(SALU_CYCLE_1)
	v_cndmask_b32_e64 v20, v20, 0x7fff, s15
; %bb.1571:                             ;   in Loop: Header=BB6_1339 Depth=3
	s_or_b32 exec_lo, exec_lo, s37
.LBB6_1572:                             ;   in Loop: Header=BB6_1339 Depth=3
	s_delay_alu instid0(SALU_CYCLE_1)
	s_or_b32 exec_lo, exec_lo, s36
	s_mov_b32 s15, 0
.LBB6_1573:                             ;   in Loop: Header=BB6_1339 Depth=3
	s_delay_alu instid0(SALU_CYCLE_1)
	s_and_not1_b32 vcc_lo, exec_lo, s15
	s_cbranch_vccnz .LBB6_1579
; %bb.1574:                             ;   in Loop: Header=BB6_1339 Depth=3
	s_and_saveexec_b32 s15, s35
	s_cbranch_execz .LBB6_1578
; %bb.1575:                             ;   in Loop: Header=BB6_1339 Depth=3
	s_or_b32 s14, s13, s14
	s_delay_alu instid0(SALU_CYCLE_1)
	s_and_saveexec_b32 s35, s14
; %bb.1576:                             ;   in Loop: Header=BB6_1339 Depth=3
	v_lshrrev_b32_e32 v20, 16, v21
	v_cmp_lt_u16_e32 vcc_lo, 0x7c00, v43
	s_delay_alu instid0(VALU_DEP_2) | instskip(SKIP_1) | instid1(VALU_DEP_1)
	v_cmp_gt_f16_e64 s14, v21, v20
	s_and_b32 s13, s13, vcc_lo
	v_cndmask_b32_e64 v20, v21, v20, s14
	s_delay_alu instid0(VALU_DEP_1)
	v_cndmask_b32_e64 v42, v20, 0x7fff, s13
; %bb.1577:                             ;   in Loop: Header=BB6_1339 Depth=3
	s_or_b32 exec_lo, exec_lo, s35
	s_delay_alu instid0(VALU_DEP_1)
	v_mov_b32_e32 v44, v42
.LBB6_1578:                             ;   in Loop: Header=BB6_1339 Depth=3
	s_or_b32 exec_lo, exec_lo, s15
	s_delay_alu instid0(VALU_DEP_1)
	v_mov_b32_e32 v20, v44
.LBB6_1579:                             ;   in Loop: Header=BB6_1339 Depth=3
	v_and_b32_e32 v21, 0x7fff, v22
	v_and_b32_e32 v42, 0x7fff, v18
	v_perm_b32 v43, v18, v22, 0x5040100
	s_mov_b32 s15, -1
	s_and_not1_b32 vcc_lo, exec_lo, s34
	v_cmp_lt_u16_e64 s13, 0x7c00, v21
	v_cmp_gt_u16_e64 s14, 0x7c01, v42
                                        ; implicit-def: $vgpr21
	s_delay_alu instid0(VALU_DEP_1) | instskip(NEXT) | instid1(SALU_CYCLE_1)
	s_and_b32 s35, s13, s14
	s_xor_b32 s35, s35, -1
	s_cbranch_vccnz .LBB6_1585
; %bb.1580:                             ;   in Loop: Header=BB6_1339 Depth=3
	v_mov_b32_e32 v21, v18
	s_and_saveexec_b32 s36, s35
	s_cbranch_execz .LBB6_1584
; %bb.1581:                             ;   in Loop: Header=BB6_1339 Depth=3
	v_mov_b32_e32 v21, v22
	s_or_b32 s15, s13, s14
	s_delay_alu instid0(SALU_CYCLE_1)
	s_and_saveexec_b32 s37, s15
; %bb.1582:                             ;   in Loop: Header=BB6_1339 Depth=3
	v_lshrrev_b32_e32 v21, 16, v43
	v_cmp_lt_u16_e32 vcc_lo, 0x7c00, v42
	s_delay_alu instid0(VALU_DEP_2) | instskip(NEXT) | instid1(VALU_DEP_1)
	v_cmp_gt_f16_e64 s15, v43, v21
	v_cndmask_b32_e64 v21, v21, v43, s15
	s_and_b32 s15, s13, vcc_lo
	s_delay_alu instid0(VALU_DEP_1) | instid1(SALU_CYCLE_1)
	v_cndmask_b32_e64 v21, v21, 0x7fff, s15
; %bb.1583:                             ;   in Loop: Header=BB6_1339 Depth=3
	s_or_b32 exec_lo, exec_lo, s37
.LBB6_1584:                             ;   in Loop: Header=BB6_1339 Depth=3
	s_delay_alu instid0(SALU_CYCLE_1)
	s_or_b32 exec_lo, exec_lo, s36
	s_mov_b32 s15, 0
.LBB6_1585:                             ;   in Loop: Header=BB6_1339 Depth=3
	s_delay_alu instid0(SALU_CYCLE_1)
	s_and_not1_b32 vcc_lo, exec_lo, s15
	s_cbranch_vccnz .LBB6_1591
; %bb.1586:                             ;   in Loop: Header=BB6_1339 Depth=3
	v_mov_b32_e32 v21, v18
	s_and_saveexec_b32 s15, s35
	s_cbranch_execz .LBB6_1590
; %bb.1587:                             ;   in Loop: Header=BB6_1339 Depth=3
	v_mov_b32_e32 v21, v22
	s_or_b32 s14, s13, s14
	s_delay_alu instid0(SALU_CYCLE_1)
	s_and_saveexec_b32 s35, s14
; %bb.1588:                             ;   in Loop: Header=BB6_1339 Depth=3
	v_lshrrev_b32_e32 v21, 16, v43
	v_cmp_lt_u16_e32 vcc_lo, 0x7c00, v42
	s_delay_alu instid0(VALU_DEP_2) | instskip(SKIP_1) | instid1(VALU_DEP_1)
	v_cmp_gt_f16_e64 s14, v43, v21
	s_and_b32 s13, s13, vcc_lo
	v_cndmask_b32_e64 v21, v43, v21, s14
	s_delay_alu instid0(VALU_DEP_1)
	v_cndmask_b32_e64 v21, v21, 0x7fff, s13
; %bb.1589:                             ;   in Loop: Header=BB6_1339 Depth=3
	s_or_b32 exec_lo, exec_lo, s35
.LBB6_1590:                             ;   in Loop: Header=BB6_1339 Depth=3
	s_delay_alu instid0(SALU_CYCLE_1)
	s_or_b32 exec_lo, exec_lo, s15
.LBB6_1591:                             ;   in Loop: Header=BB6_1339 Depth=3
	v_mov_b32_e32 v44, v22
	v_lshrrev_b32_e32 v43, 16, v18
	s_mov_b32 s15, -1
	s_and_not1_b32 vcc_lo, exec_lo, s34
	s_delay_alu instid0(VALU_DEP_2) | instskip(NEXT) | instid1(VALU_DEP_2)
	v_lshrrev_b32_e32 v22, 16, v44
	v_and_b32_e32 v42, 0x7fff, v43
	s_delay_alu instid0(VALU_DEP_2) | instskip(NEXT) | instid1(VALU_DEP_2)
	v_and_b32_e32 v45, 0x7fff, v22
	v_cmp_gt_u16_e64 s14, 0x7c01, v42
	v_perm_b32 v44, v18, v44, 0x7060302
                                        ; implicit-def: $vgpr18
	s_delay_alu instid0(VALU_DEP_3) | instskip(NEXT) | instid1(VALU_DEP_1)
	v_cmp_lt_u16_e64 s13, 0x7c00, v45
	s_and_b32 s35, s13, s14
	s_delay_alu instid0(SALU_CYCLE_1)
	s_xor_b32 s35, s35, -1
	s_cbranch_vccnz .LBB6_1597
; %bb.1592:                             ;   in Loop: Header=BB6_1339 Depth=3
	v_mov_b32_e32 v18, v43
	s_and_saveexec_b32 s36, s35
	s_cbranch_execz .LBB6_1596
; %bb.1593:                             ;   in Loop: Header=BB6_1339 Depth=3
	v_mov_b32_e32 v18, v22
	s_or_b32 s15, s13, s14
	s_delay_alu instid0(SALU_CYCLE_1)
	s_and_saveexec_b32 s37, s15
; %bb.1594:                             ;   in Loop: Header=BB6_1339 Depth=3
	v_lshrrev_b32_e32 v18, 16, v44
	v_cmp_lt_u16_e32 vcc_lo, 0x7c00, v42
	s_delay_alu instid0(VALU_DEP_2) | instskip(NEXT) | instid1(VALU_DEP_1)
	v_cmp_gt_f16_e64 s15, v44, v18
	v_cndmask_b32_e64 v18, v18, v44, s15
	s_and_b32 s15, s13, vcc_lo
	s_delay_alu instid0(VALU_DEP_1) | instid1(SALU_CYCLE_1)
	v_cndmask_b32_e64 v18, v18, 0x7fff, s15
; %bb.1595:                             ;   in Loop: Header=BB6_1339 Depth=3
	s_or_b32 exec_lo, exec_lo, s37
.LBB6_1596:                             ;   in Loop: Header=BB6_1339 Depth=3
	s_delay_alu instid0(SALU_CYCLE_1)
	s_or_b32 exec_lo, exec_lo, s36
	s_mov_b32 s15, 0
.LBB6_1597:                             ;   in Loop: Header=BB6_1339 Depth=3
	s_delay_alu instid0(SALU_CYCLE_1)
	s_and_not1_b32 vcc_lo, exec_lo, s15
	s_cbranch_vccnz .LBB6_1603
; %bb.1598:                             ;   in Loop: Header=BB6_1339 Depth=3
	s_and_saveexec_b32 s15, s35
	s_cbranch_execz .LBB6_1602
; %bb.1599:                             ;   in Loop: Header=BB6_1339 Depth=3
	s_or_b32 s14, s13, s14
	s_delay_alu instid0(SALU_CYCLE_1)
	s_and_saveexec_b32 s35, s14
; %bb.1600:                             ;   in Loop: Header=BB6_1339 Depth=3
	v_lshrrev_b32_e32 v18, 16, v44
	v_cmp_lt_u16_e32 vcc_lo, 0x7c00, v42
	s_delay_alu instid0(VALU_DEP_2) | instskip(SKIP_1) | instid1(VALU_DEP_1)
	v_cmp_gt_f16_e64 s14, v44, v18
	s_and_b32 s13, s13, vcc_lo
	v_cndmask_b32_e64 v18, v44, v18, s14
	s_delay_alu instid0(VALU_DEP_1)
	v_cndmask_b32_e64 v22, v18, 0x7fff, s13
; %bb.1601:                             ;   in Loop: Header=BB6_1339 Depth=3
	s_or_b32 exec_lo, exec_lo, s35
	s_delay_alu instid0(VALU_DEP_1)
	v_mov_b32_e32 v43, v22
.LBB6_1602:                             ;   in Loop: Header=BB6_1339 Depth=3
	s_or_b32 exec_lo, exec_lo, s15
	s_delay_alu instid0(VALU_DEP_1)
	v_mov_b32_e32 v18, v43
.LBB6_1603:                             ;   in Loop: Header=BB6_1339 Depth=3
	v_and_b32_e32 v22, 0x7fff, v23
	v_and_b32_e32 v42, 0x7fff, v19
	v_perm_b32 v43, v19, v23, 0x5040100
	s_mov_b32 s15, -1
	s_and_not1_b32 vcc_lo, exec_lo, s34
	v_cmp_lt_u16_e64 s13, 0x7c00, v22
	v_cmp_gt_u16_e64 s14, 0x7c01, v42
                                        ; implicit-def: $vgpr22
	s_delay_alu instid0(VALU_DEP_1) | instskip(NEXT) | instid1(SALU_CYCLE_1)
	s_and_b32 s35, s13, s14
	s_xor_b32 s35, s35, -1
	s_cbranch_vccnz .LBB6_1609
; %bb.1604:                             ;   in Loop: Header=BB6_1339 Depth=3
	v_mov_b32_e32 v22, v19
	s_and_saveexec_b32 s36, s35
	s_cbranch_execz .LBB6_1608
; %bb.1605:                             ;   in Loop: Header=BB6_1339 Depth=3
	v_mov_b32_e32 v22, v23
	s_or_b32 s15, s13, s14
	s_delay_alu instid0(SALU_CYCLE_1)
	s_and_saveexec_b32 s37, s15
; %bb.1606:                             ;   in Loop: Header=BB6_1339 Depth=3
	v_lshrrev_b32_e32 v22, 16, v43
	v_cmp_lt_u16_e32 vcc_lo, 0x7c00, v42
	s_delay_alu instid0(VALU_DEP_2) | instskip(NEXT) | instid1(VALU_DEP_1)
	v_cmp_gt_f16_e64 s15, v43, v22
	v_cndmask_b32_e64 v22, v22, v43, s15
	s_and_b32 s15, s13, vcc_lo
	s_delay_alu instid0(VALU_DEP_1) | instid1(SALU_CYCLE_1)
	v_cndmask_b32_e64 v22, v22, 0x7fff, s15
; %bb.1607:                             ;   in Loop: Header=BB6_1339 Depth=3
	s_or_b32 exec_lo, exec_lo, s37
.LBB6_1608:                             ;   in Loop: Header=BB6_1339 Depth=3
	s_delay_alu instid0(SALU_CYCLE_1)
	s_or_b32 exec_lo, exec_lo, s36
	s_mov_b32 s15, 0
.LBB6_1609:                             ;   in Loop: Header=BB6_1339 Depth=3
	s_delay_alu instid0(SALU_CYCLE_1)
	s_and_not1_b32 vcc_lo, exec_lo, s15
	s_cbranch_vccnz .LBB6_1615
; %bb.1610:                             ;   in Loop: Header=BB6_1339 Depth=3
	v_mov_b32_e32 v22, v19
	s_and_saveexec_b32 s15, s35
	s_cbranch_execz .LBB6_1614
; %bb.1611:                             ;   in Loop: Header=BB6_1339 Depth=3
	v_mov_b32_e32 v22, v23
	s_or_b32 s14, s13, s14
	s_delay_alu instid0(SALU_CYCLE_1)
	s_and_saveexec_b32 s35, s14
; %bb.1612:                             ;   in Loop: Header=BB6_1339 Depth=3
	v_lshrrev_b32_e32 v22, 16, v43
	v_cmp_lt_u16_e32 vcc_lo, 0x7c00, v42
	s_delay_alu instid0(VALU_DEP_2) | instskip(SKIP_1) | instid1(VALU_DEP_1)
	v_cmp_gt_f16_e64 s14, v43, v22
	s_and_b32 s13, s13, vcc_lo
	v_cndmask_b32_e64 v22, v43, v22, s14
	s_delay_alu instid0(VALU_DEP_1)
	v_cndmask_b32_e64 v22, v22, 0x7fff, s13
; %bb.1613:                             ;   in Loop: Header=BB6_1339 Depth=3
	s_or_b32 exec_lo, exec_lo, s35
.LBB6_1614:                             ;   in Loop: Header=BB6_1339 Depth=3
	s_delay_alu instid0(SALU_CYCLE_1)
	s_or_b32 exec_lo, exec_lo, s15
.LBB6_1615:                             ;   in Loop: Header=BB6_1339 Depth=3
	v_lshrrev_b32_e32 v42, 16, v23
	v_lshrrev_b32_e32 v44, 16, v19
	v_perm_b32 v23, v19, v23, 0x7060302
	s_mov_b32 s15, -1
	s_and_not1_b32 vcc_lo, exec_lo, s34
	v_and_b32_e32 v45, 0x7fff, v42
	v_and_b32_e32 v43, 0x7fff, v44
                                        ; implicit-def: $vgpr19
	s_delay_alu instid0(VALU_DEP_2) | instskip(NEXT) | instid1(VALU_DEP_2)
	v_cmp_lt_u16_e64 s13, 0x7c00, v45
	v_cmp_gt_u16_e64 s14, 0x7c01, v43
	s_delay_alu instid0(VALU_DEP_1) | instskip(NEXT) | instid1(SALU_CYCLE_1)
	s_and_b32 s35, s13, s14
	s_xor_b32 s35, s35, -1
	s_cbranch_vccnz .LBB6_1621
; %bb.1616:                             ;   in Loop: Header=BB6_1339 Depth=3
	v_mov_b32_e32 v19, v44
	s_and_saveexec_b32 s36, s35
	s_cbranch_execz .LBB6_1620
; %bb.1617:                             ;   in Loop: Header=BB6_1339 Depth=3
	v_mov_b32_e32 v19, v42
	s_or_b32 s15, s13, s14
	s_delay_alu instid0(SALU_CYCLE_1)
	s_and_saveexec_b32 s37, s15
; %bb.1618:                             ;   in Loop: Header=BB6_1339 Depth=3
	v_lshrrev_b32_e32 v19, 16, v23
	v_cmp_lt_u16_e32 vcc_lo, 0x7c00, v43
	s_delay_alu instid0(VALU_DEP_2) | instskip(NEXT) | instid1(VALU_DEP_1)
	v_cmp_gt_f16_e64 s15, v23, v19
	v_cndmask_b32_e64 v19, v19, v23, s15
	s_and_b32 s15, s13, vcc_lo
	s_delay_alu instid0(VALU_DEP_1) | instid1(SALU_CYCLE_1)
	v_cndmask_b32_e64 v19, v19, 0x7fff, s15
; %bb.1619:                             ;   in Loop: Header=BB6_1339 Depth=3
	s_or_b32 exec_lo, exec_lo, s37
.LBB6_1620:                             ;   in Loop: Header=BB6_1339 Depth=3
	s_delay_alu instid0(SALU_CYCLE_1)
	s_or_b32 exec_lo, exec_lo, s36
	s_mov_b32 s15, 0
.LBB6_1621:                             ;   in Loop: Header=BB6_1339 Depth=3
	s_delay_alu instid0(SALU_CYCLE_1)
	s_and_not1_b32 vcc_lo, exec_lo, s15
	s_cbranch_vccnz .LBB6_1627
; %bb.1622:                             ;   in Loop: Header=BB6_1339 Depth=3
	s_and_saveexec_b32 s15, s35
	s_cbranch_execz .LBB6_1626
; %bb.1623:                             ;   in Loop: Header=BB6_1339 Depth=3
	s_or_b32 s14, s13, s14
	s_delay_alu instid0(SALU_CYCLE_1)
	s_and_saveexec_b32 s35, s14
; %bb.1624:                             ;   in Loop: Header=BB6_1339 Depth=3
	v_lshrrev_b32_e32 v19, 16, v23
	v_cmp_lt_u16_e32 vcc_lo, 0x7c00, v43
	s_delay_alu instid0(VALU_DEP_2) | instskip(SKIP_1) | instid1(VALU_DEP_1)
	v_cmp_gt_f16_e64 s14, v23, v19
	s_and_b32 s13, s13, vcc_lo
	v_cndmask_b32_e64 v19, v23, v19, s14
	s_delay_alu instid0(VALU_DEP_1)
	v_cndmask_b32_e64 v42, v19, 0x7fff, s13
; %bb.1625:                             ;   in Loop: Header=BB6_1339 Depth=3
	s_or_b32 exec_lo, exec_lo, s35
	s_delay_alu instid0(VALU_DEP_1)
	v_mov_b32_e32 v44, v42
.LBB6_1626:                             ;   in Loop: Header=BB6_1339 Depth=3
	s_or_b32 exec_lo, exec_lo, s15
	s_delay_alu instid0(VALU_DEP_1)
	v_mov_b32_e32 v19, v44
.LBB6_1627:                             ;   in Loop: Header=BB6_1339 Depth=3
	v_and_b32_e32 v23, 0x7fff, v12
	s_waitcnt vmcnt(0)
	v_and_b32_e32 v42, 0x7fff, v8
	v_perm_b32 v43, v8, v12, 0x5040100
	s_mov_b32 s15, -1
	s_and_not1_b32 vcc_lo, exec_lo, s34
	v_cmp_lt_u16_e64 s13, 0x7c00, v23
	v_cmp_gt_u16_e64 s14, 0x7c01, v42
                                        ; implicit-def: $vgpr23
	s_delay_alu instid0(VALU_DEP_1) | instskip(NEXT) | instid1(SALU_CYCLE_1)
	s_and_b32 s35, s13, s14
	s_xor_b32 s35, s35, -1
	s_cbranch_vccnz .LBB6_1633
; %bb.1628:                             ;   in Loop: Header=BB6_1339 Depth=3
	v_mov_b32_e32 v23, v8
	s_and_saveexec_b32 s36, s35
	s_cbranch_execz .LBB6_1632
; %bb.1629:                             ;   in Loop: Header=BB6_1339 Depth=3
	v_mov_b32_e32 v23, v12
	s_or_b32 s15, s13, s14
	s_delay_alu instid0(SALU_CYCLE_1)
	s_and_saveexec_b32 s37, s15
; %bb.1630:                             ;   in Loop: Header=BB6_1339 Depth=3
	v_lshrrev_b32_e32 v23, 16, v43
	v_cmp_lt_u16_e32 vcc_lo, 0x7c00, v42
	s_delay_alu instid0(VALU_DEP_2) | instskip(NEXT) | instid1(VALU_DEP_1)
	v_cmp_gt_f16_e64 s15, v43, v23
	v_cndmask_b32_e64 v23, v23, v43, s15
	s_and_b32 s15, s13, vcc_lo
	s_delay_alu instid0(VALU_DEP_1) | instid1(SALU_CYCLE_1)
	v_cndmask_b32_e64 v23, v23, 0x7fff, s15
; %bb.1631:                             ;   in Loop: Header=BB6_1339 Depth=3
	s_or_b32 exec_lo, exec_lo, s37
.LBB6_1632:                             ;   in Loop: Header=BB6_1339 Depth=3
	s_delay_alu instid0(SALU_CYCLE_1)
	s_or_b32 exec_lo, exec_lo, s36
	s_mov_b32 s15, 0
.LBB6_1633:                             ;   in Loop: Header=BB6_1339 Depth=3
	s_delay_alu instid0(SALU_CYCLE_1)
	s_and_not1_b32 vcc_lo, exec_lo, s15
	s_cbranch_vccnz .LBB6_1639
; %bb.1634:                             ;   in Loop: Header=BB6_1339 Depth=3
	v_mov_b32_e32 v23, v8
	s_and_saveexec_b32 s15, s35
	s_cbranch_execz .LBB6_1638
; %bb.1635:                             ;   in Loop: Header=BB6_1339 Depth=3
	v_mov_b32_e32 v23, v12
	s_or_b32 s14, s13, s14
	s_delay_alu instid0(SALU_CYCLE_1)
	s_and_saveexec_b32 s35, s14
; %bb.1636:                             ;   in Loop: Header=BB6_1339 Depth=3
	v_lshrrev_b32_e32 v23, 16, v43
	v_cmp_lt_u16_e32 vcc_lo, 0x7c00, v42
	s_delay_alu instid0(VALU_DEP_2) | instskip(SKIP_1) | instid1(VALU_DEP_1)
	v_cmp_gt_f16_e64 s14, v43, v23
	s_and_b32 s13, s13, vcc_lo
	v_cndmask_b32_e64 v23, v43, v23, s14
	s_delay_alu instid0(VALU_DEP_1)
	v_cndmask_b32_e64 v23, v23, 0x7fff, s13
; %bb.1637:                             ;   in Loop: Header=BB6_1339 Depth=3
	s_or_b32 exec_lo, exec_lo, s35
.LBB6_1638:                             ;   in Loop: Header=BB6_1339 Depth=3
	s_delay_alu instid0(SALU_CYCLE_1)
	s_or_b32 exec_lo, exec_lo, s15
.LBB6_1639:                             ;   in Loop: Header=BB6_1339 Depth=3
	v_mov_b32_e32 v45, v12
	v_lshrrev_b32_e32 v44, 16, v8
	s_mov_b32 s15, -1
	s_and_not1_b32 vcc_lo, exec_lo, s34
	s_delay_alu instid0(VALU_DEP_2) | instskip(NEXT) | instid1(VALU_DEP_2)
	v_lshrrev_b32_e32 v42, 16, v45
	v_and_b32_e32 v43, 0x7fff, v44
	s_delay_alu instid0(VALU_DEP_2) | instskip(NEXT) | instid1(VALU_DEP_1)
	v_and_b32_e32 v12, 0x7fff, v42
	v_cmp_lt_u16_e64 s13, 0x7c00, v12
	v_mov_b32_e32 v12, v13
	s_delay_alu instid0(VALU_DEP_4) | instskip(SKIP_2) | instid1(VALU_DEP_3)
	v_cmp_gt_u16_e64 s14, 0x7c01, v43
	v_mov_b32_e32 v13, v9
	v_perm_b32 v9, v8, v45, 0x7060302
                                        ; implicit-def: $vgpr8
	s_and_b32 s35, s13, s14
	s_delay_alu instid0(SALU_CYCLE_1)
	s_xor_b32 s35, s35, -1
	s_cbranch_vccnz .LBB6_1645
; %bb.1640:                             ;   in Loop: Header=BB6_1339 Depth=3
	v_mov_b32_e32 v8, v44
	s_and_saveexec_b32 s36, s35
	s_cbranch_execz .LBB6_1644
; %bb.1641:                             ;   in Loop: Header=BB6_1339 Depth=3
	v_mov_b32_e32 v8, v42
	s_or_b32 s15, s13, s14
	s_delay_alu instid0(SALU_CYCLE_1)
	s_and_saveexec_b32 s37, s15
; %bb.1642:                             ;   in Loop: Header=BB6_1339 Depth=3
	v_lshrrev_b32_e32 v8, 16, v9
	v_cmp_lt_u16_e32 vcc_lo, 0x7c00, v43
	s_delay_alu instid0(VALU_DEP_2) | instskip(NEXT) | instid1(VALU_DEP_1)
	v_cmp_gt_f16_e64 s15, v9, v8
	v_cndmask_b32_e64 v8, v8, v9, s15
	s_and_b32 s15, s13, vcc_lo
	s_delay_alu instid0(VALU_DEP_1) | instid1(SALU_CYCLE_1)
	v_cndmask_b32_e64 v8, v8, 0x7fff, s15
; %bb.1643:                             ;   in Loop: Header=BB6_1339 Depth=3
	s_or_b32 exec_lo, exec_lo, s37
.LBB6_1644:                             ;   in Loop: Header=BB6_1339 Depth=3
	s_delay_alu instid0(SALU_CYCLE_1)
	s_or_b32 exec_lo, exec_lo, s36
	s_mov_b32 s15, 0
.LBB6_1645:                             ;   in Loop: Header=BB6_1339 Depth=3
	s_delay_alu instid0(SALU_CYCLE_1)
	s_and_not1_b32 vcc_lo, exec_lo, s15
	s_cbranch_vccnz .LBB6_1651
; %bb.1646:                             ;   in Loop: Header=BB6_1339 Depth=3
	s_and_saveexec_b32 s15, s35
	s_cbranch_execz .LBB6_1650
; %bb.1647:                             ;   in Loop: Header=BB6_1339 Depth=3
	s_or_b32 s14, s13, s14
	s_delay_alu instid0(SALU_CYCLE_1)
	s_and_saveexec_b32 s35, s14
; %bb.1648:                             ;   in Loop: Header=BB6_1339 Depth=3
	v_lshrrev_b32_e32 v8, 16, v9
	v_cmp_lt_u16_e32 vcc_lo, 0x7c00, v43
	s_delay_alu instid0(VALU_DEP_2) | instskip(SKIP_1) | instid1(VALU_DEP_1)
	v_cmp_gt_f16_e64 s14, v9, v8
	s_and_b32 s13, s13, vcc_lo
	v_cndmask_b32_e64 v8, v9, v8, s14
	s_delay_alu instid0(VALU_DEP_1)
	v_cndmask_b32_e64 v42, v8, 0x7fff, s13
; %bb.1649:                             ;   in Loop: Header=BB6_1339 Depth=3
	s_or_b32 exec_lo, exec_lo, s35
	s_delay_alu instid0(VALU_DEP_1)
	v_mov_b32_e32 v44, v42
.LBB6_1650:                             ;   in Loop: Header=BB6_1339 Depth=3
	s_or_b32 exec_lo, exec_lo, s15
	s_delay_alu instid0(VALU_DEP_1)
	v_mov_b32_e32 v8, v44
.LBB6_1651:                             ;   in Loop: Header=BB6_1339 Depth=3
	v_and_b32_e32 v9, 0x7fff, v12
	v_and_b32_e32 v42, 0x7fff, v13
	v_perm_b32 v43, v13, v12, 0x5040100
	s_mov_b32 s15, -1
	s_and_not1_b32 vcc_lo, exec_lo, s34
	v_cmp_lt_u16_e64 s13, 0x7c00, v9
	v_cmp_gt_u16_e64 s14, 0x7c01, v42
                                        ; implicit-def: $vgpr9
	s_delay_alu instid0(VALU_DEP_1) | instskip(NEXT) | instid1(SALU_CYCLE_1)
	s_and_b32 s35, s13, s14
	s_xor_b32 s35, s35, -1
	s_cbranch_vccnz .LBB6_1657
; %bb.1652:                             ;   in Loop: Header=BB6_1339 Depth=3
	v_mov_b32_e32 v9, v13
	s_and_saveexec_b32 s36, s35
	s_cbranch_execz .LBB6_1656
; %bb.1653:                             ;   in Loop: Header=BB6_1339 Depth=3
	v_mov_b32_e32 v9, v12
	s_or_b32 s15, s13, s14
	s_delay_alu instid0(SALU_CYCLE_1)
	s_and_saveexec_b32 s37, s15
; %bb.1654:                             ;   in Loop: Header=BB6_1339 Depth=3
	v_lshrrev_b32_e32 v9, 16, v43
	v_cmp_lt_u16_e32 vcc_lo, 0x7c00, v42
	s_delay_alu instid0(VALU_DEP_2) | instskip(NEXT) | instid1(VALU_DEP_1)
	v_cmp_gt_f16_e64 s15, v43, v9
	v_cndmask_b32_e64 v9, v9, v43, s15
	s_and_b32 s15, s13, vcc_lo
	s_delay_alu instid0(VALU_DEP_1) | instid1(SALU_CYCLE_1)
	v_cndmask_b32_e64 v9, v9, 0x7fff, s15
; %bb.1655:                             ;   in Loop: Header=BB6_1339 Depth=3
	s_or_b32 exec_lo, exec_lo, s37
.LBB6_1656:                             ;   in Loop: Header=BB6_1339 Depth=3
	s_delay_alu instid0(SALU_CYCLE_1)
	s_or_b32 exec_lo, exec_lo, s36
	s_mov_b32 s15, 0
.LBB6_1657:                             ;   in Loop: Header=BB6_1339 Depth=3
	s_delay_alu instid0(SALU_CYCLE_1)
	s_and_not1_b32 vcc_lo, exec_lo, s15
	s_cbranch_vccnz .LBB6_1663
; %bb.1658:                             ;   in Loop: Header=BB6_1339 Depth=3
	v_mov_b32_e32 v9, v13
	s_and_saveexec_b32 s15, s35
	s_cbranch_execz .LBB6_1662
; %bb.1659:                             ;   in Loop: Header=BB6_1339 Depth=3
	v_mov_b32_e32 v9, v12
	s_or_b32 s14, s13, s14
	s_delay_alu instid0(SALU_CYCLE_1)
	s_and_saveexec_b32 s35, s14
; %bb.1660:                             ;   in Loop: Header=BB6_1339 Depth=3
	v_lshrrev_b32_e32 v9, 16, v43
	v_cmp_lt_u16_e32 vcc_lo, 0x7c00, v42
	s_delay_alu instid0(VALU_DEP_2) | instskip(SKIP_1) | instid1(VALU_DEP_1)
	v_cmp_gt_f16_e64 s14, v43, v9
	s_and_b32 s13, s13, vcc_lo
	v_cndmask_b32_e64 v9, v43, v9, s14
	s_delay_alu instid0(VALU_DEP_1)
	v_cndmask_b32_e64 v9, v9, 0x7fff, s13
; %bb.1661:                             ;   in Loop: Header=BB6_1339 Depth=3
	s_or_b32 exec_lo, exec_lo, s35
.LBB6_1662:                             ;   in Loop: Header=BB6_1339 Depth=3
	s_delay_alu instid0(SALU_CYCLE_1)
	s_or_b32 exec_lo, exec_lo, s15
.LBB6_1663:                             ;   in Loop: Header=BB6_1339 Depth=3
	v_lshrrev_b32_e32 v42, 16, v12
	v_lshrrev_b32_e32 v44, 16, v13
	v_perm_b32 v13, v13, v12, 0x7060302
	s_mov_b32 s15, -1
	s_and_not1_b32 vcc_lo, exec_lo, s34
	v_and_b32_e32 v45, 0x7fff, v42
	v_and_b32_e32 v43, 0x7fff, v44
                                        ; implicit-def: $vgpr12
	s_delay_alu instid0(VALU_DEP_2) | instskip(NEXT) | instid1(VALU_DEP_2)
	v_cmp_lt_u16_e64 s13, 0x7c00, v45
	v_cmp_gt_u16_e64 s14, 0x7c01, v43
	s_delay_alu instid0(VALU_DEP_1) | instskip(NEXT) | instid1(SALU_CYCLE_1)
	s_and_b32 s35, s13, s14
	s_xor_b32 s35, s35, -1
	s_cbranch_vccnz .LBB6_1669
; %bb.1664:                             ;   in Loop: Header=BB6_1339 Depth=3
	v_mov_b32_e32 v12, v44
	s_and_saveexec_b32 s36, s35
	s_cbranch_execz .LBB6_1668
; %bb.1665:                             ;   in Loop: Header=BB6_1339 Depth=3
	v_mov_b32_e32 v12, v42
	s_or_b32 s15, s13, s14
	s_delay_alu instid0(SALU_CYCLE_1)
	s_and_saveexec_b32 s37, s15
; %bb.1666:                             ;   in Loop: Header=BB6_1339 Depth=3
	v_lshrrev_b32_e32 v12, 16, v13
	v_cmp_lt_u16_e32 vcc_lo, 0x7c00, v43
	s_delay_alu instid0(VALU_DEP_2) | instskip(NEXT) | instid1(VALU_DEP_1)
	v_cmp_gt_f16_e64 s15, v13, v12
	v_cndmask_b32_e64 v12, v12, v13, s15
	s_and_b32 s15, s13, vcc_lo
	s_delay_alu instid0(VALU_DEP_1) | instid1(SALU_CYCLE_1)
	v_cndmask_b32_e64 v12, v12, 0x7fff, s15
; %bb.1667:                             ;   in Loop: Header=BB6_1339 Depth=3
	s_or_b32 exec_lo, exec_lo, s37
.LBB6_1668:                             ;   in Loop: Header=BB6_1339 Depth=3
	s_delay_alu instid0(SALU_CYCLE_1)
	s_or_b32 exec_lo, exec_lo, s36
	s_mov_b32 s15, 0
.LBB6_1669:                             ;   in Loop: Header=BB6_1339 Depth=3
	s_delay_alu instid0(SALU_CYCLE_1)
	s_and_not1_b32 vcc_lo, exec_lo, s15
	s_cbranch_vccnz .LBB6_1675
; %bb.1670:                             ;   in Loop: Header=BB6_1339 Depth=3
	s_and_saveexec_b32 s15, s35
	s_cbranch_execz .LBB6_1674
; %bb.1671:                             ;   in Loop: Header=BB6_1339 Depth=3
	s_or_b32 s14, s13, s14
	s_delay_alu instid0(SALU_CYCLE_1)
	s_and_saveexec_b32 s35, s14
; %bb.1672:                             ;   in Loop: Header=BB6_1339 Depth=3
	v_lshrrev_b32_e32 v12, 16, v13
	v_cmp_lt_u16_e32 vcc_lo, 0x7c00, v43
	s_delay_alu instid0(VALU_DEP_2) | instskip(SKIP_1) | instid1(VALU_DEP_1)
	v_cmp_gt_f16_e64 s14, v13, v12
	s_and_b32 s13, s13, vcc_lo
	v_cndmask_b32_e64 v12, v13, v12, s14
	s_delay_alu instid0(VALU_DEP_1)
	v_cndmask_b32_e64 v42, v12, 0x7fff, s13
; %bb.1673:                             ;   in Loop: Header=BB6_1339 Depth=3
	s_or_b32 exec_lo, exec_lo, s35
	s_delay_alu instid0(VALU_DEP_1)
	v_mov_b32_e32 v44, v42
.LBB6_1674:                             ;   in Loop: Header=BB6_1339 Depth=3
	s_or_b32 exec_lo, exec_lo, s15
	s_delay_alu instid0(VALU_DEP_1)
	v_mov_b32_e32 v12, v44
.LBB6_1675:                             ;   in Loop: Header=BB6_1339 Depth=3
	v_and_b32_e32 v13, 0x7fff, v14
	v_and_b32_e32 v42, 0x7fff, v10
	v_perm_b32 v43, v10, v14, 0x5040100
	s_mov_b32 s15, -1
	s_and_not1_b32 vcc_lo, exec_lo, s34
	v_cmp_lt_u16_e64 s13, 0x7c00, v13
	v_cmp_gt_u16_e64 s14, 0x7c01, v42
                                        ; implicit-def: $vgpr13
	s_delay_alu instid0(VALU_DEP_1) | instskip(NEXT) | instid1(SALU_CYCLE_1)
	s_and_b32 s35, s13, s14
	s_xor_b32 s35, s35, -1
	s_cbranch_vccnz .LBB6_1681
; %bb.1676:                             ;   in Loop: Header=BB6_1339 Depth=3
	v_mov_b32_e32 v13, v10
	s_and_saveexec_b32 s36, s35
	s_cbranch_execz .LBB6_1680
; %bb.1677:                             ;   in Loop: Header=BB6_1339 Depth=3
	v_mov_b32_e32 v13, v14
	s_or_b32 s15, s13, s14
	s_delay_alu instid0(SALU_CYCLE_1)
	s_and_saveexec_b32 s37, s15
; %bb.1678:                             ;   in Loop: Header=BB6_1339 Depth=3
	v_lshrrev_b32_e32 v13, 16, v43
	v_cmp_lt_u16_e32 vcc_lo, 0x7c00, v42
	s_delay_alu instid0(VALU_DEP_2) | instskip(NEXT) | instid1(VALU_DEP_1)
	v_cmp_gt_f16_e64 s15, v43, v13
	v_cndmask_b32_e64 v13, v13, v43, s15
	s_and_b32 s15, s13, vcc_lo
	s_delay_alu instid0(VALU_DEP_1) | instid1(SALU_CYCLE_1)
	v_cndmask_b32_e64 v13, v13, 0x7fff, s15
; %bb.1679:                             ;   in Loop: Header=BB6_1339 Depth=3
	s_or_b32 exec_lo, exec_lo, s37
.LBB6_1680:                             ;   in Loop: Header=BB6_1339 Depth=3
	s_delay_alu instid0(SALU_CYCLE_1)
	s_or_b32 exec_lo, exec_lo, s36
	s_mov_b32 s15, 0
.LBB6_1681:                             ;   in Loop: Header=BB6_1339 Depth=3
	s_delay_alu instid0(SALU_CYCLE_1)
	s_and_not1_b32 vcc_lo, exec_lo, s15
	s_cbranch_vccnz .LBB6_1687
; %bb.1682:                             ;   in Loop: Header=BB6_1339 Depth=3
	v_mov_b32_e32 v13, v10
	s_and_saveexec_b32 s15, s35
	s_cbranch_execz .LBB6_1686
; %bb.1683:                             ;   in Loop: Header=BB6_1339 Depth=3
	v_mov_b32_e32 v13, v14
	s_or_b32 s14, s13, s14
	s_delay_alu instid0(SALU_CYCLE_1)
	s_and_saveexec_b32 s35, s14
; %bb.1684:                             ;   in Loop: Header=BB6_1339 Depth=3
	v_lshrrev_b32_e32 v13, 16, v43
	v_cmp_lt_u16_e32 vcc_lo, 0x7c00, v42
	s_delay_alu instid0(VALU_DEP_2) | instskip(SKIP_1) | instid1(VALU_DEP_1)
	v_cmp_gt_f16_e64 s14, v43, v13
	s_and_b32 s13, s13, vcc_lo
	v_cndmask_b32_e64 v13, v43, v13, s14
	s_delay_alu instid0(VALU_DEP_1)
	v_cndmask_b32_e64 v13, v13, 0x7fff, s13
; %bb.1685:                             ;   in Loop: Header=BB6_1339 Depth=3
	s_or_b32 exec_lo, exec_lo, s35
.LBB6_1686:                             ;   in Loop: Header=BB6_1339 Depth=3
	s_delay_alu instid0(SALU_CYCLE_1)
	s_or_b32 exec_lo, exec_lo, s15
.LBB6_1687:                             ;   in Loop: Header=BB6_1339 Depth=3
	v_mov_b32_e32 v44, v14
	v_lshrrev_b32_e32 v43, 16, v10
	s_mov_b32 s15, -1
	s_and_not1_b32 vcc_lo, exec_lo, s34
	s_delay_alu instid0(VALU_DEP_2) | instskip(NEXT) | instid1(VALU_DEP_2)
	v_lshrrev_b32_e32 v14, 16, v44
	v_and_b32_e32 v42, 0x7fff, v43
	s_delay_alu instid0(VALU_DEP_2) | instskip(NEXT) | instid1(VALU_DEP_2)
	v_and_b32_e32 v45, 0x7fff, v14
	v_cmp_gt_u16_e64 s14, 0x7c01, v42
	v_perm_b32 v44, v10, v44, 0x7060302
                                        ; implicit-def: $vgpr10
	s_delay_alu instid0(VALU_DEP_3) | instskip(NEXT) | instid1(VALU_DEP_1)
	v_cmp_lt_u16_e64 s13, 0x7c00, v45
	s_and_b32 s35, s13, s14
	s_delay_alu instid0(SALU_CYCLE_1)
	s_xor_b32 s35, s35, -1
	s_cbranch_vccnz .LBB6_1693
; %bb.1688:                             ;   in Loop: Header=BB6_1339 Depth=3
	v_mov_b32_e32 v10, v43
	s_and_saveexec_b32 s36, s35
	s_cbranch_execz .LBB6_1692
; %bb.1689:                             ;   in Loop: Header=BB6_1339 Depth=3
	v_mov_b32_e32 v10, v14
	s_or_b32 s15, s13, s14
	s_delay_alu instid0(SALU_CYCLE_1)
	s_and_saveexec_b32 s37, s15
; %bb.1690:                             ;   in Loop: Header=BB6_1339 Depth=3
	v_lshrrev_b32_e32 v10, 16, v44
	v_cmp_lt_u16_e32 vcc_lo, 0x7c00, v42
	s_delay_alu instid0(VALU_DEP_2) | instskip(NEXT) | instid1(VALU_DEP_1)
	v_cmp_gt_f16_e64 s15, v44, v10
	v_cndmask_b32_e64 v10, v10, v44, s15
	s_and_b32 s15, s13, vcc_lo
	s_delay_alu instid0(VALU_DEP_1) | instid1(SALU_CYCLE_1)
	v_cndmask_b32_e64 v10, v10, 0x7fff, s15
; %bb.1691:                             ;   in Loop: Header=BB6_1339 Depth=3
	s_or_b32 exec_lo, exec_lo, s37
.LBB6_1692:                             ;   in Loop: Header=BB6_1339 Depth=3
	s_delay_alu instid0(SALU_CYCLE_1)
	s_or_b32 exec_lo, exec_lo, s36
	s_mov_b32 s15, 0
.LBB6_1693:                             ;   in Loop: Header=BB6_1339 Depth=3
	s_delay_alu instid0(SALU_CYCLE_1)
	s_and_not1_b32 vcc_lo, exec_lo, s15
	s_cbranch_vccnz .LBB6_1699
; %bb.1694:                             ;   in Loop: Header=BB6_1339 Depth=3
	s_and_saveexec_b32 s15, s35
	s_cbranch_execz .LBB6_1698
; %bb.1695:                             ;   in Loop: Header=BB6_1339 Depth=3
	s_or_b32 s14, s13, s14
	s_delay_alu instid0(SALU_CYCLE_1)
	s_and_saveexec_b32 s35, s14
; %bb.1696:                             ;   in Loop: Header=BB6_1339 Depth=3
	v_lshrrev_b32_e32 v10, 16, v44
	v_cmp_lt_u16_e32 vcc_lo, 0x7c00, v42
	s_delay_alu instid0(VALU_DEP_2) | instskip(SKIP_1) | instid1(VALU_DEP_1)
	v_cmp_gt_f16_e64 s14, v44, v10
	s_and_b32 s13, s13, vcc_lo
	v_cndmask_b32_e64 v10, v44, v10, s14
	s_delay_alu instid0(VALU_DEP_1)
	v_cndmask_b32_e64 v14, v10, 0x7fff, s13
; %bb.1697:                             ;   in Loop: Header=BB6_1339 Depth=3
	s_or_b32 exec_lo, exec_lo, s35
	s_delay_alu instid0(VALU_DEP_1)
	v_mov_b32_e32 v43, v14
.LBB6_1698:                             ;   in Loop: Header=BB6_1339 Depth=3
	s_or_b32 exec_lo, exec_lo, s15
	s_delay_alu instid0(VALU_DEP_1)
	v_mov_b32_e32 v10, v43
.LBB6_1699:                             ;   in Loop: Header=BB6_1339 Depth=3
	v_and_b32_e32 v14, 0x7fff, v15
	v_and_b32_e32 v42, 0x7fff, v11
	v_perm_b32 v43, v11, v15, 0x5040100
	s_mov_b32 s15, -1
	s_and_not1_b32 vcc_lo, exec_lo, s34
	v_cmp_lt_u16_e64 s13, 0x7c00, v14
	v_cmp_gt_u16_e64 s14, 0x7c01, v42
                                        ; implicit-def: $vgpr14
	s_delay_alu instid0(VALU_DEP_1) | instskip(NEXT) | instid1(SALU_CYCLE_1)
	s_and_b32 s35, s13, s14
	s_xor_b32 s35, s35, -1
	s_cbranch_vccnz .LBB6_1705
; %bb.1700:                             ;   in Loop: Header=BB6_1339 Depth=3
	v_mov_b32_e32 v14, v11
	s_and_saveexec_b32 s36, s35
	s_cbranch_execz .LBB6_1704
; %bb.1701:                             ;   in Loop: Header=BB6_1339 Depth=3
	v_mov_b32_e32 v14, v15
	s_or_b32 s15, s13, s14
	s_delay_alu instid0(SALU_CYCLE_1)
	s_and_saveexec_b32 s37, s15
; %bb.1702:                             ;   in Loop: Header=BB6_1339 Depth=3
	v_lshrrev_b32_e32 v14, 16, v43
	v_cmp_lt_u16_e32 vcc_lo, 0x7c00, v42
	s_delay_alu instid0(VALU_DEP_2) | instskip(NEXT) | instid1(VALU_DEP_1)
	v_cmp_gt_f16_e64 s15, v43, v14
	v_cndmask_b32_e64 v14, v14, v43, s15
	s_and_b32 s15, s13, vcc_lo
	s_delay_alu instid0(VALU_DEP_1) | instid1(SALU_CYCLE_1)
	v_cndmask_b32_e64 v14, v14, 0x7fff, s15
; %bb.1703:                             ;   in Loop: Header=BB6_1339 Depth=3
	s_or_b32 exec_lo, exec_lo, s37
.LBB6_1704:                             ;   in Loop: Header=BB6_1339 Depth=3
	s_delay_alu instid0(SALU_CYCLE_1)
	s_or_b32 exec_lo, exec_lo, s36
	s_mov_b32 s15, 0
.LBB6_1705:                             ;   in Loop: Header=BB6_1339 Depth=3
	s_delay_alu instid0(SALU_CYCLE_1)
	s_and_not1_b32 vcc_lo, exec_lo, s15
	s_cbranch_vccnz .LBB6_1711
; %bb.1706:                             ;   in Loop: Header=BB6_1339 Depth=3
	v_mov_b32_e32 v14, v11
	s_and_saveexec_b32 s15, s35
	s_cbranch_execz .LBB6_1710
; %bb.1707:                             ;   in Loop: Header=BB6_1339 Depth=3
	v_mov_b32_e32 v14, v15
	s_or_b32 s14, s13, s14
	s_delay_alu instid0(SALU_CYCLE_1)
	s_and_saveexec_b32 s35, s14
; %bb.1708:                             ;   in Loop: Header=BB6_1339 Depth=3
	v_lshrrev_b32_e32 v14, 16, v43
	v_cmp_lt_u16_e32 vcc_lo, 0x7c00, v42
	s_delay_alu instid0(VALU_DEP_2) | instskip(SKIP_1) | instid1(VALU_DEP_1)
	v_cmp_gt_f16_e64 s14, v43, v14
	s_and_b32 s13, s13, vcc_lo
	v_cndmask_b32_e64 v14, v43, v14, s14
	s_delay_alu instid0(VALU_DEP_1)
	v_cndmask_b32_e64 v14, v14, 0x7fff, s13
; %bb.1709:                             ;   in Loop: Header=BB6_1339 Depth=3
	s_or_b32 exec_lo, exec_lo, s35
.LBB6_1710:                             ;   in Loop: Header=BB6_1339 Depth=3
	s_delay_alu instid0(SALU_CYCLE_1)
	s_or_b32 exec_lo, exec_lo, s15
.LBB6_1711:                             ;   in Loop: Header=BB6_1339 Depth=3
	v_lshrrev_b32_e32 v42, 16, v15
	v_lshrrev_b32_e32 v44, 16, v11
	v_perm_b32 v15, v11, v15, 0x7060302
	s_mov_b32 s15, -1
	s_and_not1_b32 vcc_lo, exec_lo, s34
	v_and_b32_e32 v45, 0x7fff, v42
	v_and_b32_e32 v43, 0x7fff, v44
                                        ; implicit-def: $vgpr11
	s_delay_alu instid0(VALU_DEP_2) | instskip(NEXT) | instid1(VALU_DEP_2)
	v_cmp_lt_u16_e64 s13, 0x7c00, v45
	v_cmp_gt_u16_e64 s14, 0x7c01, v43
	s_delay_alu instid0(VALU_DEP_1) | instskip(NEXT) | instid1(SALU_CYCLE_1)
	s_and_b32 s35, s13, s14
	s_xor_b32 s35, s35, -1
	s_cbranch_vccnz .LBB6_1717
; %bb.1712:                             ;   in Loop: Header=BB6_1339 Depth=3
	v_mov_b32_e32 v11, v44
	s_and_saveexec_b32 s36, s35
	s_cbranch_execz .LBB6_1716
; %bb.1713:                             ;   in Loop: Header=BB6_1339 Depth=3
	v_mov_b32_e32 v11, v42
	s_or_b32 s15, s13, s14
	s_delay_alu instid0(SALU_CYCLE_1)
	s_and_saveexec_b32 s37, s15
; %bb.1714:                             ;   in Loop: Header=BB6_1339 Depth=3
	v_lshrrev_b32_e32 v11, 16, v15
	v_cmp_lt_u16_e32 vcc_lo, 0x7c00, v43
	s_delay_alu instid0(VALU_DEP_2) | instskip(NEXT) | instid1(VALU_DEP_1)
	v_cmp_gt_f16_e64 s15, v15, v11
	v_cndmask_b32_e64 v11, v11, v15, s15
	s_and_b32 s15, s13, vcc_lo
	s_delay_alu instid0(VALU_DEP_1) | instid1(SALU_CYCLE_1)
	v_cndmask_b32_e64 v11, v11, 0x7fff, s15
; %bb.1715:                             ;   in Loop: Header=BB6_1339 Depth=3
	s_or_b32 exec_lo, exec_lo, s37
.LBB6_1716:                             ;   in Loop: Header=BB6_1339 Depth=3
	s_delay_alu instid0(SALU_CYCLE_1)
	s_or_b32 exec_lo, exec_lo, s36
	s_mov_b32 s15, 0
.LBB6_1717:                             ;   in Loop: Header=BB6_1339 Depth=3
	s_delay_alu instid0(SALU_CYCLE_1)
	s_and_not1_b32 vcc_lo, exec_lo, s15
	s_cbranch_vccnz .LBB6_1338
; %bb.1718:                             ;   in Loop: Header=BB6_1339 Depth=3
	s_and_saveexec_b32 s15, s35
	s_cbranch_execz .LBB6_1337
; %bb.1719:                             ;   in Loop: Header=BB6_1339 Depth=3
	s_or_b32 s14, s13, s14
	s_delay_alu instid0(SALU_CYCLE_1)
	s_and_saveexec_b32 s35, s14
	s_cbranch_execz .LBB6_1336
; %bb.1720:                             ;   in Loop: Header=BB6_1339 Depth=3
	v_lshrrev_b32_e32 v11, 16, v15
	v_cmp_lt_u16_e32 vcc_lo, 0x7c00, v43
	s_delay_alu instid0(VALU_DEP_2) | instskip(SKIP_1) | instid1(VALU_DEP_1)
	v_cmp_gt_f16_e64 s14, v15, v11
	s_and_b32 s13, s13, vcc_lo
	v_cndmask_b32_e64 v11, v15, v11, s14
	s_delay_alu instid0(VALU_DEP_1)
	v_cndmask_b32_e64 v42, v11, 0x7fff, s13
	s_branch .LBB6_1336
.LBB6_1721:                             ;   in Loop: Header=BB6_1249 Depth=2
	s_or_b32 exec_lo, exec_lo, s31
.LBB6_1722:                             ;   in Loop: Header=BB6_1249 Depth=2
	s_delay_alu instid0(SALU_CYCLE_1) | instskip(SKIP_4) | instid1(VALU_DEP_2)
	s_or_b32 exec_lo, exec_lo, s16
	v_lshlrev_b32_e32 v24, 11, v40
	v_mov_b32_e32 v16, 0
	s_mov_b32 s13, 0
	s_mov_b32 s31, exec_lo
                                        ; implicit-def: $vgpr17
                                        ; implicit-def: $vgpr18
                                        ; implicit-def: $vgpr8
	v_cmpx_ne_u32_e64 v2, v24
	s_cbranch_execz .LBB6_1829
; %bb.1723:                             ;   in Loop: Header=BB6_1249 Depth=2
	v_lshlrev_b32_e32 v8, 5, v113
	v_sub_nc_u32_e32 v10, v2, v24
	s_mov_b32 s34, exec_lo
	s_delay_alu instid0(VALU_DEP_2) | instskip(NEXT) | instid1(VALU_DEP_2)
	v_sub_nc_u32_e32 v8, v144, v8
	v_ashrrev_i32_e32 v11, 31, v10
	s_delay_alu instid0(VALU_DEP_2) | instskip(NEXT) | instid1(VALU_DEP_2)
	v_ashrrev_i32_e32 v9, 31, v8
	v_lshrrev_b32_e32 v11, 23, v11
	s_delay_alu instid0(VALU_DEP_2) | instskip(NEXT) | instid1(VALU_DEP_2)
	v_lshrrev_b32_e32 v9, 27, v9
	v_add_nc_u32_e32 v11, v10, v11
	s_delay_alu instid0(VALU_DEP_2) | instskip(NEXT) | instid1(VALU_DEP_2)
	v_add_nc_u32_e32 v9, v8, v9
	v_and_b32_e32 v25, 0xfffffe00, v11
	v_ashrrev_i32_e32 v11, 9, v11
	s_delay_alu instid0(VALU_DEP_3) | instskip(NEXT) | instid1(VALU_DEP_3)
	v_and_b32_e32 v12, 0xffffffe0, v9
	v_sub_nc_u32_e32 v27, v10, v25
	v_ashrrev_i32_e32 v9, 5, v9
	s_delay_alu instid0(VALU_DEP_3) | instskip(NEXT) | instid1(VALU_DEP_3)
	v_sub_nc_u32_e32 v26, v8, v12
	v_cmp_lt_i32_e64 s13, 15, v27
	s_delay_alu instid0(VALU_DEP_2) | instskip(NEXT) | instid1(VALU_DEP_2)
	v_lshlrev_b32_e32 v8, 4, v26
	v_add_co_ci_u32_e64 v11, vcc_lo, 0, v11, s13
	s_delay_alu instid0(VALU_DEP_2) | instskip(NEXT) | instid1(VALU_DEP_2)
	v_lshl_add_u32 v8, v9, 9, v8
	v_sub_nc_u32_e32 v32, v11, v9
	s_delay_alu instid0(VALU_DEP_2) | instskip(NEXT) | instid1(VALU_DEP_1)
	v_sub_nc_u32_e32 v33, v10, v8
	v_cmpx_lt_i32_e32 15, v33
	s_cbranch_execz .LBB6_1826
; %bb.1724:                             ;   in Loop: Header=BB6_1249 Depth=2
	s_cbranch_execnz .LBB6_3875
; %bb.1725:                             ;   in Loop: Header=BB6_1249 Depth=2
	ds_load_b128 v[9:12], v0
	v_add_nc_u32_e32 v8, v8, v24
	s_bitcmp1_b32 s30, 0
	s_mov_b32 s35, 0
	s_cselect_b32 s36, -1, 0
	s_delay_alu instid0(VALU_DEP_1) | instskip(SKIP_2) | instid1(VALU_DEP_2)
	v_ashrrev_i32_e32 v13, 31, v8
	s_waitcnt lgkmcnt(0)
	v_add_co_u32 v16, vcc_lo, v9, v8
	v_add_co_ci_u32_e32 v17, vcc_lo, v10, v13, vcc_lo
	s_delay_alu instid0(VALU_DEP_1) | instskip(SKIP_2) | instid1(VALU_DEP_1)
	v_mov_b32_e32 v21, v17
	v_add_co_u32 v18, vcc_lo, v11, v8
	v_add_co_ci_u32_e32 v19, vcc_lo, v12, v13, vcc_lo
	v_dual_mov_b32 v20, v16 :: v_dual_mov_b32 v23, v19
	s_delay_alu instid0(VALU_DEP_3)
	v_mov_b32_e32 v22, v18
.LBB6_1726:                             ;   Parent Loop BB6_51 Depth=1
                                        ;     Parent Loop BB6_1249 Depth=2
                                        ; =>    This Loop Header: Depth=3
                                        ;         Child Loop BB6_1823 Depth 4
	global_load_b128 v[12:15], v[20:21], off slc dlc
	global_load_b128 v[8:11], v[22:23], off slc dlc
	s_mov_b32 s16, -1
	s_and_b32 vcc_lo, exec_lo, s36
	s_waitcnt vmcnt(1)
	v_and_b32_e32 v34, 0x7fff, v12
	s_waitcnt vmcnt(0)
	v_and_b32_e32 v35, 0x7fff, v8
	v_perm_b32 v36, v8, v12, 0x5040100
	s_delay_alu instid0(VALU_DEP_3) | instskip(NEXT) | instid1(VALU_DEP_3)
	v_cmp_lt_u16_e64 s14, 0x7c00, v34
	v_cmp_gt_u16_e64 s15, 0x7c01, v35
                                        ; implicit-def: $vgpr34
	s_delay_alu instid0(VALU_DEP_1) | instskip(NEXT) | instid1(SALU_CYCLE_1)
	s_and_b32 s37, s14, s15
	s_xor_b32 s37, s37, -1
	s_cbranch_vccz .LBB6_1732
; %bb.1727:                             ;   in Loop: Header=BB6_1726 Depth=3
	v_mov_b32_e32 v34, v8
	s_and_saveexec_b32 s38, s37
	s_cbranch_execz .LBB6_1731
; %bb.1728:                             ;   in Loop: Header=BB6_1726 Depth=3
	v_mov_b32_e32 v34, v12
	s_or_b32 s16, s14, s15
	s_delay_alu instid0(SALU_CYCLE_1)
	s_and_saveexec_b32 s39, s16
; %bb.1729:                             ;   in Loop: Header=BB6_1726 Depth=3
	v_lshrrev_b32_e32 v34, 16, v36
	v_cmp_lt_u16_e32 vcc_lo, 0x7c00, v35
	s_delay_alu instid0(VALU_DEP_2) | instskip(NEXT) | instid1(VALU_DEP_1)
	v_cmp_gt_f16_e64 s16, v36, v34
	v_cndmask_b32_e64 v34, v34, v36, s16
	s_and_b32 s16, s14, vcc_lo
	s_delay_alu instid0(VALU_DEP_1) | instid1(SALU_CYCLE_1)
	v_cndmask_b32_e64 v34, v34, 0x7fff, s16
; %bb.1730:                             ;   in Loop: Header=BB6_1726 Depth=3
	s_or_b32 exec_lo, exec_lo, s39
.LBB6_1731:                             ;   in Loop: Header=BB6_1726 Depth=3
	s_delay_alu instid0(SALU_CYCLE_1)
	s_or_b32 exec_lo, exec_lo, s38
	s_mov_b32 s16, 0
.LBB6_1732:                             ;   in Loop: Header=BB6_1726 Depth=3
	s_delay_alu instid0(SALU_CYCLE_1)
	s_and_not1_b32 vcc_lo, exec_lo, s16
	s_cbranch_vccnz .LBB6_1738
; %bb.1733:                             ;   in Loop: Header=BB6_1726 Depth=3
	v_mov_b32_e32 v34, v8
	s_and_saveexec_b32 s16, s37
	s_cbranch_execz .LBB6_1737
; %bb.1734:                             ;   in Loop: Header=BB6_1726 Depth=3
	v_mov_b32_e32 v34, v12
	s_or_b32 s15, s14, s15
	s_delay_alu instid0(SALU_CYCLE_1)
	s_and_saveexec_b32 s37, s15
; %bb.1735:                             ;   in Loop: Header=BB6_1726 Depth=3
	v_lshrrev_b32_e32 v34, 16, v36
	v_cmp_lt_u16_e32 vcc_lo, 0x7c00, v35
	s_delay_alu instid0(VALU_DEP_2) | instskip(SKIP_1) | instid1(VALU_DEP_1)
	v_cmp_gt_f16_e64 s15, v36, v34
	s_and_b32 s14, s14, vcc_lo
	v_cndmask_b32_e64 v34, v36, v34, s15
	s_delay_alu instid0(VALU_DEP_1)
	v_cndmask_b32_e64 v34, v34, 0x7fff, s14
; %bb.1736:                             ;   in Loop: Header=BB6_1726 Depth=3
	s_or_b32 exec_lo, exec_lo, s37
.LBB6_1737:                             ;   in Loop: Header=BB6_1726 Depth=3
	s_delay_alu instid0(SALU_CYCLE_1)
	s_or_b32 exec_lo, exec_lo, s16
.LBB6_1738:                             ;   in Loop: Header=BB6_1726 Depth=3
	v_mov_b32_e32 v38, v12
	v_mov_b32_e32 v12, v13
	;; [unrolled: 1-line block ×3, first 2 shown]
	s_mov_b32 s16, -1
	s_and_b32 vcc_lo, exec_lo, s36
	v_lshrrev_b32_e32 v35, 16, v38
	s_delay_alu instid0(VALU_DEP_1) | instskip(NEXT) | instid1(VALU_DEP_1)
	v_dual_mov_b32 v39, v8 :: v_dual_and_b32 v8, 0x7fff, v35
	v_lshrrev_b32_e32 v37, 16, v39
	v_perm_b32 v9, v39, v38, 0x7060302
	s_delay_alu instid0(VALU_DEP_3) | instskip(NEXT) | instid1(VALU_DEP_3)
	v_cmp_lt_u16_e64 s14, 0x7c00, v8
	v_and_b32_e32 v36, 0x7fff, v37
                                        ; implicit-def: $vgpr8
	s_delay_alu instid0(VALU_DEP_1) | instskip(NEXT) | instid1(VALU_DEP_1)
	v_cmp_gt_u16_e64 s15, 0x7c01, v36
	s_and_b32 s37, s14, s15
	s_delay_alu instid0(SALU_CYCLE_1)
	s_xor_b32 s37, s37, -1
	s_cbranch_vccz .LBB6_1744
; %bb.1739:                             ;   in Loop: Header=BB6_1726 Depth=3
	v_mov_b32_e32 v8, v37
	s_and_saveexec_b32 s38, s37
	s_cbranch_execz .LBB6_1743
; %bb.1740:                             ;   in Loop: Header=BB6_1726 Depth=3
	v_mov_b32_e32 v8, v35
	s_or_b32 s16, s14, s15
	s_delay_alu instid0(SALU_CYCLE_1)
	s_and_saveexec_b32 s39, s16
; %bb.1741:                             ;   in Loop: Header=BB6_1726 Depth=3
	v_lshrrev_b32_e32 v8, 16, v9
	v_cmp_lt_u16_e32 vcc_lo, 0x7c00, v36
	s_delay_alu instid0(VALU_DEP_2) | instskip(NEXT) | instid1(VALU_DEP_1)
	v_cmp_gt_f16_e64 s16, v9, v8
	v_cndmask_b32_e64 v8, v8, v9, s16
	s_and_b32 s16, s14, vcc_lo
	s_delay_alu instid0(VALU_DEP_1) | instid1(SALU_CYCLE_1)
	v_cndmask_b32_e64 v8, v8, 0x7fff, s16
; %bb.1742:                             ;   in Loop: Header=BB6_1726 Depth=3
	s_or_b32 exec_lo, exec_lo, s39
.LBB6_1743:                             ;   in Loop: Header=BB6_1726 Depth=3
	s_delay_alu instid0(SALU_CYCLE_1)
	s_or_b32 exec_lo, exec_lo, s38
	s_mov_b32 s16, 0
.LBB6_1744:                             ;   in Loop: Header=BB6_1726 Depth=3
	s_delay_alu instid0(SALU_CYCLE_1)
	s_and_not1_b32 vcc_lo, exec_lo, s16
	s_cbranch_vccnz .LBB6_1750
; %bb.1745:                             ;   in Loop: Header=BB6_1726 Depth=3
	s_and_saveexec_b32 s16, s37
	s_cbranch_execz .LBB6_1749
; %bb.1746:                             ;   in Loop: Header=BB6_1726 Depth=3
	s_or_b32 s15, s14, s15
	s_delay_alu instid0(SALU_CYCLE_1)
	s_and_saveexec_b32 s37, s15
; %bb.1747:                             ;   in Loop: Header=BB6_1726 Depth=3
	v_lshrrev_b32_e32 v8, 16, v9
	v_cmp_lt_u16_e32 vcc_lo, 0x7c00, v36
	s_delay_alu instid0(VALU_DEP_2) | instskip(SKIP_1) | instid1(VALU_DEP_1)
	v_cmp_gt_f16_e64 s15, v9, v8
	s_and_b32 s14, s14, vcc_lo
	v_cndmask_b32_e64 v8, v9, v8, s15
	s_delay_alu instid0(VALU_DEP_1)
	v_cndmask_b32_e64 v35, v8, 0x7fff, s14
; %bb.1748:                             ;   in Loop: Header=BB6_1726 Depth=3
	s_or_b32 exec_lo, exec_lo, s37
	s_delay_alu instid0(VALU_DEP_1)
	v_mov_b32_e32 v37, v35
.LBB6_1749:                             ;   in Loop: Header=BB6_1726 Depth=3
	s_or_b32 exec_lo, exec_lo, s16
	s_delay_alu instid0(VALU_DEP_1)
	v_mov_b32_e32 v8, v37
.LBB6_1750:                             ;   in Loop: Header=BB6_1726 Depth=3
	v_and_b32_e32 v9, 0x7fff, v12
	v_and_b32_e32 v35, 0x7fff, v13
	v_perm_b32 v36, v13, v12, 0x5040100
	s_mov_b32 s16, -1
	s_and_b32 vcc_lo, exec_lo, s36
	v_cmp_lt_u16_e64 s14, 0x7c00, v9
	v_cmp_gt_u16_e64 s15, 0x7c01, v35
                                        ; implicit-def: $vgpr9
	s_delay_alu instid0(VALU_DEP_1) | instskip(NEXT) | instid1(SALU_CYCLE_1)
	s_and_b32 s37, s14, s15
	s_xor_b32 s37, s37, -1
	s_cbranch_vccz .LBB6_1756
; %bb.1751:                             ;   in Loop: Header=BB6_1726 Depth=3
	v_mov_b32_e32 v9, v13
	s_and_saveexec_b32 s38, s37
	s_cbranch_execz .LBB6_1755
; %bb.1752:                             ;   in Loop: Header=BB6_1726 Depth=3
	v_mov_b32_e32 v9, v12
	s_or_b32 s16, s14, s15
	s_delay_alu instid0(SALU_CYCLE_1)
	s_and_saveexec_b32 s39, s16
; %bb.1753:                             ;   in Loop: Header=BB6_1726 Depth=3
	v_lshrrev_b32_e32 v9, 16, v36
	v_cmp_lt_u16_e32 vcc_lo, 0x7c00, v35
	s_delay_alu instid0(VALU_DEP_2) | instskip(NEXT) | instid1(VALU_DEP_1)
	v_cmp_gt_f16_e64 s16, v36, v9
	v_cndmask_b32_e64 v9, v9, v36, s16
	s_and_b32 s16, s14, vcc_lo
	s_delay_alu instid0(VALU_DEP_1) | instid1(SALU_CYCLE_1)
	v_cndmask_b32_e64 v9, v9, 0x7fff, s16
; %bb.1754:                             ;   in Loop: Header=BB6_1726 Depth=3
	s_or_b32 exec_lo, exec_lo, s39
.LBB6_1755:                             ;   in Loop: Header=BB6_1726 Depth=3
	s_delay_alu instid0(SALU_CYCLE_1)
	s_or_b32 exec_lo, exec_lo, s38
	s_mov_b32 s16, 0
.LBB6_1756:                             ;   in Loop: Header=BB6_1726 Depth=3
	s_delay_alu instid0(SALU_CYCLE_1)
	s_and_not1_b32 vcc_lo, exec_lo, s16
	s_cbranch_vccnz .LBB6_1762
; %bb.1757:                             ;   in Loop: Header=BB6_1726 Depth=3
	v_mov_b32_e32 v9, v13
	s_and_saveexec_b32 s16, s37
	s_cbranch_execz .LBB6_1761
; %bb.1758:                             ;   in Loop: Header=BB6_1726 Depth=3
	v_mov_b32_e32 v9, v12
	s_or_b32 s15, s14, s15
	s_delay_alu instid0(SALU_CYCLE_1)
	s_and_saveexec_b32 s37, s15
; %bb.1759:                             ;   in Loop: Header=BB6_1726 Depth=3
	v_lshrrev_b32_e32 v9, 16, v36
	v_cmp_lt_u16_e32 vcc_lo, 0x7c00, v35
	s_delay_alu instid0(VALU_DEP_2) | instskip(SKIP_1) | instid1(VALU_DEP_1)
	v_cmp_gt_f16_e64 s15, v36, v9
	s_and_b32 s14, s14, vcc_lo
	v_cndmask_b32_e64 v9, v36, v9, s15
	s_delay_alu instid0(VALU_DEP_1)
	v_cndmask_b32_e64 v9, v9, 0x7fff, s14
; %bb.1760:                             ;   in Loop: Header=BB6_1726 Depth=3
	s_or_b32 exec_lo, exec_lo, s37
.LBB6_1761:                             ;   in Loop: Header=BB6_1726 Depth=3
	s_delay_alu instid0(SALU_CYCLE_1)
	s_or_b32 exec_lo, exec_lo, s16
.LBB6_1762:                             ;   in Loop: Header=BB6_1726 Depth=3
	v_lshrrev_b32_e32 v35, 16, v12
	v_lshrrev_b32_e32 v37, 16, v13
	v_perm_b32 v13, v13, v12, 0x7060302
	s_mov_b32 s16, -1
	s_and_b32 vcc_lo, exec_lo, s36
	v_and_b32_e32 v38, 0x7fff, v35
	v_and_b32_e32 v36, 0x7fff, v37
                                        ; implicit-def: $vgpr12
	s_delay_alu instid0(VALU_DEP_2) | instskip(NEXT) | instid1(VALU_DEP_2)
	v_cmp_lt_u16_e64 s14, 0x7c00, v38
	v_cmp_gt_u16_e64 s15, 0x7c01, v36
	s_delay_alu instid0(VALU_DEP_1) | instskip(NEXT) | instid1(SALU_CYCLE_1)
	s_and_b32 s37, s14, s15
	s_xor_b32 s37, s37, -1
	s_cbranch_vccz .LBB6_1768
; %bb.1763:                             ;   in Loop: Header=BB6_1726 Depth=3
	v_mov_b32_e32 v12, v37
	s_and_saveexec_b32 s38, s37
	s_cbranch_execz .LBB6_1767
; %bb.1764:                             ;   in Loop: Header=BB6_1726 Depth=3
	v_mov_b32_e32 v12, v35
	s_or_b32 s16, s14, s15
	s_delay_alu instid0(SALU_CYCLE_1)
	s_and_saveexec_b32 s39, s16
; %bb.1765:                             ;   in Loop: Header=BB6_1726 Depth=3
	v_lshrrev_b32_e32 v12, 16, v13
	v_cmp_lt_u16_e32 vcc_lo, 0x7c00, v36
	s_delay_alu instid0(VALU_DEP_2) | instskip(NEXT) | instid1(VALU_DEP_1)
	v_cmp_gt_f16_e64 s16, v13, v12
	v_cndmask_b32_e64 v12, v12, v13, s16
	s_and_b32 s16, s14, vcc_lo
	s_delay_alu instid0(VALU_DEP_1) | instid1(SALU_CYCLE_1)
	v_cndmask_b32_e64 v12, v12, 0x7fff, s16
; %bb.1766:                             ;   in Loop: Header=BB6_1726 Depth=3
	s_or_b32 exec_lo, exec_lo, s39
.LBB6_1767:                             ;   in Loop: Header=BB6_1726 Depth=3
	s_delay_alu instid0(SALU_CYCLE_1)
	s_or_b32 exec_lo, exec_lo, s38
	s_mov_b32 s16, 0
.LBB6_1768:                             ;   in Loop: Header=BB6_1726 Depth=3
	s_delay_alu instid0(SALU_CYCLE_1)
	s_and_not1_b32 vcc_lo, exec_lo, s16
	s_cbranch_vccnz .LBB6_1774
; %bb.1769:                             ;   in Loop: Header=BB6_1726 Depth=3
	s_and_saveexec_b32 s16, s37
	s_cbranch_execz .LBB6_1773
; %bb.1770:                             ;   in Loop: Header=BB6_1726 Depth=3
	s_or_b32 s15, s14, s15
	s_delay_alu instid0(SALU_CYCLE_1)
	s_and_saveexec_b32 s37, s15
; %bb.1771:                             ;   in Loop: Header=BB6_1726 Depth=3
	v_lshrrev_b32_e32 v12, 16, v13
	v_cmp_lt_u16_e32 vcc_lo, 0x7c00, v36
	s_delay_alu instid0(VALU_DEP_2) | instskip(SKIP_1) | instid1(VALU_DEP_1)
	v_cmp_gt_f16_e64 s15, v13, v12
	s_and_b32 s14, s14, vcc_lo
	v_cndmask_b32_e64 v12, v13, v12, s15
	s_delay_alu instid0(VALU_DEP_1)
	v_cndmask_b32_e64 v35, v12, 0x7fff, s14
; %bb.1772:                             ;   in Loop: Header=BB6_1726 Depth=3
	s_or_b32 exec_lo, exec_lo, s37
	s_delay_alu instid0(VALU_DEP_1)
	v_mov_b32_e32 v37, v35
.LBB6_1773:                             ;   in Loop: Header=BB6_1726 Depth=3
	s_or_b32 exec_lo, exec_lo, s16
	s_delay_alu instid0(VALU_DEP_1)
	v_mov_b32_e32 v12, v37
.LBB6_1774:                             ;   in Loop: Header=BB6_1726 Depth=3
	v_and_b32_e32 v13, 0x7fff, v14
	v_and_b32_e32 v35, 0x7fff, v10
	v_perm_b32 v36, v10, v14, 0x5040100
	s_mov_b32 s16, -1
	s_and_b32 vcc_lo, exec_lo, s36
	v_cmp_lt_u16_e64 s14, 0x7c00, v13
	v_cmp_gt_u16_e64 s15, 0x7c01, v35
                                        ; implicit-def: $vgpr13
	s_delay_alu instid0(VALU_DEP_1) | instskip(NEXT) | instid1(SALU_CYCLE_1)
	s_and_b32 s37, s14, s15
	s_xor_b32 s37, s37, -1
	s_cbranch_vccz .LBB6_1780
; %bb.1775:                             ;   in Loop: Header=BB6_1726 Depth=3
	v_mov_b32_e32 v13, v10
	s_and_saveexec_b32 s38, s37
	s_cbranch_execz .LBB6_1779
; %bb.1776:                             ;   in Loop: Header=BB6_1726 Depth=3
	v_mov_b32_e32 v13, v14
	s_or_b32 s16, s14, s15
	s_delay_alu instid0(SALU_CYCLE_1)
	s_and_saveexec_b32 s39, s16
; %bb.1777:                             ;   in Loop: Header=BB6_1726 Depth=3
	v_lshrrev_b32_e32 v13, 16, v36
	v_cmp_lt_u16_e32 vcc_lo, 0x7c00, v35
	s_delay_alu instid0(VALU_DEP_2) | instskip(NEXT) | instid1(VALU_DEP_1)
	v_cmp_gt_f16_e64 s16, v36, v13
	v_cndmask_b32_e64 v13, v13, v36, s16
	s_and_b32 s16, s14, vcc_lo
	s_delay_alu instid0(VALU_DEP_1) | instid1(SALU_CYCLE_1)
	v_cndmask_b32_e64 v13, v13, 0x7fff, s16
; %bb.1778:                             ;   in Loop: Header=BB6_1726 Depth=3
	s_or_b32 exec_lo, exec_lo, s39
.LBB6_1779:                             ;   in Loop: Header=BB6_1726 Depth=3
	s_delay_alu instid0(SALU_CYCLE_1)
	s_or_b32 exec_lo, exec_lo, s38
	s_mov_b32 s16, 0
.LBB6_1780:                             ;   in Loop: Header=BB6_1726 Depth=3
	s_delay_alu instid0(SALU_CYCLE_1)
	s_and_not1_b32 vcc_lo, exec_lo, s16
	s_cbranch_vccnz .LBB6_1786
; %bb.1781:                             ;   in Loop: Header=BB6_1726 Depth=3
	v_mov_b32_e32 v13, v10
	s_and_saveexec_b32 s16, s37
	s_cbranch_execz .LBB6_1785
; %bb.1782:                             ;   in Loop: Header=BB6_1726 Depth=3
	v_mov_b32_e32 v13, v14
	s_or_b32 s15, s14, s15
	s_delay_alu instid0(SALU_CYCLE_1)
	s_and_saveexec_b32 s37, s15
; %bb.1783:                             ;   in Loop: Header=BB6_1726 Depth=3
	v_lshrrev_b32_e32 v13, 16, v36
	v_cmp_lt_u16_e32 vcc_lo, 0x7c00, v35
	s_delay_alu instid0(VALU_DEP_2) | instskip(SKIP_1) | instid1(VALU_DEP_1)
	v_cmp_gt_f16_e64 s15, v36, v13
	s_and_b32 s14, s14, vcc_lo
	v_cndmask_b32_e64 v13, v36, v13, s15
	s_delay_alu instid0(VALU_DEP_1)
	v_cndmask_b32_e64 v13, v13, 0x7fff, s14
; %bb.1784:                             ;   in Loop: Header=BB6_1726 Depth=3
	s_or_b32 exec_lo, exec_lo, s37
.LBB6_1785:                             ;   in Loop: Header=BB6_1726 Depth=3
	s_delay_alu instid0(SALU_CYCLE_1)
	s_or_b32 exec_lo, exec_lo, s16
.LBB6_1786:                             ;   in Loop: Header=BB6_1726 Depth=3
	v_mov_b32_e32 v38, v14
	v_lshrrev_b32_e32 v37, 16, v10
	s_mov_b32 s16, -1
	s_and_b32 vcc_lo, exec_lo, s36
	s_delay_alu instid0(VALU_DEP_2) | instskip(NEXT) | instid1(VALU_DEP_2)
	v_lshrrev_b32_e32 v35, 16, v38
	v_and_b32_e32 v36, 0x7fff, v37
	v_perm_b32 v10, v10, v38, 0x7060302
	s_delay_alu instid0(VALU_DEP_3) | instskip(NEXT) | instid1(VALU_DEP_3)
	v_and_b32_e32 v14, 0x7fff, v35
	v_cmp_gt_u16_e64 s15, 0x7c01, v36
	s_delay_alu instid0(VALU_DEP_2) | instskip(NEXT) | instid1(VALU_DEP_1)
	v_cmp_lt_u16_e64 s14, 0x7c00, v14
                                        ; implicit-def: $vgpr14
	s_and_b32 s37, s14, s15
	s_delay_alu instid0(SALU_CYCLE_1)
	s_xor_b32 s37, s37, -1
	s_cbranch_vccz .LBB6_1792
; %bb.1787:                             ;   in Loop: Header=BB6_1726 Depth=3
	v_mov_b32_e32 v14, v37
	s_and_saveexec_b32 s38, s37
	s_cbranch_execz .LBB6_1791
; %bb.1788:                             ;   in Loop: Header=BB6_1726 Depth=3
	v_mov_b32_e32 v14, v35
	s_or_b32 s16, s14, s15
	s_delay_alu instid0(SALU_CYCLE_1)
	s_and_saveexec_b32 s39, s16
; %bb.1789:                             ;   in Loop: Header=BB6_1726 Depth=3
	v_lshrrev_b32_e32 v14, 16, v10
	v_cmp_lt_u16_e32 vcc_lo, 0x7c00, v36
	s_delay_alu instid0(VALU_DEP_2) | instskip(NEXT) | instid1(VALU_DEP_1)
	v_cmp_gt_f16_e64 s16, v10, v14
	v_cndmask_b32_e64 v14, v14, v10, s16
	s_and_b32 s16, s14, vcc_lo
	s_delay_alu instid0(VALU_DEP_1) | instid1(SALU_CYCLE_1)
	v_cndmask_b32_e64 v14, v14, 0x7fff, s16
; %bb.1790:                             ;   in Loop: Header=BB6_1726 Depth=3
	s_or_b32 exec_lo, exec_lo, s39
.LBB6_1791:                             ;   in Loop: Header=BB6_1726 Depth=3
	s_delay_alu instid0(SALU_CYCLE_1)
	s_or_b32 exec_lo, exec_lo, s38
	s_mov_b32 s16, 0
.LBB6_1792:                             ;   in Loop: Header=BB6_1726 Depth=3
	s_delay_alu instid0(SALU_CYCLE_1)
	s_and_not1_b32 vcc_lo, exec_lo, s16
	s_cbranch_vccnz .LBB6_1798
; %bb.1793:                             ;   in Loop: Header=BB6_1726 Depth=3
	s_and_saveexec_b32 s16, s37
	s_cbranch_execz .LBB6_1797
; %bb.1794:                             ;   in Loop: Header=BB6_1726 Depth=3
	s_or_b32 s15, s14, s15
	s_delay_alu instid0(SALU_CYCLE_1)
	s_and_saveexec_b32 s37, s15
; %bb.1795:                             ;   in Loop: Header=BB6_1726 Depth=3
	v_lshrrev_b32_e32 v14, 16, v10
	v_cmp_lt_u16_e32 vcc_lo, 0x7c00, v36
	s_delay_alu instid0(VALU_DEP_2) | instskip(SKIP_1) | instid1(VALU_DEP_1)
	v_cmp_gt_f16_e64 s15, v10, v14
	s_and_b32 s14, s14, vcc_lo
	v_cndmask_b32_e64 v10, v10, v14, s15
	s_delay_alu instid0(VALU_DEP_1)
	v_cndmask_b32_e64 v35, v10, 0x7fff, s14
; %bb.1796:                             ;   in Loop: Header=BB6_1726 Depth=3
	s_or_b32 exec_lo, exec_lo, s37
	s_delay_alu instid0(VALU_DEP_1)
	v_mov_b32_e32 v37, v35
.LBB6_1797:                             ;   in Loop: Header=BB6_1726 Depth=3
	s_or_b32 exec_lo, exec_lo, s16
	s_delay_alu instid0(VALU_DEP_1)
	v_mov_b32_e32 v14, v37
.LBB6_1798:                             ;   in Loop: Header=BB6_1726 Depth=3
	v_and_b32_e32 v10, 0x7fff, v15
	v_and_b32_e32 v35, 0x7fff, v11
	v_perm_b32 v36, v11, v15, 0x5040100
	s_mov_b32 s16, -1
	s_and_b32 vcc_lo, exec_lo, s36
	v_cmp_lt_u16_e64 s14, 0x7c00, v10
	v_cmp_gt_u16_e64 s15, 0x7c01, v35
                                        ; implicit-def: $vgpr10
	s_delay_alu instid0(VALU_DEP_1) | instskip(NEXT) | instid1(SALU_CYCLE_1)
	s_and_b32 s37, s14, s15
	s_xor_b32 s37, s37, -1
	s_cbranch_vccz .LBB6_1804
; %bb.1799:                             ;   in Loop: Header=BB6_1726 Depth=3
	v_mov_b32_e32 v10, v11
	s_and_saveexec_b32 s38, s37
	s_cbranch_execz .LBB6_1803
; %bb.1800:                             ;   in Loop: Header=BB6_1726 Depth=3
	v_mov_b32_e32 v10, v15
	s_or_b32 s16, s14, s15
	s_delay_alu instid0(SALU_CYCLE_1)
	s_and_saveexec_b32 s39, s16
; %bb.1801:                             ;   in Loop: Header=BB6_1726 Depth=3
	v_lshrrev_b32_e32 v10, 16, v36
	v_cmp_lt_u16_e32 vcc_lo, 0x7c00, v35
	s_delay_alu instid0(VALU_DEP_2) | instskip(NEXT) | instid1(VALU_DEP_1)
	v_cmp_gt_f16_e64 s16, v36, v10
	v_cndmask_b32_e64 v10, v10, v36, s16
	s_and_b32 s16, s14, vcc_lo
	s_delay_alu instid0(VALU_DEP_1) | instid1(SALU_CYCLE_1)
	v_cndmask_b32_e64 v10, v10, 0x7fff, s16
; %bb.1802:                             ;   in Loop: Header=BB6_1726 Depth=3
	s_or_b32 exec_lo, exec_lo, s39
.LBB6_1803:                             ;   in Loop: Header=BB6_1726 Depth=3
	s_delay_alu instid0(SALU_CYCLE_1)
	s_or_b32 exec_lo, exec_lo, s38
	s_mov_b32 s16, 0
.LBB6_1804:                             ;   in Loop: Header=BB6_1726 Depth=3
	s_delay_alu instid0(SALU_CYCLE_1)
	s_and_not1_b32 vcc_lo, exec_lo, s16
	s_cbranch_vccnz .LBB6_1810
; %bb.1805:                             ;   in Loop: Header=BB6_1726 Depth=3
	v_mov_b32_e32 v10, v11
	s_and_saveexec_b32 s16, s37
	s_cbranch_execz .LBB6_1809
; %bb.1806:                             ;   in Loop: Header=BB6_1726 Depth=3
	v_mov_b32_e32 v10, v15
	s_or_b32 s15, s14, s15
	s_delay_alu instid0(SALU_CYCLE_1)
	s_and_saveexec_b32 s37, s15
; %bb.1807:                             ;   in Loop: Header=BB6_1726 Depth=3
	v_lshrrev_b32_e32 v10, 16, v36
	v_cmp_lt_u16_e32 vcc_lo, 0x7c00, v35
	s_delay_alu instid0(VALU_DEP_2) | instskip(SKIP_1) | instid1(VALU_DEP_1)
	v_cmp_gt_f16_e64 s15, v36, v10
	s_and_b32 s14, s14, vcc_lo
	v_cndmask_b32_e64 v10, v36, v10, s15
	s_delay_alu instid0(VALU_DEP_1)
	v_cndmask_b32_e64 v10, v10, 0x7fff, s14
; %bb.1808:                             ;   in Loop: Header=BB6_1726 Depth=3
	s_or_b32 exec_lo, exec_lo, s37
.LBB6_1809:                             ;   in Loop: Header=BB6_1726 Depth=3
	s_delay_alu instid0(SALU_CYCLE_1)
	s_or_b32 exec_lo, exec_lo, s16
.LBB6_1810:                             ;   in Loop: Header=BB6_1726 Depth=3
	v_lshrrev_b32_e32 v35, 16, v15
	v_lshrrev_b32_e32 v37, 16, v11
	v_perm_b32 v11, v11, v15, 0x7060302
	s_mov_b32 s16, -1
	s_and_b32 vcc_lo, exec_lo, s36
	v_and_b32_e32 v38, 0x7fff, v35
	v_and_b32_e32 v36, 0x7fff, v37
                                        ; implicit-def: $vgpr15
	s_delay_alu instid0(VALU_DEP_2) | instskip(NEXT) | instid1(VALU_DEP_2)
	v_cmp_lt_u16_e64 s14, 0x7c00, v38
	v_cmp_gt_u16_e64 s15, 0x7c01, v36
	s_delay_alu instid0(VALU_DEP_1) | instskip(NEXT) | instid1(SALU_CYCLE_1)
	s_and_b32 s37, s14, s15
	s_xor_b32 s37, s37, -1
	s_cbranch_vccz .LBB6_1816
; %bb.1811:                             ;   in Loop: Header=BB6_1726 Depth=3
	v_mov_b32_e32 v15, v37
	s_and_saveexec_b32 s38, s37
	s_cbranch_execz .LBB6_1815
; %bb.1812:                             ;   in Loop: Header=BB6_1726 Depth=3
	v_mov_b32_e32 v15, v35
	s_or_b32 s16, s14, s15
	s_delay_alu instid0(SALU_CYCLE_1)
	s_and_saveexec_b32 s39, s16
; %bb.1813:                             ;   in Loop: Header=BB6_1726 Depth=3
	v_lshrrev_b32_e32 v15, 16, v11
	v_cmp_lt_u16_e32 vcc_lo, 0x7c00, v36
	s_delay_alu instid0(VALU_DEP_2) | instskip(NEXT) | instid1(VALU_DEP_1)
	v_cmp_gt_f16_e64 s16, v11, v15
	v_cndmask_b32_e64 v15, v15, v11, s16
	s_and_b32 s16, s14, vcc_lo
	s_delay_alu instid0(VALU_DEP_1) | instid1(SALU_CYCLE_1)
	v_cndmask_b32_e64 v15, v15, 0x7fff, s16
; %bb.1814:                             ;   in Loop: Header=BB6_1726 Depth=3
	s_or_b32 exec_lo, exec_lo, s39
.LBB6_1815:                             ;   in Loop: Header=BB6_1726 Depth=3
	s_delay_alu instid0(SALU_CYCLE_1)
	s_or_b32 exec_lo, exec_lo, s38
	s_mov_b32 s16, 0
.LBB6_1816:                             ;   in Loop: Header=BB6_1726 Depth=3
	s_delay_alu instid0(SALU_CYCLE_1)
	s_and_not1_b32 vcc_lo, exec_lo, s16
	s_cbranch_vccnz .LBB6_1822
; %bb.1817:                             ;   in Loop: Header=BB6_1726 Depth=3
	s_and_saveexec_b32 s16, s37
	s_cbranch_execz .LBB6_1821
; %bb.1818:                             ;   in Loop: Header=BB6_1726 Depth=3
	s_or_b32 s15, s14, s15
	s_delay_alu instid0(SALU_CYCLE_1)
	s_and_saveexec_b32 s37, s15
; %bb.1819:                             ;   in Loop: Header=BB6_1726 Depth=3
	v_lshrrev_b32_e32 v15, 16, v11
	v_cmp_lt_u16_e32 vcc_lo, 0x7c00, v36
	s_delay_alu instid0(VALU_DEP_2) | instskip(SKIP_1) | instid1(VALU_DEP_1)
	v_cmp_gt_f16_e64 s15, v11, v15
	s_and_b32 s14, s14, vcc_lo
	v_cndmask_b32_e64 v11, v11, v15, s15
	s_delay_alu instid0(VALU_DEP_1)
	v_cndmask_b32_e64 v35, v11, 0x7fff, s14
; %bb.1820:                             ;   in Loop: Header=BB6_1726 Depth=3
	s_or_b32 exec_lo, exec_lo, s37
	s_delay_alu instid0(VALU_DEP_1)
	v_mov_b32_e32 v37, v35
.LBB6_1821:                             ;   in Loop: Header=BB6_1726 Depth=3
	s_or_b32 exec_lo, exec_lo, s16
	s_delay_alu instid0(VALU_DEP_1)
	v_mov_b32_e32 v15, v37
.LBB6_1822:                             ;   in Loop: Header=BB6_1726 Depth=3
	v_lshlrev_b32_e32 v8, 16, v8
	v_and_b32_e32 v11, 0xffff, v34
	v_lshlrev_b32_e32 v14, 16, v14
	v_and_b32_e32 v13, 0xffff, v13
	;; [unrolled: 2-line block ×3, first 2 shown]
	v_or_b32_e32 v8, v8, v11
	v_lshlrev_b32_e32 v11, 16, v15
	v_and_b32_e32 v10, 0xffff, v10
	v_or_b32_e32 v13, v14, v13
	v_or3_b32 v9, v12, v9, 0
	v_or3_b32 v8, 0, 0, v8
	s_mov_b64 s[14:15], 0
	v_or3_b32 v11, v11, v10, 0
	v_or3_b32 v10, 0, 0, v13
	s_mov_b32 s16, -1
.LBB6_1823:                             ;   Parent Loop BB6_51 Depth=1
                                        ;     Parent Loop BB6_1249 Depth=2
                                        ;       Parent Loop BB6_1726 Depth=3
                                        ; =>      This Inner Loop Header: Depth=4
	s_cmp_eq_u32 s14, 0
	v_cndmask_b32_e64 v14, 0, 1, s16
	s_cselect_b32 vcc_lo, -1, 0
	s_cmp_eq_u32 s14, 1
	s_mov_b32 s16, 0
	s_cselect_b32 s14, -1, 0
	s_delay_alu instid0(SALU_CYCLE_1) | instskip(SKIP_1) | instid1(VALU_DEP_2)
	v_cndmask_b32_e64 v12, v16, v18, s14
	v_cndmask_b32_e64 v13, v17, v19, s14
	v_add_co_u32 v15, s15, 0x200, v12
	s_delay_alu instid0(VALU_DEP_1) | instskip(SKIP_1) | instid1(VALU_DEP_3)
	v_add_co_ci_u32_e64 v34, s15, 0, v13, s15
	v_cmp_ne_u32_e64 s15, 1, v14
	v_cndmask_b32_e64 v18, v18, v15, s14
	v_cndmask_b32_e32 v16, v16, v15, vcc_lo
	s_delay_alu instid0(VALU_DEP_4)
	v_cndmask_b32_e64 v19, v19, v34, s14
	v_cndmask_b32_e32 v17, v17, v34, vcc_lo
	s_and_b32 vcc_lo, exec_lo, s15
	s_mov_b64 s[14:15], 1
	global_store_b128 v[12:13], v[8:11], off glc slc dlc
	s_cbranch_vccz .LBB6_1823
; %bb.1824:                             ;   in Loop: Header=BB6_1726 Depth=3
	v_add_co_u32 v20, vcc_lo, v20, v162
	v_add_co_ci_u32_e32 v21, vcc_lo, v21, v163, vcc_lo
	v_add_co_u32 v22, vcc_lo, v22, v162
	v_sub_nc_u32_e32 v33, v33, v147
	v_add_co_ci_u32_e32 v23, vcc_lo, v23, v163, vcc_lo
	v_add_co_u32 v16, vcc_lo, v16, v149
	v_add_co_ci_u32_e32 v17, vcc_lo, v17, v160, vcc_lo
	s_delay_alu instid0(VALU_DEP_4) | instskip(SKIP_1) | instid1(VALU_DEP_1)
	v_cmp_gt_i32_e32 vcc_lo, 16, v33
	v_add_co_u32 v18, s14, v18, v149
	v_add_co_ci_u32_e64 v19, s14, v19, v160, s14
	v_sub_nc_u32_e32 v32, v32, v145
	s_or_b32 s35, vcc_lo, s35
	s_delay_alu instid0(SALU_CYCLE_1)
	s_and_not1_b32 exec_lo, exec_lo, s35
	s_cbranch_execnz .LBB6_1726
; %bb.1825:                             ;   in Loop: Header=BB6_1249 Depth=2
	s_or_b32 exec_lo, exec_lo, s35
.LBB6_1826:                             ;   in Loop: Header=BB6_1249 Depth=2
	s_delay_alu instid0(SALU_CYCLE_1) | instskip(SKIP_3) | instid1(VALU_DEP_1)
	s_or_b32 exec_lo, exec_lo, s34
	v_dual_mov_b32 v16, 0 :: v_dual_and_b32 v9, 14, v2
	s_mov_b32 s14, 0
	s_mov_b32 s15, exec_lo
                                        ; implicit-def: $vgpr18
                                        ; implicit-def: $vgpr8
	v_cndmask_b32_e64 v17, v27, v9, s13
	s_delay_alu instid0(VALU_DEP_1)
	v_cmpx_ne_u32_e32 0, v17
	s_cbranch_execz .LBB6_1828
; %bb.1827:                             ;   in Loop: Header=BB6_1249 Depth=2
	v_cmp_lt_i32_e32 vcc_lo, 0, v32
	v_sub_nc_u32_e32 v9, v27, v9
	s_mov_b32 s14, exec_lo
	v_cndmask_b32_e32 v8, 0, v145, vcc_lo
	s_delay_alu instid0(VALU_DEP_2) | instskip(NEXT) | instid1(VALU_DEP_2)
	v_cndmask_b32_e64 v9, 0, v9, s13
	v_sub_nc_u32_e32 v8, v8, v32
	s_delay_alu instid0(VALU_DEP_2) | instskip(NEXT) | instid1(VALU_DEP_2)
	v_add3_u32 v16, v25, v24, v9
	v_lshl_add_u32 v18, v8, 5, v26
	s_delay_alu instid0(VALU_DEP_1) | instskip(NEXT) | instid1(VALU_DEP_1)
	v_ashrrev_i32_e32 v8, 31, v18
	v_lshrrev_b32_e32 v8, 27, v8
	s_delay_alu instid0(VALU_DEP_1) | instskip(NEXT) | instid1(VALU_DEP_1)
	v_add_nc_u32_e32 v8, v18, v8
	v_ashrrev_i32_e32 v8, 5, v8
.LBB6_1828:                             ;   in Loop: Header=BB6_1249 Depth=2
	s_or_b32 exec_lo, exec_lo, s15
	s_delay_alu instid0(SALU_CYCLE_1)
	s_and_b32 s13, s14, exec_lo
.LBB6_1829:                             ;   in Loop: Header=BB6_1249 Depth=2
	s_or_b32 exec_lo, exec_lo, s31
.LBB6_1830:                             ;   in Loop: Header=BB6_1249 Depth=2
	s_and_saveexec_b32 s16, s13
	s_cbranch_execz .LBB6_2048
; %bb.1831:                             ;   in Loop: Header=BB6_1249 Depth=2
	v_ashrrev_i32_e32 v9, 31, v17
	s_mov_b32 s31, exec_lo
	s_delay_alu instid0(VALU_DEP_1) | instskip(NEXT) | instid1(VALU_DEP_1)
	v_lshrrev_b32_e32 v9, 22, v9
	v_add_nc_u32_e32 v9, v17, v9
	s_delay_alu instid0(VALU_DEP_1) | instskip(NEXT) | instid1(VALU_DEP_1)
	v_ashrrev_i32_e32 v20, 10, v9
	v_sub_nc_u32_e32 v19, v20, v8
	s_delay_alu instid0(VALU_DEP_1)
	v_cmpx_lt_i32_e32 0, v19
	s_cbranch_execz .LBB6_2028
; %bb.1832:                             ;   in Loop: Header=BB6_1249 Depth=2
	s_cbranch_execnz .LBB6_3805
; %bb.1833:                             ;   in Loop: Header=BB6_1249 Depth=2
	v_ashrrev_i32_e32 v9, 31, v18
	v_lshlrev_b32_e32 v8, 10, v8
	s_bitcmp1_b32 s30, 0
	s_mov_b32 s34, 0
	s_cselect_b32 s35, -1, 0
	v_lshrrev_b32_e32 v9, 27, v9
	s_delay_alu instid0(VALU_DEP_1) | instskip(NEXT) | instid1(VALU_DEP_1)
	v_add_nc_u32_e32 v9, v18, v9
	v_and_b32_e32 v13, 0x7fffffe0, v9
	ds_load_b128 v[9:12], v0
	v_sub_nc_u32_e32 v13, v18, v13
	s_delay_alu instid0(VALU_DEP_1) | instskip(NEXT) | instid1(VALU_DEP_1)
	v_lshlrev_b32_e32 v13, 1, v13
	v_add3_u32 v13, v13, v16, v8
	s_delay_alu instid0(VALU_DEP_1) | instskip(SKIP_2) | instid1(VALU_DEP_2)
	v_ashrrev_i32_e32 v14, 31, v13
	s_waitcnt lgkmcnt(0)
	v_add_co_u32 v8, vcc_lo, v9, v13
	v_add_co_ci_u32_e32 v9, vcc_lo, v10, v14, vcc_lo
	v_add_co_u32 v10, vcc_lo, v11, v13
	v_add_co_ci_u32_e32 v11, vcc_lo, v12, v14, vcc_lo
	s_delay_alu instid0(VALU_DEP_3) | instskip(NEXT) | instid1(VALU_DEP_2)
	v_dual_mov_b32 v13, v9 :: v_dual_mov_b32 v12, v8
	v_dual_mov_b32 v15, v11 :: v_dual_mov_b32 v14, v10
	s_branch .LBB6_1837
.LBB6_1834:                             ;   in Loop: Header=BB6_1837 Depth=3
	s_or_b32 exec_lo, exec_lo, s36
	s_delay_alu instid0(VALU_DEP_1)
	v_mov_b32_e32 v22, v21
.LBB6_1835:                             ;   in Loop: Header=BB6_1837 Depth=3
	s_or_b32 exec_lo, exec_lo, s15
	s_delay_alu instid0(VALU_DEP_1)
	v_mov_b32_e32 v25, v22
.LBB6_1836:                             ;   in Loop: Header=BB6_1837 Depth=3
	v_add_co_u32 v8, vcc_lo, v8, v165
	v_add_co_ci_u32_e32 v9, vcc_lo, v9, v166, vcc_lo
	v_add_co_u32 v10, vcc_lo, v10, v165
	v_sub_nc_u32_e32 v19, v19, v145
	v_add_co_ci_u32_e32 v11, vcc_lo, v11, v166, vcc_lo
	s_clause 0xf
	flat_store_b16 v[12:13], v23 glc slc dlc
	flat_store_b16 v[12:13], v26 offset:64 glc slc dlc
	flat_store_b16 v[12:13], v33 offset:128 glc slc dlc
	flat_store_b16 v[12:13], v36 offset:192 glc slc dlc
	flat_store_b16 v[12:13], v39 offset:256 glc slc dlc
	flat_store_b16 v[12:13], v50 offset:320 glc slc dlc
	flat_store_b16 v[12:13], v116 offset:384 glc slc dlc
	flat_store_b16 v[12:13], v119 offset:448 glc slc dlc
	flat_store_b16 v[12:13], v128 offset:512 glc slc dlc
	flat_store_b16 v[12:13], v117 offset:576 glc slc dlc
	flat_store_b16 v[12:13], v51 offset:640 glc slc dlc
	flat_store_b16 v[12:13], v48 offset:704 glc slc dlc
	flat_store_b16 v[12:13], v37 offset:768 glc slc dlc
	flat_store_b16 v[12:13], v34 offset:832 glc slc dlc
	flat_store_b16 v[12:13], v27 offset:896 glc slc dlc
	flat_store_b16 v[12:13], v25 offset:960 glc slc dlc
	s_clause 0xf
	flat_store_b16 v[14:15], v23 glc slc dlc
	flat_store_b16 v[14:15], v26 offset:64 glc slc dlc
	flat_store_b16 v[14:15], v33 offset:128 glc slc dlc
	;; [unrolled: 1-line block ×15, first 2 shown]
	v_add_co_u32 v12, vcc_lo, v12, v165
	v_add_co_ci_u32_e32 v13, vcc_lo, v13, v166, vcc_lo
	v_cmp_gt_i32_e32 vcc_lo, 1, v19
	v_add_co_u32 v14, s13, v14, v165
	s_delay_alu instid0(VALU_DEP_1) | instskip(SKIP_1) | instid1(SALU_CYCLE_1)
	v_add_co_ci_u32_e64 v15, s13, v15, v166, s13
	s_or_b32 s34, vcc_lo, s34
	s_and_not1_b32 exec_lo, exec_lo, s34
	s_cbranch_execz .LBB6_2027
.LBB6_1837:                             ;   Parent Loop BB6_51 Depth=1
                                        ;     Parent Loop BB6_1249 Depth=2
                                        ; =>    This Inner Loop Header: Depth=3
	s_clause 0x7
	flat_load_u16 v26, v[8:9] slc dlc
	flat_load_u16 v33, v[8:9] offset:64 slc dlc
	flat_load_u16 v36, v[8:9] offset:128 slc dlc
	;; [unrolled: 1-line block ×7, first 2 shown]
	flat_load_u16 v44, v[10:11] slc dlc
	s_clause 0x7
	flat_load_u16 v117, v[8:9] offset:512 slc dlc
	flat_load_u16 v51, v[8:9] offset:576 slc dlc
	;; [unrolled: 1-line block ×8, first 2 shown]
	s_clause 0xe
	flat_load_u16 v43, v[10:11] offset:64 slc dlc
	flat_load_u16 v42, v[10:11] offset:128 slc dlc
	;; [unrolled: 1-line block ×15, first 2 shown]
	s_mov_b32 s15, -1
	s_and_b32 vcc_lo, exec_lo, s35
	s_waitcnt vmcnt(31) lgkmcnt(31)
	v_and_b32_e32 v23, 0x7fff, v26
	s_delay_alu instid0(VALU_DEP_1) | instskip(SKIP_2) | instid1(VALU_DEP_1)
	v_cmp_lt_u16_e64 s13, 0x7c00, v23
                                        ; implicit-def: $vgpr23
	s_waitcnt vmcnt(23) lgkmcnt(23)
	v_and_b32_e32 v45, 0x7fff, v44
	v_cmp_gt_u16_e64 s14, 0x7c01, v45
	s_delay_alu instid0(VALU_DEP_1) | instskip(NEXT) | instid1(SALU_CYCLE_1)
	s_and_b32 s36, s13, s14
	s_xor_b32 s36, s36, -1
	s_cbranch_vccz .LBB6_1843
; %bb.1838:                             ;   in Loop: Header=BB6_1837 Depth=3
	v_mov_b32_e32 v23, v44
	s_and_saveexec_b32 s37, s36
	s_cbranch_execz .LBB6_1842
; %bb.1839:                             ;   in Loop: Header=BB6_1837 Depth=3
	v_mov_b32_e32 v23, v26
	s_or_b32 s15, s13, s14
	s_delay_alu instid0(SALU_CYCLE_1)
	s_and_saveexec_b32 s38, s15
; %bb.1840:                             ;   in Loop: Header=BB6_1837 Depth=3
	v_cmp_gt_f16_e64 s15, v26, v44
	v_cmp_lt_u16_e32 vcc_lo, 0x7c00, v45
	s_delay_alu instid0(VALU_DEP_2)
	v_cndmask_b32_e64 v23, v44, v26, s15
	s_and_b32 s15, s13, vcc_lo
	s_delay_alu instid0(VALU_DEP_1) | instid1(SALU_CYCLE_1)
	v_cndmask_b32_e64 v23, v23, 0x7fff, s15
; %bb.1841:                             ;   in Loop: Header=BB6_1837 Depth=3
	s_or_b32 exec_lo, exec_lo, s38
.LBB6_1842:                             ;   in Loop: Header=BB6_1837 Depth=3
	s_delay_alu instid0(SALU_CYCLE_1)
	s_or_b32 exec_lo, exec_lo, s37
	s_mov_b32 s15, 0
.LBB6_1843:                             ;   in Loop: Header=BB6_1837 Depth=3
	s_delay_alu instid0(SALU_CYCLE_1)
	s_and_not1_b32 vcc_lo, exec_lo, s15
	s_cbranch_vccnz .LBB6_1849
; %bb.1844:                             ;   in Loop: Header=BB6_1837 Depth=3
	s_and_saveexec_b32 s15, s36
	s_cbranch_execz .LBB6_1848
; %bb.1845:                             ;   in Loop: Header=BB6_1837 Depth=3
	s_or_b32 s14, s13, s14
	s_delay_alu instid0(SALU_CYCLE_1)
	s_and_saveexec_b32 s36, s14
; %bb.1846:                             ;   in Loop: Header=BB6_1837 Depth=3
	v_cmp_gt_f16_e64 s14, v26, v44
	v_cmp_lt_u16_e32 vcc_lo, 0x7c00, v45
	s_delay_alu instid0(VALU_DEP_2)
	v_cndmask_b32_e64 v23, v26, v44, s14
	s_and_b32 s13, s13, vcc_lo
	s_delay_alu instid0(VALU_DEP_1) | instid1(SALU_CYCLE_1)
	v_cndmask_b32_e64 v26, v23, 0x7fff, s13
; %bb.1847:                             ;   in Loop: Header=BB6_1837 Depth=3
	s_or_b32 exec_lo, exec_lo, s36
	s_delay_alu instid0(VALU_DEP_1)
	v_mov_b32_e32 v44, v26
.LBB6_1848:                             ;   in Loop: Header=BB6_1837 Depth=3
	s_or_b32 exec_lo, exec_lo, s15
	s_delay_alu instid0(VALU_DEP_1)
	v_mov_b32_e32 v23, v44
.LBB6_1849:                             ;   in Loop: Header=BB6_1837 Depth=3
	v_and_b32_e32 v26, 0x7fff, v33
	s_waitcnt vmcnt(14) lgkmcnt(14)
	v_and_b32_e32 v44, 0x7fff, v43
	s_mov_b32 s15, -1
	s_and_not1_b32 vcc_lo, exec_lo, s35
	v_cmp_lt_u16_e64 s13, 0x7c00, v26
	s_delay_alu instid0(VALU_DEP_2) | instskip(NEXT) | instid1(VALU_DEP_1)
	v_cmp_gt_u16_e64 s14, 0x7c01, v44
                                        ; implicit-def: $vgpr26
	s_and_b32 s36, s13, s14
	s_delay_alu instid0(SALU_CYCLE_1)
	s_xor_b32 s36, s36, -1
	s_cbranch_vccnz .LBB6_1855
; %bb.1850:                             ;   in Loop: Header=BB6_1837 Depth=3
	v_mov_b32_e32 v26, v43
	s_and_saveexec_b32 s37, s36
	s_cbranch_execz .LBB6_1854
; %bb.1851:                             ;   in Loop: Header=BB6_1837 Depth=3
	v_mov_b32_e32 v26, v33
	s_or_b32 s15, s13, s14
	s_delay_alu instid0(SALU_CYCLE_1)
	s_and_saveexec_b32 s38, s15
; %bb.1852:                             ;   in Loop: Header=BB6_1837 Depth=3
	v_cmp_gt_f16_e64 s15, v33, v43
	v_cmp_lt_u16_e32 vcc_lo, 0x7c00, v44
	s_delay_alu instid0(VALU_DEP_2)
	v_cndmask_b32_e64 v26, v43, v33, s15
	s_and_b32 s15, s13, vcc_lo
	s_delay_alu instid0(VALU_DEP_1) | instid1(SALU_CYCLE_1)
	v_cndmask_b32_e64 v26, v26, 0x7fff, s15
; %bb.1853:                             ;   in Loop: Header=BB6_1837 Depth=3
	s_or_b32 exec_lo, exec_lo, s38
.LBB6_1854:                             ;   in Loop: Header=BB6_1837 Depth=3
	s_delay_alu instid0(SALU_CYCLE_1)
	s_or_b32 exec_lo, exec_lo, s37
	s_mov_b32 s15, 0
.LBB6_1855:                             ;   in Loop: Header=BB6_1837 Depth=3
	s_delay_alu instid0(SALU_CYCLE_1)
	s_and_not1_b32 vcc_lo, exec_lo, s15
	s_cbranch_vccnz .LBB6_1861
; %bb.1856:                             ;   in Loop: Header=BB6_1837 Depth=3
	s_and_saveexec_b32 s15, s36
	s_cbranch_execz .LBB6_1860
; %bb.1857:                             ;   in Loop: Header=BB6_1837 Depth=3
	s_or_b32 s14, s13, s14
	s_delay_alu instid0(SALU_CYCLE_1)
	s_and_saveexec_b32 s36, s14
; %bb.1858:                             ;   in Loop: Header=BB6_1837 Depth=3
	v_cmp_gt_f16_e64 s14, v33, v43
	v_cmp_lt_u16_e32 vcc_lo, 0x7c00, v44
	s_delay_alu instid0(VALU_DEP_2)
	v_cndmask_b32_e64 v26, v33, v43, s14
	s_and_b32 s13, s13, vcc_lo
	s_delay_alu instid0(VALU_DEP_1) | instid1(SALU_CYCLE_1)
	v_cndmask_b32_e64 v33, v26, 0x7fff, s13
; %bb.1859:                             ;   in Loop: Header=BB6_1837 Depth=3
	s_or_b32 exec_lo, exec_lo, s36
	s_delay_alu instid0(VALU_DEP_1)
	v_mov_b32_e32 v43, v33
.LBB6_1860:                             ;   in Loop: Header=BB6_1837 Depth=3
	s_or_b32 exec_lo, exec_lo, s15
	s_delay_alu instid0(VALU_DEP_1)
	v_mov_b32_e32 v26, v43
.LBB6_1861:                             ;   in Loop: Header=BB6_1837 Depth=3
	v_and_b32_e32 v33, 0x7fff, v36
	s_waitcnt vmcnt(13) lgkmcnt(13)
	v_and_b32_e32 v43, 0x7fff, v42
	s_mov_b32 s15, -1
	s_and_not1_b32 vcc_lo, exec_lo, s35
	v_cmp_lt_u16_e64 s13, 0x7c00, v33
	s_delay_alu instid0(VALU_DEP_2) | instskip(NEXT) | instid1(VALU_DEP_1)
	v_cmp_gt_u16_e64 s14, 0x7c01, v43
                                        ; implicit-def: $vgpr33
	s_and_b32 s36, s13, s14
	s_delay_alu instid0(SALU_CYCLE_1)
	s_xor_b32 s36, s36, -1
	s_cbranch_vccnz .LBB6_1867
; %bb.1862:                             ;   in Loop: Header=BB6_1837 Depth=3
	v_mov_b32_e32 v33, v42
	s_and_saveexec_b32 s37, s36
	s_cbranch_execz .LBB6_1866
; %bb.1863:                             ;   in Loop: Header=BB6_1837 Depth=3
	v_mov_b32_e32 v33, v36
	s_or_b32 s15, s13, s14
	s_delay_alu instid0(SALU_CYCLE_1)
	s_and_saveexec_b32 s38, s15
; %bb.1864:                             ;   in Loop: Header=BB6_1837 Depth=3
	v_cmp_gt_f16_e64 s15, v36, v42
	v_cmp_lt_u16_e32 vcc_lo, 0x7c00, v43
	s_delay_alu instid0(VALU_DEP_2)
	v_cndmask_b32_e64 v33, v42, v36, s15
	s_and_b32 s15, s13, vcc_lo
	s_delay_alu instid0(VALU_DEP_1) | instid1(SALU_CYCLE_1)
	v_cndmask_b32_e64 v33, v33, 0x7fff, s15
; %bb.1865:                             ;   in Loop: Header=BB6_1837 Depth=3
	s_or_b32 exec_lo, exec_lo, s38
.LBB6_1866:                             ;   in Loop: Header=BB6_1837 Depth=3
	s_delay_alu instid0(SALU_CYCLE_1)
	s_or_b32 exec_lo, exec_lo, s37
	s_mov_b32 s15, 0
.LBB6_1867:                             ;   in Loop: Header=BB6_1837 Depth=3
	s_delay_alu instid0(SALU_CYCLE_1)
	s_and_not1_b32 vcc_lo, exec_lo, s15
	s_cbranch_vccnz .LBB6_1873
; %bb.1868:                             ;   in Loop: Header=BB6_1837 Depth=3
	s_and_saveexec_b32 s15, s36
	s_cbranch_execz .LBB6_1872
; %bb.1869:                             ;   in Loop: Header=BB6_1837 Depth=3
	s_or_b32 s14, s13, s14
	s_delay_alu instid0(SALU_CYCLE_1)
	s_and_saveexec_b32 s36, s14
; %bb.1870:                             ;   in Loop: Header=BB6_1837 Depth=3
	v_cmp_gt_f16_e64 s14, v36, v42
	v_cmp_lt_u16_e32 vcc_lo, 0x7c00, v43
	s_delay_alu instid0(VALU_DEP_2)
	v_cndmask_b32_e64 v33, v36, v42, s14
	s_and_b32 s13, s13, vcc_lo
	s_delay_alu instid0(VALU_DEP_1) | instid1(SALU_CYCLE_1)
	v_cndmask_b32_e64 v36, v33, 0x7fff, s13
; %bb.1871:                             ;   in Loop: Header=BB6_1837 Depth=3
	s_or_b32 exec_lo, exec_lo, s36
	s_delay_alu instid0(VALU_DEP_1)
	v_mov_b32_e32 v42, v36
.LBB6_1872:                             ;   in Loop: Header=BB6_1837 Depth=3
	s_or_b32 exec_lo, exec_lo, s15
	s_delay_alu instid0(VALU_DEP_1)
	v_mov_b32_e32 v33, v42
.LBB6_1873:                             ;   in Loop: Header=BB6_1837 Depth=3
	v_and_b32_e32 v36, 0x7fff, v39
	s_waitcnt vmcnt(12) lgkmcnt(12)
	v_and_b32_e32 v42, 0x7fff, v41
	s_mov_b32 s15, -1
	s_and_not1_b32 vcc_lo, exec_lo, s35
	v_cmp_lt_u16_e64 s13, 0x7c00, v36
	s_delay_alu instid0(VALU_DEP_2) | instskip(NEXT) | instid1(VALU_DEP_1)
	v_cmp_gt_u16_e64 s14, 0x7c01, v42
                                        ; implicit-def: $vgpr36
	s_and_b32 s36, s13, s14
	s_delay_alu instid0(SALU_CYCLE_1)
	s_xor_b32 s36, s36, -1
	s_cbranch_vccnz .LBB6_1879
; %bb.1874:                             ;   in Loop: Header=BB6_1837 Depth=3
	v_mov_b32_e32 v36, v41
	s_and_saveexec_b32 s37, s36
	s_cbranch_execz .LBB6_1878
; %bb.1875:                             ;   in Loop: Header=BB6_1837 Depth=3
	v_mov_b32_e32 v36, v39
	s_or_b32 s15, s13, s14
	s_delay_alu instid0(SALU_CYCLE_1)
	s_and_saveexec_b32 s38, s15
; %bb.1876:                             ;   in Loop: Header=BB6_1837 Depth=3
	v_cmp_gt_f16_e64 s15, v39, v41
	v_cmp_lt_u16_e32 vcc_lo, 0x7c00, v42
	s_delay_alu instid0(VALU_DEP_2)
	v_cndmask_b32_e64 v36, v41, v39, s15
	s_and_b32 s15, s13, vcc_lo
	s_delay_alu instid0(VALU_DEP_1) | instid1(SALU_CYCLE_1)
	v_cndmask_b32_e64 v36, v36, 0x7fff, s15
; %bb.1877:                             ;   in Loop: Header=BB6_1837 Depth=3
	s_or_b32 exec_lo, exec_lo, s38
.LBB6_1878:                             ;   in Loop: Header=BB6_1837 Depth=3
	s_delay_alu instid0(SALU_CYCLE_1)
	s_or_b32 exec_lo, exec_lo, s37
	s_mov_b32 s15, 0
.LBB6_1879:                             ;   in Loop: Header=BB6_1837 Depth=3
	s_delay_alu instid0(SALU_CYCLE_1)
	s_and_not1_b32 vcc_lo, exec_lo, s15
	s_cbranch_vccnz .LBB6_1885
; %bb.1880:                             ;   in Loop: Header=BB6_1837 Depth=3
	s_and_saveexec_b32 s15, s36
	s_cbranch_execz .LBB6_1884
; %bb.1881:                             ;   in Loop: Header=BB6_1837 Depth=3
	s_or_b32 s14, s13, s14
	s_delay_alu instid0(SALU_CYCLE_1)
	s_and_saveexec_b32 s36, s14
; %bb.1882:                             ;   in Loop: Header=BB6_1837 Depth=3
	v_cmp_gt_f16_e64 s14, v39, v41
	v_cmp_lt_u16_e32 vcc_lo, 0x7c00, v42
	s_delay_alu instid0(VALU_DEP_2)
	v_cndmask_b32_e64 v36, v39, v41, s14
	s_and_b32 s13, s13, vcc_lo
	s_delay_alu instid0(VALU_DEP_1) | instid1(SALU_CYCLE_1)
	v_cndmask_b32_e64 v39, v36, 0x7fff, s13
; %bb.1883:                             ;   in Loop: Header=BB6_1837 Depth=3
	s_or_b32 exec_lo, exec_lo, s36
	s_delay_alu instid0(VALU_DEP_1)
	v_mov_b32_e32 v41, v39
.LBB6_1884:                             ;   in Loop: Header=BB6_1837 Depth=3
	s_or_b32 exec_lo, exec_lo, s15
	s_delay_alu instid0(VALU_DEP_1)
	v_mov_b32_e32 v36, v41
.LBB6_1885:                             ;   in Loop: Header=BB6_1837 Depth=3
	v_and_b32_e32 v39, 0x7fff, v50
	s_waitcnt vmcnt(11) lgkmcnt(11)
	v_and_b32_e32 v41, 0x7fff, v40
	s_mov_b32 s15, -1
	s_and_not1_b32 vcc_lo, exec_lo, s35
	v_cmp_lt_u16_e64 s13, 0x7c00, v39
	s_delay_alu instid0(VALU_DEP_2) | instskip(NEXT) | instid1(VALU_DEP_1)
	v_cmp_gt_u16_e64 s14, 0x7c01, v41
                                        ; implicit-def: $vgpr39
	s_and_b32 s36, s13, s14
	s_delay_alu instid0(SALU_CYCLE_1)
	s_xor_b32 s36, s36, -1
	s_cbranch_vccnz .LBB6_1891
; %bb.1886:                             ;   in Loop: Header=BB6_1837 Depth=3
	v_mov_b32_e32 v39, v40
	s_and_saveexec_b32 s37, s36
	s_cbranch_execz .LBB6_1890
; %bb.1887:                             ;   in Loop: Header=BB6_1837 Depth=3
	v_mov_b32_e32 v39, v50
	s_or_b32 s15, s13, s14
	s_delay_alu instid0(SALU_CYCLE_1)
	s_and_saveexec_b32 s38, s15
; %bb.1888:                             ;   in Loop: Header=BB6_1837 Depth=3
	v_cmp_gt_f16_e64 s15, v50, v40
	v_cmp_lt_u16_e32 vcc_lo, 0x7c00, v41
	s_delay_alu instid0(VALU_DEP_2)
	v_cndmask_b32_e64 v39, v40, v50, s15
	s_and_b32 s15, s13, vcc_lo
	s_delay_alu instid0(VALU_DEP_1) | instid1(SALU_CYCLE_1)
	v_cndmask_b32_e64 v39, v39, 0x7fff, s15
; %bb.1889:                             ;   in Loop: Header=BB6_1837 Depth=3
	s_or_b32 exec_lo, exec_lo, s38
.LBB6_1890:                             ;   in Loop: Header=BB6_1837 Depth=3
	s_delay_alu instid0(SALU_CYCLE_1)
	s_or_b32 exec_lo, exec_lo, s37
	s_mov_b32 s15, 0
.LBB6_1891:                             ;   in Loop: Header=BB6_1837 Depth=3
	s_delay_alu instid0(SALU_CYCLE_1)
	s_and_not1_b32 vcc_lo, exec_lo, s15
	s_cbranch_vccnz .LBB6_1897
; %bb.1892:                             ;   in Loop: Header=BB6_1837 Depth=3
	s_and_saveexec_b32 s15, s36
	s_cbranch_execz .LBB6_1896
; %bb.1893:                             ;   in Loop: Header=BB6_1837 Depth=3
	s_or_b32 s14, s13, s14
	s_delay_alu instid0(SALU_CYCLE_1)
	s_and_saveexec_b32 s36, s14
; %bb.1894:                             ;   in Loop: Header=BB6_1837 Depth=3
	v_cmp_gt_f16_e64 s14, v50, v40
	v_cmp_lt_u16_e32 vcc_lo, 0x7c00, v41
	s_delay_alu instid0(VALU_DEP_2)
	v_cndmask_b32_e64 v39, v50, v40, s14
	s_and_b32 s13, s13, vcc_lo
	s_delay_alu instid0(VALU_DEP_1) | instid1(SALU_CYCLE_1)
	v_cndmask_b32_e64 v50, v39, 0x7fff, s13
; %bb.1895:                             ;   in Loop: Header=BB6_1837 Depth=3
	s_or_b32 exec_lo, exec_lo, s36
	s_delay_alu instid0(VALU_DEP_1)
	v_mov_b32_e32 v40, v50
.LBB6_1896:                             ;   in Loop: Header=BB6_1837 Depth=3
	s_or_b32 exec_lo, exec_lo, s15
	s_delay_alu instid0(VALU_DEP_1)
	v_mov_b32_e32 v39, v40
.LBB6_1897:                             ;   in Loop: Header=BB6_1837 Depth=3
	v_and_b32_e32 v50, 0x7fff, v116
	s_waitcnt vmcnt(10) lgkmcnt(10)
	v_and_b32_e32 v40, 0x7fff, v131
	s_mov_b32 s15, -1
	s_and_not1_b32 vcc_lo, exec_lo, s35
	v_cmp_lt_u16_e64 s13, 0x7c00, v50
	s_delay_alu instid0(VALU_DEP_2) | instskip(NEXT) | instid1(VALU_DEP_1)
	v_cmp_gt_u16_e64 s14, 0x7c01, v40
                                        ; implicit-def: $vgpr50
	s_and_b32 s36, s13, s14
	s_delay_alu instid0(SALU_CYCLE_1)
	s_xor_b32 s36, s36, -1
	s_cbranch_vccnz .LBB6_1903
; %bb.1898:                             ;   in Loop: Header=BB6_1837 Depth=3
	v_mov_b32_e32 v50, v131
	s_and_saveexec_b32 s37, s36
	s_cbranch_execz .LBB6_1902
; %bb.1899:                             ;   in Loop: Header=BB6_1837 Depth=3
	v_mov_b32_e32 v50, v116
	s_or_b32 s15, s13, s14
	s_delay_alu instid0(SALU_CYCLE_1)
	s_and_saveexec_b32 s38, s15
; %bb.1900:                             ;   in Loop: Header=BB6_1837 Depth=3
	v_cmp_gt_f16_e64 s15, v116, v131
	v_cmp_lt_u16_e32 vcc_lo, 0x7c00, v40
	s_delay_alu instid0(VALU_DEP_2)
	v_cndmask_b32_e64 v50, v131, v116, s15
	s_and_b32 s15, s13, vcc_lo
	s_delay_alu instid0(VALU_DEP_1) | instid1(SALU_CYCLE_1)
	v_cndmask_b32_e64 v50, v50, 0x7fff, s15
; %bb.1901:                             ;   in Loop: Header=BB6_1837 Depth=3
	s_or_b32 exec_lo, exec_lo, s38
.LBB6_1902:                             ;   in Loop: Header=BB6_1837 Depth=3
	s_delay_alu instid0(SALU_CYCLE_1)
	s_or_b32 exec_lo, exec_lo, s37
	s_mov_b32 s15, 0
.LBB6_1903:                             ;   in Loop: Header=BB6_1837 Depth=3
	s_delay_alu instid0(SALU_CYCLE_1)
	s_and_not1_b32 vcc_lo, exec_lo, s15
	s_cbranch_vccnz .LBB6_1909
; %bb.1904:                             ;   in Loop: Header=BB6_1837 Depth=3
	s_and_saveexec_b32 s15, s36
	s_cbranch_execz .LBB6_1908
; %bb.1905:                             ;   in Loop: Header=BB6_1837 Depth=3
	s_or_b32 s14, s13, s14
	s_delay_alu instid0(SALU_CYCLE_1)
	s_and_saveexec_b32 s36, s14
; %bb.1906:                             ;   in Loop: Header=BB6_1837 Depth=3
	v_cmp_gt_f16_e64 s14, v116, v131
	v_cmp_lt_u16_e32 vcc_lo, 0x7c00, v40
	s_delay_alu instid0(VALU_DEP_2)
	v_cndmask_b32_e64 v50, v116, v131, s14
	s_and_b32 s13, s13, vcc_lo
	s_delay_alu instid0(VALU_DEP_1) | instid1(SALU_CYCLE_1)
	v_cndmask_b32_e64 v116, v50, 0x7fff, s13
; %bb.1907:                             ;   in Loop: Header=BB6_1837 Depth=3
	s_or_b32 exec_lo, exec_lo, s36
	s_delay_alu instid0(VALU_DEP_1)
	v_mov_b32_e32 v131, v116
.LBB6_1908:                             ;   in Loop: Header=BB6_1837 Depth=3
	s_or_b32 exec_lo, exec_lo, s15
	s_delay_alu instid0(VALU_DEP_1)
	v_mov_b32_e32 v50, v131
.LBB6_1909:                             ;   in Loop: Header=BB6_1837 Depth=3
	v_and_b32_e32 v116, 0x7fff, v119
	s_waitcnt vmcnt(9) lgkmcnt(9)
	v_and_b32_e32 v131, 0x7fff, v130
	s_mov_b32 s15, -1
	s_and_not1_b32 vcc_lo, exec_lo, s35
	v_cmp_lt_u16_e64 s13, 0x7c00, v116
	s_delay_alu instid0(VALU_DEP_2) | instskip(NEXT) | instid1(VALU_DEP_1)
	v_cmp_gt_u16_e64 s14, 0x7c01, v131
                                        ; implicit-def: $vgpr116
	s_and_b32 s36, s13, s14
	s_delay_alu instid0(SALU_CYCLE_1)
	s_xor_b32 s36, s36, -1
	s_cbranch_vccnz .LBB6_1915
; %bb.1910:                             ;   in Loop: Header=BB6_1837 Depth=3
	v_mov_b32_e32 v116, v130
	s_and_saveexec_b32 s37, s36
	s_cbranch_execz .LBB6_1914
; %bb.1911:                             ;   in Loop: Header=BB6_1837 Depth=3
	v_mov_b32_e32 v116, v119
	s_or_b32 s15, s13, s14
	s_delay_alu instid0(SALU_CYCLE_1)
	s_and_saveexec_b32 s38, s15
; %bb.1912:                             ;   in Loop: Header=BB6_1837 Depth=3
	v_cmp_gt_f16_e64 s15, v119, v130
	v_cmp_lt_u16_e64 vcc_lo, 0x7c00, v131
	s_delay_alu instid0(VALU_DEP_2) | instskip(NEXT) | instid1(VALU_DEP_2)
	v_cndmask_b32_e64 v116, v130, v119, s15
	s_and_b32 s15, s13, vcc_lo
	s_delay_alu instid0(VALU_DEP_1) | instid1(SALU_CYCLE_1)
	v_cndmask_b32_e64 v116, v116, 0x7fff, s15
; %bb.1913:                             ;   in Loop: Header=BB6_1837 Depth=3
	s_or_b32 exec_lo, exec_lo, s38
.LBB6_1914:                             ;   in Loop: Header=BB6_1837 Depth=3
	s_delay_alu instid0(SALU_CYCLE_1)
	s_or_b32 exec_lo, exec_lo, s37
	s_mov_b32 s15, 0
.LBB6_1915:                             ;   in Loop: Header=BB6_1837 Depth=3
	s_delay_alu instid0(SALU_CYCLE_1)
	s_and_not1_b32 vcc_lo, exec_lo, s15
	s_cbranch_vccnz .LBB6_1921
; %bb.1916:                             ;   in Loop: Header=BB6_1837 Depth=3
	s_and_saveexec_b32 s15, s36
	s_cbranch_execz .LBB6_1920
; %bb.1917:                             ;   in Loop: Header=BB6_1837 Depth=3
	s_or_b32 s14, s13, s14
	s_delay_alu instid0(SALU_CYCLE_1)
	s_and_saveexec_b32 s36, s14
; %bb.1918:                             ;   in Loop: Header=BB6_1837 Depth=3
	v_cmp_gt_f16_e64 s14, v119, v130
	v_cmp_lt_u16_e64 vcc_lo, 0x7c00, v131
	s_delay_alu instid0(VALU_DEP_2) | instskip(NEXT) | instid1(VALU_DEP_2)
	v_cndmask_b32_e64 v116, v119, v130, s14
	s_and_b32 s13, s13, vcc_lo
	s_delay_alu instid0(VALU_DEP_1) | instid1(SALU_CYCLE_1)
	v_cndmask_b32_e64 v119, v116, 0x7fff, s13
; %bb.1919:                             ;   in Loop: Header=BB6_1837 Depth=3
	s_or_b32 exec_lo, exec_lo, s36
	s_delay_alu instid0(VALU_DEP_1)
	v_mov_b32_e32 v130, v119
.LBB6_1920:                             ;   in Loop: Header=BB6_1837 Depth=3
	s_or_b32 exec_lo, exec_lo, s15
	s_delay_alu instid0(VALU_DEP_1)
	v_mov_b32_e32 v116, v130
.LBB6_1921:                             ;   in Loop: Header=BB6_1837 Depth=3
	v_and_b32_e32 v119, 0x7fff, v128
	s_waitcnt vmcnt(8) lgkmcnt(8)
	v_and_b32_e32 v130, 0x7fff, v129
	s_mov_b32 s15, -1
	s_and_not1_b32 vcc_lo, exec_lo, s35
	v_cmp_lt_u16_e64 s13, 0x7c00, v119
	s_delay_alu instid0(VALU_DEP_2) | instskip(NEXT) | instid1(VALU_DEP_1)
	v_cmp_gt_u16_e64 s14, 0x7c01, v130
                                        ; implicit-def: $vgpr119
	s_and_b32 s36, s13, s14
	s_delay_alu instid0(SALU_CYCLE_1)
	s_xor_b32 s36, s36, -1
	s_cbranch_vccnz .LBB6_1927
; %bb.1922:                             ;   in Loop: Header=BB6_1837 Depth=3
	v_mov_b32_e32 v119, v129
	s_and_saveexec_b32 s37, s36
	s_cbranch_execz .LBB6_1926
; %bb.1923:                             ;   in Loop: Header=BB6_1837 Depth=3
	v_mov_b32_e32 v119, v128
	s_or_b32 s15, s13, s14
	s_delay_alu instid0(SALU_CYCLE_1)
	s_and_saveexec_b32 s38, s15
; %bb.1924:                             ;   in Loop: Header=BB6_1837 Depth=3
	v_cmp_gt_f16_e64 s15, v128, v129
	v_cmp_lt_u16_e64 vcc_lo, 0x7c00, v130
	s_delay_alu instid0(VALU_DEP_2) | instskip(NEXT) | instid1(VALU_DEP_2)
	v_cndmask_b32_e64 v119, v129, v128, s15
	s_and_b32 s15, s13, vcc_lo
	s_delay_alu instid0(VALU_DEP_1) | instid1(SALU_CYCLE_1)
	v_cndmask_b32_e64 v119, v119, 0x7fff, s15
; %bb.1925:                             ;   in Loop: Header=BB6_1837 Depth=3
	s_or_b32 exec_lo, exec_lo, s38
.LBB6_1926:                             ;   in Loop: Header=BB6_1837 Depth=3
	s_delay_alu instid0(SALU_CYCLE_1)
	s_or_b32 exec_lo, exec_lo, s37
	s_mov_b32 s15, 0
.LBB6_1927:                             ;   in Loop: Header=BB6_1837 Depth=3
	s_delay_alu instid0(SALU_CYCLE_1)
	s_and_not1_b32 vcc_lo, exec_lo, s15
	s_cbranch_vccnz .LBB6_1933
; %bb.1928:                             ;   in Loop: Header=BB6_1837 Depth=3
	s_and_saveexec_b32 s15, s36
	s_cbranch_execz .LBB6_1932
; %bb.1929:                             ;   in Loop: Header=BB6_1837 Depth=3
	s_or_b32 s14, s13, s14
	s_delay_alu instid0(SALU_CYCLE_1)
	s_and_saveexec_b32 s36, s14
; %bb.1930:                             ;   in Loop: Header=BB6_1837 Depth=3
	v_cmp_gt_f16_e64 s14, v128, v129
	v_cmp_lt_u16_e64 vcc_lo, 0x7c00, v130
	s_delay_alu instid0(VALU_DEP_2) | instskip(NEXT) | instid1(VALU_DEP_2)
	v_cndmask_b32_e64 v119, v128, v129, s14
	s_and_b32 s13, s13, vcc_lo
	s_delay_alu instid0(VALU_DEP_1) | instid1(SALU_CYCLE_1)
	v_cndmask_b32_e64 v128, v119, 0x7fff, s13
; %bb.1931:                             ;   in Loop: Header=BB6_1837 Depth=3
	s_or_b32 exec_lo, exec_lo, s36
	s_delay_alu instid0(VALU_DEP_1)
	v_mov_b32_e32 v129, v128
.LBB6_1932:                             ;   in Loop: Header=BB6_1837 Depth=3
	s_or_b32 exec_lo, exec_lo, s15
	s_delay_alu instid0(VALU_DEP_1)
	v_mov_b32_e32 v119, v129
.LBB6_1933:                             ;   in Loop: Header=BB6_1837 Depth=3
	v_and_b32_e32 v128, 0x7fff, v117
	s_waitcnt vmcnt(7) lgkmcnt(7)
	v_and_b32_e32 v129, 0x7fff, v118
	s_mov_b32 s15, -1
	s_and_not1_b32 vcc_lo, exec_lo, s35
	v_cmp_lt_u16_e64 s13, 0x7c00, v128
	s_delay_alu instid0(VALU_DEP_2) | instskip(NEXT) | instid1(VALU_DEP_1)
	v_cmp_gt_u16_e64 s14, 0x7c01, v129
                                        ; implicit-def: $vgpr128
	s_and_b32 s36, s13, s14
	s_delay_alu instid0(SALU_CYCLE_1)
	s_xor_b32 s36, s36, -1
	s_cbranch_vccnz .LBB6_1939
; %bb.1934:                             ;   in Loop: Header=BB6_1837 Depth=3
	v_mov_b32_e32 v128, v118
	s_and_saveexec_b32 s37, s36
	s_cbranch_execz .LBB6_1938
; %bb.1935:                             ;   in Loop: Header=BB6_1837 Depth=3
	v_mov_b32_e32 v128, v117
	s_or_b32 s15, s13, s14
	s_delay_alu instid0(SALU_CYCLE_1)
	s_and_saveexec_b32 s38, s15
; %bb.1936:                             ;   in Loop: Header=BB6_1837 Depth=3
	v_cmp_gt_f16_e64 s15, v117, v118
	v_cmp_lt_u16_e64 vcc_lo, 0x7c00, v129
	s_delay_alu instid0(VALU_DEP_2) | instskip(NEXT) | instid1(VALU_DEP_2)
	v_cndmask_b32_e64 v128, v118, v117, s15
	s_and_b32 s15, s13, vcc_lo
	s_delay_alu instid0(VALU_DEP_1) | instid1(SALU_CYCLE_1)
	v_cndmask_b32_e64 v128, v128, 0x7fff, s15
; %bb.1937:                             ;   in Loop: Header=BB6_1837 Depth=3
	s_or_b32 exec_lo, exec_lo, s38
.LBB6_1938:                             ;   in Loop: Header=BB6_1837 Depth=3
	s_delay_alu instid0(SALU_CYCLE_1)
	s_or_b32 exec_lo, exec_lo, s37
	s_mov_b32 s15, 0
.LBB6_1939:                             ;   in Loop: Header=BB6_1837 Depth=3
	s_delay_alu instid0(SALU_CYCLE_1)
	s_and_not1_b32 vcc_lo, exec_lo, s15
	s_cbranch_vccnz .LBB6_1945
; %bb.1940:                             ;   in Loop: Header=BB6_1837 Depth=3
	s_and_saveexec_b32 s15, s36
	s_cbranch_execz .LBB6_1944
; %bb.1941:                             ;   in Loop: Header=BB6_1837 Depth=3
	s_or_b32 s14, s13, s14
	s_delay_alu instid0(SALU_CYCLE_1)
	s_and_saveexec_b32 s36, s14
; %bb.1942:                             ;   in Loop: Header=BB6_1837 Depth=3
	v_cmp_gt_f16_e64 s14, v117, v118
	v_cmp_lt_u16_e64 vcc_lo, 0x7c00, v129
	s_delay_alu instid0(VALU_DEP_2) | instskip(NEXT) | instid1(VALU_DEP_2)
	v_cndmask_b32_e64 v117, v117, v118, s14
	s_and_b32 s13, s13, vcc_lo
	s_delay_alu instid0(VALU_DEP_1) | instid1(SALU_CYCLE_1)
	v_cndmask_b32_e64 v117, v117, 0x7fff, s13
; %bb.1943:                             ;   in Loop: Header=BB6_1837 Depth=3
	s_or_b32 exec_lo, exec_lo, s36
	s_delay_alu instid0(VALU_DEP_1)
	v_mov_b32_e32 v118, v117
.LBB6_1944:                             ;   in Loop: Header=BB6_1837 Depth=3
	s_or_b32 exec_lo, exec_lo, s15
	s_delay_alu instid0(VALU_DEP_1)
	v_mov_b32_e32 v128, v118
.LBB6_1945:                             ;   in Loop: Header=BB6_1837 Depth=3
	v_and_b32_e32 v117, 0x7fff, v51
	s_waitcnt vmcnt(6) lgkmcnt(6)
	v_and_b32_e32 v118, 0x7fff, v113
	s_mov_b32 s15, -1
	s_and_not1_b32 vcc_lo, exec_lo, s35
	v_cmp_lt_u16_e64 s13, 0x7c00, v117
	s_delay_alu instid0(VALU_DEP_2) | instskip(NEXT) | instid1(VALU_DEP_1)
	v_cmp_gt_u16_e64 s14, 0x7c01, v118
                                        ; implicit-def: $vgpr117
	s_and_b32 s36, s13, s14
	s_delay_alu instid0(SALU_CYCLE_1)
	s_xor_b32 s36, s36, -1
	s_cbranch_vccnz .LBB6_1951
; %bb.1946:                             ;   in Loop: Header=BB6_1837 Depth=3
	v_mov_b32_e32 v117, v113
	s_and_saveexec_b32 s37, s36
	s_cbranch_execz .LBB6_1950
; %bb.1947:                             ;   in Loop: Header=BB6_1837 Depth=3
	v_mov_b32_e32 v117, v51
	s_or_b32 s15, s13, s14
	s_delay_alu instid0(SALU_CYCLE_1)
	s_and_saveexec_b32 s38, s15
; %bb.1948:                             ;   in Loop: Header=BB6_1837 Depth=3
	v_cmp_gt_f16_e64 s15, v51, v113
	v_cmp_lt_u16_e32 vcc_lo, 0x7c00, v118
	s_delay_alu instid0(VALU_DEP_2)
	v_cndmask_b32_e64 v117, v113, v51, s15
	s_and_b32 s15, s13, vcc_lo
	s_delay_alu instid0(VALU_DEP_1) | instid1(SALU_CYCLE_1)
	v_cndmask_b32_e64 v117, v117, 0x7fff, s15
; %bb.1949:                             ;   in Loop: Header=BB6_1837 Depth=3
	s_or_b32 exec_lo, exec_lo, s38
.LBB6_1950:                             ;   in Loop: Header=BB6_1837 Depth=3
	s_delay_alu instid0(SALU_CYCLE_1)
	s_or_b32 exec_lo, exec_lo, s37
	s_mov_b32 s15, 0
.LBB6_1951:                             ;   in Loop: Header=BB6_1837 Depth=3
	s_delay_alu instid0(SALU_CYCLE_1)
	s_and_not1_b32 vcc_lo, exec_lo, s15
	s_cbranch_vccnz .LBB6_1957
; %bb.1952:                             ;   in Loop: Header=BB6_1837 Depth=3
	s_and_saveexec_b32 s15, s36
	s_cbranch_execz .LBB6_1956
; %bb.1953:                             ;   in Loop: Header=BB6_1837 Depth=3
	s_or_b32 s14, s13, s14
	s_delay_alu instid0(SALU_CYCLE_1)
	s_and_saveexec_b32 s36, s14
; %bb.1954:                             ;   in Loop: Header=BB6_1837 Depth=3
	v_cmp_gt_f16_e64 s14, v51, v113
	v_cmp_lt_u16_e32 vcc_lo, 0x7c00, v118
	s_delay_alu instid0(VALU_DEP_2)
	v_cndmask_b32_e64 v51, v51, v113, s14
	s_and_b32 s13, s13, vcc_lo
	s_delay_alu instid0(VALU_DEP_1) | instid1(SALU_CYCLE_1)
	v_cndmask_b32_e64 v51, v51, 0x7fff, s13
; %bb.1955:                             ;   in Loop: Header=BB6_1837 Depth=3
	s_or_b32 exec_lo, exec_lo, s36
	s_delay_alu instid0(VALU_DEP_1)
	v_mov_b32_e32 v113, v51
.LBB6_1956:                             ;   in Loop: Header=BB6_1837 Depth=3
	s_or_b32 exec_lo, exec_lo, s15
	s_delay_alu instid0(VALU_DEP_1)
	v_mov_b32_e32 v117, v113
.LBB6_1957:                             ;   in Loop: Header=BB6_1837 Depth=3
	v_and_b32_e32 v51, 0x7fff, v48
	s_waitcnt vmcnt(5) lgkmcnt(5)
	v_and_b32_e32 v113, 0x7fff, v49
	s_mov_b32 s15, -1
	s_and_not1_b32 vcc_lo, exec_lo, s35
	v_cmp_lt_u16_e64 s13, 0x7c00, v51
	s_delay_alu instid0(VALU_DEP_2) | instskip(NEXT) | instid1(VALU_DEP_1)
	v_cmp_gt_u16_e64 s14, 0x7c01, v113
                                        ; implicit-def: $vgpr51
	s_and_b32 s36, s13, s14
	s_delay_alu instid0(SALU_CYCLE_1)
	s_xor_b32 s36, s36, -1
	s_cbranch_vccnz .LBB6_1963
; %bb.1958:                             ;   in Loop: Header=BB6_1837 Depth=3
	v_mov_b32_e32 v51, v49
	s_and_saveexec_b32 s37, s36
	s_cbranch_execz .LBB6_1962
; %bb.1959:                             ;   in Loop: Header=BB6_1837 Depth=3
	v_mov_b32_e32 v51, v48
	s_or_b32 s15, s13, s14
	s_delay_alu instid0(SALU_CYCLE_1)
	s_and_saveexec_b32 s38, s15
; %bb.1960:                             ;   in Loop: Header=BB6_1837 Depth=3
	v_cmp_gt_f16_e64 s15, v48, v49
	v_cmp_lt_u16_e32 vcc_lo, 0x7c00, v113
	s_delay_alu instid0(VALU_DEP_2)
	v_cndmask_b32_e64 v51, v49, v48, s15
	s_and_b32 s15, s13, vcc_lo
	s_delay_alu instid0(VALU_DEP_1) | instid1(SALU_CYCLE_1)
	v_cndmask_b32_e64 v51, v51, 0x7fff, s15
; %bb.1961:                             ;   in Loop: Header=BB6_1837 Depth=3
	s_or_b32 exec_lo, exec_lo, s38
.LBB6_1962:                             ;   in Loop: Header=BB6_1837 Depth=3
	s_delay_alu instid0(SALU_CYCLE_1)
	s_or_b32 exec_lo, exec_lo, s37
	s_mov_b32 s15, 0
.LBB6_1963:                             ;   in Loop: Header=BB6_1837 Depth=3
	s_delay_alu instid0(SALU_CYCLE_1)
	s_and_not1_b32 vcc_lo, exec_lo, s15
	s_cbranch_vccnz .LBB6_1969
; %bb.1964:                             ;   in Loop: Header=BB6_1837 Depth=3
	s_and_saveexec_b32 s15, s36
	s_cbranch_execz .LBB6_1968
; %bb.1965:                             ;   in Loop: Header=BB6_1837 Depth=3
	s_or_b32 s14, s13, s14
	s_delay_alu instid0(SALU_CYCLE_1)
	s_and_saveexec_b32 s36, s14
; %bb.1966:                             ;   in Loop: Header=BB6_1837 Depth=3
	v_cmp_gt_f16_e64 s14, v48, v49
	v_cmp_lt_u16_e32 vcc_lo, 0x7c00, v113
	s_delay_alu instid0(VALU_DEP_2)
	v_cndmask_b32_e64 v48, v48, v49, s14
	s_and_b32 s13, s13, vcc_lo
	s_delay_alu instid0(VALU_DEP_1) | instid1(SALU_CYCLE_1)
	v_cndmask_b32_e64 v48, v48, 0x7fff, s13
; %bb.1967:                             ;   in Loop: Header=BB6_1837 Depth=3
	s_or_b32 exec_lo, exec_lo, s36
	s_delay_alu instid0(VALU_DEP_1)
	v_mov_b32_e32 v49, v48
.LBB6_1968:                             ;   in Loop: Header=BB6_1837 Depth=3
	s_or_b32 exec_lo, exec_lo, s15
	s_delay_alu instid0(VALU_DEP_1)
	v_mov_b32_e32 v51, v49
.LBB6_1969:                             ;   in Loop: Header=BB6_1837 Depth=3
	v_and_b32_e32 v48, 0x7fff, v37
	s_waitcnt vmcnt(4) lgkmcnt(4)
	v_and_b32_e32 v49, 0x7fff, v38
	s_mov_b32 s15, -1
	s_and_not1_b32 vcc_lo, exec_lo, s35
	v_cmp_lt_u16_e64 s13, 0x7c00, v48
	s_delay_alu instid0(VALU_DEP_2) | instskip(NEXT) | instid1(VALU_DEP_1)
	v_cmp_gt_u16_e64 s14, 0x7c01, v49
                                        ; implicit-def: $vgpr48
	s_and_b32 s36, s13, s14
	s_delay_alu instid0(SALU_CYCLE_1)
	s_xor_b32 s36, s36, -1
	s_cbranch_vccnz .LBB6_1975
; %bb.1970:                             ;   in Loop: Header=BB6_1837 Depth=3
	v_mov_b32_e32 v48, v38
	s_and_saveexec_b32 s37, s36
	s_cbranch_execz .LBB6_1974
; %bb.1971:                             ;   in Loop: Header=BB6_1837 Depth=3
	v_mov_b32_e32 v48, v37
	s_or_b32 s15, s13, s14
	s_delay_alu instid0(SALU_CYCLE_1)
	s_and_saveexec_b32 s38, s15
; %bb.1972:                             ;   in Loop: Header=BB6_1837 Depth=3
	v_cmp_gt_f16_e64 s15, v37, v38
	v_cmp_lt_u16_e32 vcc_lo, 0x7c00, v49
	s_delay_alu instid0(VALU_DEP_2)
	v_cndmask_b32_e64 v48, v38, v37, s15
	s_and_b32 s15, s13, vcc_lo
	s_delay_alu instid0(VALU_DEP_1) | instid1(SALU_CYCLE_1)
	v_cndmask_b32_e64 v48, v48, 0x7fff, s15
; %bb.1973:                             ;   in Loop: Header=BB6_1837 Depth=3
	s_or_b32 exec_lo, exec_lo, s38
.LBB6_1974:                             ;   in Loop: Header=BB6_1837 Depth=3
	s_delay_alu instid0(SALU_CYCLE_1)
	s_or_b32 exec_lo, exec_lo, s37
	s_mov_b32 s15, 0
.LBB6_1975:                             ;   in Loop: Header=BB6_1837 Depth=3
	s_delay_alu instid0(SALU_CYCLE_1)
	s_and_not1_b32 vcc_lo, exec_lo, s15
	s_cbranch_vccnz .LBB6_1981
; %bb.1976:                             ;   in Loop: Header=BB6_1837 Depth=3
	s_and_saveexec_b32 s15, s36
	s_cbranch_execz .LBB6_1980
; %bb.1977:                             ;   in Loop: Header=BB6_1837 Depth=3
	s_or_b32 s14, s13, s14
	s_delay_alu instid0(SALU_CYCLE_1)
	s_and_saveexec_b32 s36, s14
; %bb.1978:                             ;   in Loop: Header=BB6_1837 Depth=3
	v_cmp_gt_f16_e64 s14, v37, v38
	v_cmp_lt_u16_e32 vcc_lo, 0x7c00, v49
	s_delay_alu instid0(VALU_DEP_2)
	v_cndmask_b32_e64 v37, v37, v38, s14
	s_and_b32 s13, s13, vcc_lo
	s_delay_alu instid0(VALU_DEP_1) | instid1(SALU_CYCLE_1)
	v_cndmask_b32_e64 v37, v37, 0x7fff, s13
; %bb.1979:                             ;   in Loop: Header=BB6_1837 Depth=3
	s_or_b32 exec_lo, exec_lo, s36
	s_delay_alu instid0(VALU_DEP_1)
	v_mov_b32_e32 v38, v37
.LBB6_1980:                             ;   in Loop: Header=BB6_1837 Depth=3
	s_or_b32 exec_lo, exec_lo, s15
	s_delay_alu instid0(VALU_DEP_1)
	v_mov_b32_e32 v48, v38
.LBB6_1981:                             ;   in Loop: Header=BB6_1837 Depth=3
	v_and_b32_e32 v37, 0x7fff, v34
	s_waitcnt vmcnt(3) lgkmcnt(3)
	v_and_b32_e32 v38, 0x7fff, v35
	s_mov_b32 s15, -1
	s_and_not1_b32 vcc_lo, exec_lo, s35
	v_cmp_lt_u16_e64 s13, 0x7c00, v37
	s_delay_alu instid0(VALU_DEP_2) | instskip(NEXT) | instid1(VALU_DEP_1)
	v_cmp_gt_u16_e64 s14, 0x7c01, v38
                                        ; implicit-def: $vgpr37
	s_and_b32 s36, s13, s14
	s_delay_alu instid0(SALU_CYCLE_1)
	s_xor_b32 s36, s36, -1
	s_cbranch_vccnz .LBB6_1987
; %bb.1982:                             ;   in Loop: Header=BB6_1837 Depth=3
	v_mov_b32_e32 v37, v35
	s_and_saveexec_b32 s37, s36
	s_cbranch_execz .LBB6_1986
; %bb.1983:                             ;   in Loop: Header=BB6_1837 Depth=3
	v_mov_b32_e32 v37, v34
	s_or_b32 s15, s13, s14
	s_delay_alu instid0(SALU_CYCLE_1)
	s_and_saveexec_b32 s38, s15
; %bb.1984:                             ;   in Loop: Header=BB6_1837 Depth=3
	v_cmp_gt_f16_e64 s15, v34, v35
	v_cmp_lt_u16_e32 vcc_lo, 0x7c00, v38
	s_delay_alu instid0(VALU_DEP_2)
	v_cndmask_b32_e64 v37, v35, v34, s15
	s_and_b32 s15, s13, vcc_lo
	s_delay_alu instid0(VALU_DEP_1) | instid1(SALU_CYCLE_1)
	v_cndmask_b32_e64 v37, v37, 0x7fff, s15
; %bb.1985:                             ;   in Loop: Header=BB6_1837 Depth=3
	s_or_b32 exec_lo, exec_lo, s38
.LBB6_1986:                             ;   in Loop: Header=BB6_1837 Depth=3
	s_delay_alu instid0(SALU_CYCLE_1)
	s_or_b32 exec_lo, exec_lo, s37
	s_mov_b32 s15, 0
.LBB6_1987:                             ;   in Loop: Header=BB6_1837 Depth=3
	s_delay_alu instid0(SALU_CYCLE_1)
	s_and_not1_b32 vcc_lo, exec_lo, s15
	s_cbranch_vccnz .LBB6_1993
; %bb.1988:                             ;   in Loop: Header=BB6_1837 Depth=3
	s_and_saveexec_b32 s15, s36
	s_cbranch_execz .LBB6_1992
; %bb.1989:                             ;   in Loop: Header=BB6_1837 Depth=3
	s_or_b32 s14, s13, s14
	s_delay_alu instid0(SALU_CYCLE_1)
	s_and_saveexec_b32 s36, s14
; %bb.1990:                             ;   in Loop: Header=BB6_1837 Depth=3
	v_cmp_gt_f16_e64 s14, v34, v35
	v_cmp_lt_u16_e32 vcc_lo, 0x7c00, v38
	s_delay_alu instid0(VALU_DEP_2)
	v_cndmask_b32_e64 v34, v34, v35, s14
	s_and_b32 s13, s13, vcc_lo
	s_delay_alu instid0(VALU_DEP_1) | instid1(SALU_CYCLE_1)
	v_cndmask_b32_e64 v34, v34, 0x7fff, s13
; %bb.1991:                             ;   in Loop: Header=BB6_1837 Depth=3
	s_or_b32 exec_lo, exec_lo, s36
	s_delay_alu instid0(VALU_DEP_1)
	v_mov_b32_e32 v35, v34
.LBB6_1992:                             ;   in Loop: Header=BB6_1837 Depth=3
	s_or_b32 exec_lo, exec_lo, s15
	s_delay_alu instid0(VALU_DEP_1)
	v_mov_b32_e32 v37, v35
.LBB6_1993:                             ;   in Loop: Header=BB6_1837 Depth=3
	v_and_b32_e32 v34, 0x7fff, v27
	s_waitcnt vmcnt(2) lgkmcnt(2)
	v_and_b32_e32 v35, 0x7fff, v32
	s_mov_b32 s15, -1
	s_and_not1_b32 vcc_lo, exec_lo, s35
	v_cmp_lt_u16_e64 s13, 0x7c00, v34
	s_delay_alu instid0(VALU_DEP_2) | instskip(NEXT) | instid1(VALU_DEP_1)
	v_cmp_gt_u16_e64 s14, 0x7c01, v35
                                        ; implicit-def: $vgpr34
	s_and_b32 s36, s13, s14
	s_delay_alu instid0(SALU_CYCLE_1)
	s_xor_b32 s36, s36, -1
	s_cbranch_vccnz .LBB6_1999
; %bb.1994:                             ;   in Loop: Header=BB6_1837 Depth=3
	v_mov_b32_e32 v34, v32
	s_and_saveexec_b32 s37, s36
	s_cbranch_execz .LBB6_1998
; %bb.1995:                             ;   in Loop: Header=BB6_1837 Depth=3
	v_mov_b32_e32 v34, v27
	s_or_b32 s15, s13, s14
	s_delay_alu instid0(SALU_CYCLE_1)
	s_and_saveexec_b32 s38, s15
; %bb.1996:                             ;   in Loop: Header=BB6_1837 Depth=3
	v_cmp_gt_f16_e64 s15, v27, v32
	v_cmp_lt_u16_e32 vcc_lo, 0x7c00, v35
	s_delay_alu instid0(VALU_DEP_2)
	v_cndmask_b32_e64 v34, v32, v27, s15
	s_and_b32 s15, s13, vcc_lo
	s_delay_alu instid0(VALU_DEP_1) | instid1(SALU_CYCLE_1)
	v_cndmask_b32_e64 v34, v34, 0x7fff, s15
; %bb.1997:                             ;   in Loop: Header=BB6_1837 Depth=3
	s_or_b32 exec_lo, exec_lo, s38
.LBB6_1998:                             ;   in Loop: Header=BB6_1837 Depth=3
	s_delay_alu instid0(SALU_CYCLE_1)
	s_or_b32 exec_lo, exec_lo, s37
	s_mov_b32 s15, 0
.LBB6_1999:                             ;   in Loop: Header=BB6_1837 Depth=3
	s_delay_alu instid0(SALU_CYCLE_1)
	s_and_not1_b32 vcc_lo, exec_lo, s15
	s_cbranch_vccnz .LBB6_2005
; %bb.2000:                             ;   in Loop: Header=BB6_1837 Depth=3
	s_and_saveexec_b32 s15, s36
	s_cbranch_execz .LBB6_2004
; %bb.2001:                             ;   in Loop: Header=BB6_1837 Depth=3
	s_or_b32 s14, s13, s14
	s_delay_alu instid0(SALU_CYCLE_1)
	s_and_saveexec_b32 s36, s14
; %bb.2002:                             ;   in Loop: Header=BB6_1837 Depth=3
	v_cmp_gt_f16_e64 s14, v27, v32
	v_cmp_lt_u16_e32 vcc_lo, 0x7c00, v35
	s_delay_alu instid0(VALU_DEP_2)
	v_cndmask_b32_e64 v27, v27, v32, s14
	s_and_b32 s13, s13, vcc_lo
	s_delay_alu instid0(VALU_DEP_1) | instid1(SALU_CYCLE_1)
	v_cndmask_b32_e64 v27, v27, 0x7fff, s13
; %bb.2003:                             ;   in Loop: Header=BB6_1837 Depth=3
	s_or_b32 exec_lo, exec_lo, s36
	s_delay_alu instid0(VALU_DEP_1)
	v_mov_b32_e32 v32, v27
.LBB6_2004:                             ;   in Loop: Header=BB6_1837 Depth=3
	s_or_b32 exec_lo, exec_lo, s15
	s_delay_alu instid0(VALU_DEP_1)
	v_mov_b32_e32 v34, v32
.LBB6_2005:                             ;   in Loop: Header=BB6_1837 Depth=3
	v_and_b32_e32 v27, 0x7fff, v24
	s_waitcnt vmcnt(1) lgkmcnt(1)
	v_and_b32_e32 v32, 0x7fff, v25
	s_mov_b32 s15, -1
	s_and_not1_b32 vcc_lo, exec_lo, s35
	v_cmp_lt_u16_e64 s13, 0x7c00, v27
	s_delay_alu instid0(VALU_DEP_2) | instskip(NEXT) | instid1(VALU_DEP_1)
	v_cmp_gt_u16_e64 s14, 0x7c01, v32
                                        ; implicit-def: $vgpr27
	s_and_b32 s36, s13, s14
	s_delay_alu instid0(SALU_CYCLE_1)
	s_xor_b32 s36, s36, -1
	s_cbranch_vccnz .LBB6_2011
; %bb.2006:                             ;   in Loop: Header=BB6_1837 Depth=3
	v_mov_b32_e32 v27, v25
	s_and_saveexec_b32 s37, s36
	s_cbranch_execz .LBB6_2010
; %bb.2007:                             ;   in Loop: Header=BB6_1837 Depth=3
	v_mov_b32_e32 v27, v24
	s_or_b32 s15, s13, s14
	s_delay_alu instid0(SALU_CYCLE_1)
	s_and_saveexec_b32 s38, s15
; %bb.2008:                             ;   in Loop: Header=BB6_1837 Depth=3
	v_cmp_gt_f16_e64 s15, v24, v25
	v_cmp_lt_u16_e32 vcc_lo, 0x7c00, v32
	s_delay_alu instid0(VALU_DEP_2)
	v_cndmask_b32_e64 v27, v25, v24, s15
	s_and_b32 s15, s13, vcc_lo
	s_delay_alu instid0(VALU_DEP_1) | instid1(SALU_CYCLE_1)
	v_cndmask_b32_e64 v27, v27, 0x7fff, s15
; %bb.2009:                             ;   in Loop: Header=BB6_1837 Depth=3
	s_or_b32 exec_lo, exec_lo, s38
.LBB6_2010:                             ;   in Loop: Header=BB6_1837 Depth=3
	s_delay_alu instid0(SALU_CYCLE_1)
	s_or_b32 exec_lo, exec_lo, s37
	s_mov_b32 s15, 0
.LBB6_2011:                             ;   in Loop: Header=BB6_1837 Depth=3
	s_delay_alu instid0(SALU_CYCLE_1)
	s_and_not1_b32 vcc_lo, exec_lo, s15
	s_cbranch_vccnz .LBB6_2017
; %bb.2012:                             ;   in Loop: Header=BB6_1837 Depth=3
	s_and_saveexec_b32 s15, s36
	s_cbranch_execz .LBB6_2016
; %bb.2013:                             ;   in Loop: Header=BB6_1837 Depth=3
	s_or_b32 s14, s13, s14
	s_delay_alu instid0(SALU_CYCLE_1)
	s_and_saveexec_b32 s36, s14
; %bb.2014:                             ;   in Loop: Header=BB6_1837 Depth=3
	v_cmp_gt_f16_e64 s14, v24, v25
	v_cmp_lt_u16_e32 vcc_lo, 0x7c00, v32
	s_delay_alu instid0(VALU_DEP_2)
	v_cndmask_b32_e64 v24, v24, v25, s14
	s_and_b32 s13, s13, vcc_lo
	s_delay_alu instid0(VALU_DEP_1) | instid1(SALU_CYCLE_1)
	v_cndmask_b32_e64 v24, v24, 0x7fff, s13
; %bb.2015:                             ;   in Loop: Header=BB6_1837 Depth=3
	s_or_b32 exec_lo, exec_lo, s36
	s_delay_alu instid0(VALU_DEP_1)
	v_mov_b32_e32 v25, v24
.LBB6_2016:                             ;   in Loop: Header=BB6_1837 Depth=3
	s_or_b32 exec_lo, exec_lo, s15
	s_delay_alu instid0(VALU_DEP_1)
	v_mov_b32_e32 v27, v25
.LBB6_2017:                             ;   in Loop: Header=BB6_1837 Depth=3
	v_and_b32_e32 v25, 0x7fff, v21
	s_waitcnt vmcnt(0) lgkmcnt(0)
	v_and_b32_e32 v24, 0x7fff, v22
	s_mov_b32 s15, -1
	s_and_not1_b32 vcc_lo, exec_lo, s35
	v_cmp_lt_u16_e64 s13, 0x7c00, v25
	s_delay_alu instid0(VALU_DEP_2) | instskip(NEXT) | instid1(VALU_DEP_1)
	v_cmp_gt_u16_e64 s14, 0x7c01, v24
                                        ; implicit-def: $vgpr25
	s_and_b32 s36, s13, s14
	s_delay_alu instid0(SALU_CYCLE_1)
	s_xor_b32 s36, s36, -1
	s_cbranch_vccnz .LBB6_2023
; %bb.2018:                             ;   in Loop: Header=BB6_1837 Depth=3
	v_mov_b32_e32 v25, v22
	s_and_saveexec_b32 s37, s36
	s_cbranch_execz .LBB6_2022
; %bb.2019:                             ;   in Loop: Header=BB6_1837 Depth=3
	v_mov_b32_e32 v25, v21
	s_or_b32 s15, s13, s14
	s_delay_alu instid0(SALU_CYCLE_1)
	s_and_saveexec_b32 s38, s15
; %bb.2020:                             ;   in Loop: Header=BB6_1837 Depth=3
	v_cmp_gt_f16_e64 s15, v21, v22
	v_cmp_lt_u16_e32 vcc_lo, 0x7c00, v24
	s_delay_alu instid0(VALU_DEP_2)
	v_cndmask_b32_e64 v25, v22, v21, s15
	s_and_b32 s15, s13, vcc_lo
	s_delay_alu instid0(VALU_DEP_1) | instid1(SALU_CYCLE_1)
	v_cndmask_b32_e64 v25, v25, 0x7fff, s15
; %bb.2021:                             ;   in Loop: Header=BB6_1837 Depth=3
	s_or_b32 exec_lo, exec_lo, s38
.LBB6_2022:                             ;   in Loop: Header=BB6_1837 Depth=3
	s_delay_alu instid0(SALU_CYCLE_1)
	s_or_b32 exec_lo, exec_lo, s37
	s_mov_b32 s15, 0
.LBB6_2023:                             ;   in Loop: Header=BB6_1837 Depth=3
	s_delay_alu instid0(SALU_CYCLE_1)
	s_and_not1_b32 vcc_lo, exec_lo, s15
	s_cbranch_vccnz .LBB6_1836
; %bb.2024:                             ;   in Loop: Header=BB6_1837 Depth=3
	s_and_saveexec_b32 s15, s36
	s_cbranch_execz .LBB6_1835
; %bb.2025:                             ;   in Loop: Header=BB6_1837 Depth=3
	s_or_b32 s14, s13, s14
	s_delay_alu instid0(SALU_CYCLE_1)
	s_and_saveexec_b32 s36, s14
	s_cbranch_execz .LBB6_1834
; %bb.2026:                             ;   in Loop: Header=BB6_1837 Depth=3
	v_cmp_gt_f16_e64 s14, v21, v22
	v_cmp_lt_u16_e32 vcc_lo, 0x7c00, v24
	s_delay_alu instid0(VALU_DEP_2)
	v_cndmask_b32_e64 v21, v21, v22, s14
	s_and_b32 s13, s13, vcc_lo
	s_delay_alu instid0(VALU_DEP_1) | instid1(SALU_CYCLE_1)
	v_cndmask_b32_e64 v21, v21, 0x7fff, s13
	s_branch .LBB6_1834
.LBB6_2027:                             ;   in Loop: Header=BB6_1249 Depth=2
	s_or_b32 exec_lo, exec_lo, s34
.LBB6_2028:                             ;   in Loop: Header=BB6_1249 Depth=2
	s_delay_alu instid0(SALU_CYCLE_1) | instskip(SKIP_2) | instid1(VALU_DEP_1)
	s_or_b32 exec_lo, exec_lo, s31
	v_lshlrev_b32_e32 v8, 10, v20
	s_mov_b32 s31, exec_lo
	v_cmpx_ne_u32_e64 v17, v8
	s_cbranch_execz .LBB6_2047
; %bb.2029:                             ;   in Loop: Header=BB6_1249 Depth=2
	v_ashrrev_i32_e32 v9, 31, v18
	v_lshlrev_b32_e32 v10, 5, v19
	s_delay_alu instid0(VALU_DEP_2) | instskip(NEXT) | instid1(VALU_DEP_1)
	v_lshrrev_b32_e32 v9, 27, v9
	v_add_nc_u32_e32 v9, v18, v9
	s_delay_alu instid0(VALU_DEP_1) | instskip(NEXT) | instid1(VALU_DEP_1)
	v_and_b32_e32 v9, 0xffffffe0, v9
	v_sub_nc_u32_e32 v9, v18, v9
	s_delay_alu instid0(VALU_DEP_1) | instskip(NEXT) | instid1(VALU_DEP_1)
	v_sub_nc_u32_e32 v9, v9, v10
	v_ashrrev_i32_e32 v10, 31, v9
	s_delay_alu instid0(VALU_DEP_1) | instskip(NEXT) | instid1(VALU_DEP_1)
	v_lshrrev_b32_e32 v10, 27, v10
	v_add_nc_u32_e32 v10, v9, v10
	s_delay_alu instid0(VALU_DEP_1) | instskip(SKIP_1) | instid1(VALU_DEP_2)
	v_and_b32_e32 v11, 0x7fffffe0, v10
	v_lshlrev_b32_e32 v10, 1, v10
	v_sub_nc_u32_e32 v9, v9, v11
	s_delay_alu instid0(VALU_DEP_2) | instskip(NEXT) | instid1(VALU_DEP_2)
	v_and_b32_e32 v10, 0xffffffc0, v10
	v_lshlrev_b32_e32 v9, 1, v9
	s_delay_alu instid0(VALU_DEP_1) | instskip(NEXT) | instid1(VALU_DEP_1)
	v_add3_u32 v8, v10, v9, v8
	v_sub_nc_u32_e32 v17, v17, v8
	s_delay_alu instid0(VALU_DEP_1)
	v_cmp_lt_i32_e32 vcc_lo, 1, v17
	s_and_b32 exec_lo, exec_lo, vcc_lo
	s_cbranch_execz .LBB6_2047
; %bb.2030:                             ;   in Loop: Header=BB6_1249 Depth=2
	s_cbranch_execnz .LBB6_3871
; %bb.2031:                             ;   in Loop: Header=BB6_1249 Depth=2
	ds_load_b128 v[9:12], v0
	v_add_nc_u32_e32 v13, v8, v16
	s_bitcmp1_b32 s30, 0
	s_mov_b32 s34, 0
	s_cselect_b32 s35, -1, 0
	s_delay_alu instid0(VALU_DEP_1) | instskip(SKIP_2) | instid1(VALU_DEP_2)
	v_ashrrev_i32_e32 v14, 31, v13
	s_waitcnt lgkmcnt(0)
	v_add_co_u32 v8, vcc_lo, v9, v13
	v_add_co_ci_u32_e32 v9, vcc_lo, v10, v14, vcc_lo
	v_add_co_u32 v10, vcc_lo, v11, v13
	v_add_co_ci_u32_e32 v11, vcc_lo, v12, v14, vcc_lo
	s_delay_alu instid0(VALU_DEP_3) | instskip(NEXT) | instid1(VALU_DEP_2)
	v_dual_mov_b32 v13, v9 :: v_dual_mov_b32 v12, v8
	v_dual_mov_b32 v15, v11 :: v_dual_mov_b32 v14, v10
.LBB6_2032:                             ;   Parent Loop BB6_51 Depth=1
                                        ;     Parent Loop BB6_1249 Depth=2
                                        ; =>    This Loop Header: Depth=3
                                        ;         Child Loop BB6_2045 Depth 4
	flat_load_u16 v16, v[12:13] slc dlc
	flat_load_u16 v19, v[14:15] slc dlc
	s_mov_b32 s15, -1
	s_and_b32 vcc_lo, exec_lo, s35
	s_waitcnt vmcnt(1) lgkmcnt(1)
	v_and_b32_e32 v18, 0x7fff, v16
	s_waitcnt vmcnt(0) lgkmcnt(0)
	v_and_b32_e32 v20, 0x7fff, v19
	s_delay_alu instid0(VALU_DEP_2) | instskip(NEXT) | instid1(VALU_DEP_2)
	v_cmp_lt_u16_e64 s13, 0x7c00, v18
	v_cmp_gt_u16_e64 s14, 0x7c01, v20
                                        ; implicit-def: $vgpr18
	s_delay_alu instid0(VALU_DEP_1) | instskip(NEXT) | instid1(SALU_CYCLE_1)
	s_and_b32 s36, s13, s14
	s_xor_b32 s36, s36, -1
	s_cbranch_vccz .LBB6_2038
; %bb.2033:                             ;   in Loop: Header=BB6_2032 Depth=3
	v_mov_b32_e32 v18, v19
	s_and_saveexec_b32 s37, s36
	s_cbranch_execz .LBB6_2037
; %bb.2034:                             ;   in Loop: Header=BB6_2032 Depth=3
	v_mov_b32_e32 v18, v16
	s_or_b32 s15, s13, s14
	s_delay_alu instid0(SALU_CYCLE_1)
	s_and_saveexec_b32 s38, s15
; %bb.2035:                             ;   in Loop: Header=BB6_2032 Depth=3
	v_cmp_gt_f16_e64 s15, v16, v19
	v_cmp_lt_u16_e32 vcc_lo, 0x7c00, v20
	s_delay_alu instid0(VALU_DEP_2)
	v_cndmask_b32_e64 v18, v19, v16, s15
	s_and_b32 s15, s13, vcc_lo
	s_delay_alu instid0(VALU_DEP_1) | instid1(SALU_CYCLE_1)
	v_cndmask_b32_e64 v18, v18, 0x7fff, s15
; %bb.2036:                             ;   in Loop: Header=BB6_2032 Depth=3
	s_or_b32 exec_lo, exec_lo, s38
.LBB6_2037:                             ;   in Loop: Header=BB6_2032 Depth=3
	s_delay_alu instid0(SALU_CYCLE_1)
	s_or_b32 exec_lo, exec_lo, s37
	s_mov_b32 s15, 0
.LBB6_2038:                             ;   in Loop: Header=BB6_2032 Depth=3
	s_delay_alu instid0(SALU_CYCLE_1)
	s_and_not1_b32 vcc_lo, exec_lo, s15
	s_cbranch_vccnz .LBB6_2044
; %bb.2039:                             ;   in Loop: Header=BB6_2032 Depth=3
	s_and_saveexec_b32 s15, s36
	s_cbranch_execz .LBB6_2043
; %bb.2040:                             ;   in Loop: Header=BB6_2032 Depth=3
	s_or_b32 s14, s13, s14
	s_delay_alu instid0(SALU_CYCLE_1)
	s_and_saveexec_b32 s36, s14
; %bb.2041:                             ;   in Loop: Header=BB6_2032 Depth=3
	v_cmp_gt_f16_e64 s14, v16, v19
	v_cmp_lt_u16_e32 vcc_lo, 0x7c00, v20
	s_delay_alu instid0(VALU_DEP_2)
	v_cndmask_b32_e64 v16, v16, v19, s14
	s_and_b32 s13, s13, vcc_lo
	s_delay_alu instid0(VALU_DEP_1) | instid1(SALU_CYCLE_1)
	v_cndmask_b32_e64 v16, v16, 0x7fff, s13
; %bb.2042:                             ;   in Loop: Header=BB6_2032 Depth=3
	s_or_b32 exec_lo, exec_lo, s36
	s_delay_alu instid0(VALU_DEP_1)
	v_mov_b32_e32 v19, v16
.LBB6_2043:                             ;   in Loop: Header=BB6_2032 Depth=3
	s_or_b32 exec_lo, exec_lo, s15
	s_delay_alu instid0(VALU_DEP_1)
	v_mov_b32_e32 v18, v19
.LBB6_2044:                             ;   in Loop: Header=BB6_2032 Depth=3
	s_mov_b64 s[14:15], 0
	s_mov_b32 s13, -1
.LBB6_2045:                             ;   Parent Loop BB6_51 Depth=1
                                        ;     Parent Loop BB6_1249 Depth=2
                                        ;       Parent Loop BB6_2032 Depth=3
                                        ; =>      This Inner Loop Header: Depth=4
	s_cmp_eq_u32 s14, 0
	v_cndmask_b32_e64 v16, 0, 1, s13
	s_cselect_b32 vcc_lo, -1, 0
	s_cmp_eq_u32 s14, 1
	s_cselect_b32 s13, -1, 0
	s_delay_alu instid0(SALU_CYCLE_1) | instskip(SKIP_1) | instid1(VALU_DEP_2)
	v_cndmask_b32_e64 v19, v8, v10, s13
	v_cndmask_b32_e64 v20, v9, v11, s13
	v_add_co_u32 v21, s14, v19, 64
	s_delay_alu instid0(VALU_DEP_1) | instskip(SKIP_1) | instid1(VALU_DEP_3)
	v_add_co_ci_u32_e64 v22, s14, 0, v20, s14
	v_cmp_ne_u32_e64 s14, 1, v16
	v_cndmask_b32_e64 v10, v10, v21, s13
	v_cndmask_b32_e32 v8, v8, v21, vcc_lo
	s_delay_alu instid0(VALU_DEP_4)
	v_cndmask_b32_e64 v11, v11, v22, s13
	v_cndmask_b32_e32 v9, v9, v22, vcc_lo
	s_mov_b32 s13, 0
	s_and_b32 vcc_lo, exec_lo, s14
	s_mov_b64 s[14:15], 1
	flat_store_b16 v[19:20], v18 glc slc dlc
	s_cbranch_vccz .LBB6_2045
; %bb.2046:                             ;   in Loop: Header=BB6_2032 Depth=3
	v_add_co_u32 v12, vcc_lo, v12, v176
	v_add_co_ci_u32_e32 v13, vcc_lo, v13, v177, vcc_lo
	v_add_co_u32 v14, vcc_lo, v14, v176
	v_sub_nc_u32_e32 v17, v17, v161
	v_add_co_ci_u32_e32 v15, vcc_lo, v15, v177, vcc_lo
	v_add_co_u32 v8, vcc_lo, v8, v164
	v_add_co_ci_u32_e32 v9, vcc_lo, v9, v167, vcc_lo
	s_delay_alu instid0(VALU_DEP_4) | instskip(SKIP_1) | instid1(VALU_DEP_1)
	v_cmp_gt_i32_e32 vcc_lo, 2, v17
	v_add_co_u32 v10, s13, v10, v164
	v_add_co_ci_u32_e64 v11, s13, v11, v167, s13
	s_or_b32 s34, vcc_lo, s34
	s_delay_alu instid0(SALU_CYCLE_1)
	s_and_not1_b32 exec_lo, exec_lo, s34
	s_cbranch_execnz .LBB6_2032
.LBB6_2047:                             ;   in Loop: Header=BB6_1249 Depth=2
	s_or_b32 exec_lo, exec_lo, s31
.LBB6_2048:                             ;   in Loop: Header=BB6_1249 Depth=2
	s_delay_alu instid0(SALU_CYCLE_1)
	s_or_b32 exec_lo, exec_lo, s16
	s_mov_b32 s13, 0
.LBB6_2049:                             ;   in Loop: Header=BB6_1249 Depth=2
	s_delay_alu instid0(SALU_CYCLE_1)
	s_and_b32 vcc_lo, exec_lo, s13
	s_cbranch_vccz .LBB6_2768
; %bb.2050:                             ;   in Loop: Header=BB6_1249 Depth=2
	s_mov_b32 s13, -1
	s_and_saveexec_b32 s14, s12
	s_cbranch_execz .LBB6_2052
; %bb.2051:                             ;   in Loop: Header=BB6_1249 Depth=2
	ds_load_b32 v8, v0 offset:720
	s_waitcnt lgkmcnt(0)
	v_and_b32_e32 v8, 15, v8
	s_delay_alu instid0(VALU_DEP_1)
	v_cmp_eq_u32_e32 vcc_lo, 0, v8
	s_or_not1_b32 s13, vcc_lo, exec_lo
.LBB6_2052:                             ;   in Loop: Header=BB6_1249 Depth=2
	s_or_b32 exec_lo, exec_lo, s14
	s_and_saveexec_b32 s14, s5
	s_cbranch_execz .LBB6_2054
; %bb.2053:                             ;   in Loop: Header=BB6_1249 Depth=2
	ds_load_b32 v8, v0 offset:784
	s_waitcnt lgkmcnt(0)
	v_and_b32_e32 v8, 15, v8
	s_delay_alu instid0(VALU_DEP_1) | instskip(SKIP_3) | instid1(SALU_CYCLE_1)
	v_cmp_eq_u32_e32 vcc_lo, 0, v8
	s_and_b32 s15, s13, vcc_lo
	s_and_not1_b32 s13, s13, exec_lo
	s_and_b32 s15, s15, exec_lo
	s_or_b32 s13, s13, s15
.LBB6_2054:                             ;   in Loop: Header=BB6_1249 Depth=2
	s_or_b32 exec_lo, exec_lo, s14
	s_xor_b32 s13, s13, -1
	v_mov_b32_e32 v14, 0
	v_cndmask_b32_e64 v8, 0, 1, s13
	;;#ASMSTART
	;;#ASMEND
	s_delay_alu instid0(VALU_DEP_1)
	v_cmp_ne_u32_e32 vcc_lo, 0, v8
	s_mov_b32 s13, -1
	s_cbranch_vccz .LBB6_2056
; %bb.2055:                             ;   in Loop: Header=BB6_1249 Depth=2
	v_dual_mov_b32 v15, v0 :: v_dual_mov_b32 v8, v135
	s_branch .LBB6_2551
.LBB6_2056:                             ;   in Loop: Header=BB6_1249 Depth=2
	v_ashrrev_i32_e32 v8, 31, v2
	s_mov_b32 s16, exec_lo
	s_delay_alu instid0(VALU_DEP_1) | instskip(NEXT) | instid1(VALU_DEP_1)
	v_lshrrev_b32_e32 v8, 21, v8
	v_add_nc_u32_e32 v8, v2, v8
	s_delay_alu instid0(VALU_DEP_1) | instskip(NEXT) | instid1(VALU_DEP_1)
	v_ashrrev_i32_e32 v130, 11, v8
	v_sub_nc_u32_e32 v113, v130, v135
	s_delay_alu instid0(VALU_DEP_1)
	v_cmpx_lt_i32_e32 0, v113
	s_cbranch_execz .LBB6_2445
; %bb.2057:                             ;   in Loop: Header=BB6_1249 Depth=2
	s_cbranch_execnz .LBB6_3837
; %bb.2058:                             ;   in Loop: Header=BB6_1249 Depth=2
	ds_load_b128 v[8:11], v0
	ds_load_b64 v[12:13], v0
	s_bitcmp1_b32 s30, 0
	s_mov_b32 s31, 0
	s_cselect_b32 s34, -1, 0
	s_waitcnt lgkmcnt(1)
	v_add_co_u32 v116, vcc_lo, v8, v178
	v_add_co_ci_u32_e32 v117, vcc_lo, v9, v179, vcc_lo
	v_add_co_u32 v118, vcc_lo, v10, v178
	v_add_co_ci_u32_e32 v119, vcc_lo, v11, v179, vcc_lo
	s_waitcnt lgkmcnt(0)
	v_add_co_u32 v128, vcc_lo, v12, v178
	v_add_co_ci_u32_e32 v129, vcc_lo, v13, v179, vcc_lo
	s_branch .LBB6_2062
.LBB6_2059:                             ;   in Loop: Header=BB6_2062 Depth=3
	s_or_b32 exec_lo, exec_lo, s35
	s_delay_alu instid0(VALU_DEP_1)
	v_mov_b32_e32 v42, v40
.LBB6_2060:                             ;   in Loop: Header=BB6_2062 Depth=3
	s_or_b32 exec_lo, exec_lo, s15
	s_delay_alu instid0(VALU_DEP_1)
	v_mov_b32_e32 v11, v42
.LBB6_2061:                             ;   in Loop: Header=BB6_2062 Depth=3
	v_lshlrev_b32_e32 v15, 16, v20
	v_and_b32_e32 v17, 0xffff, v17
	v_lshlrev_b32_e32 v16, 16, v16
	v_and_b32_e32 v20, 0xffff, v35
	;; [unrolled: 2-line block ×3, first 2 shown]
	v_and_b32_e32 v25, 0xffff, v25
	v_lshlrev_b32_e32 v8, 16, v8
	v_or_b32_e32 v20, v16, v20
	v_or3_b32 v16, v15, v17, 0
	v_or_b32_e32 v17, v18, v21
	v_lshlrev_b32_e32 v18, 16, v19
	v_and_b32_e32 v19, 0xffff, v22
	v_lshlrev_b32_e32 v21, 16, v32
	v_lshlrev_b32_e32 v22, 16, v24
	v_and_b32_e32 v24, 0xffff, v51
	v_or3_b32 v15, 0, 0, v20
	v_or3_b32 v18, v18, v19, 0
	;; [unrolled: 1-line block ×3, first 2 shown]
	v_lshlrev_b32_e32 v21, 16, v26
	v_or_b32_e32 v19, v22, v24
	v_and_b32_e32 v22, 0xffff, v33
	v_lshlrev_b32_e32 v24, 16, v27
	v_and_b32_e32 v25, 0xffff, v34
	v_lshlrev_b32_e32 v26, 16, v36
	v_and_b32_e32 v27, 0xffff, v131
	v_or_b32_e32 v21, v21, v22
	v_and_b32_e32 v32, 0xffff, v49
	v_or3_b32 v22, v24, v25, 0
	v_lshlrev_b32_e32 v24, 16, v48
	v_and_b32_e32 v25, 0xffff, v37
	v_or_b32_e32 v26, v26, v27
	v_lshlrev_b32_e32 v27, 16, v50
	v_and_b32_e32 v23, 0xffff, v23
	v_lshlrev_b32_e32 v10, 16, v10
	v_and_b32_e32 v13, 0xffff, v13
	v_lshlrev_b32_e32 v33, 16, v39
	v_and_b32_e32 v34, 0xffff, v38
	v_or3_b32 v25, v24, v25, 0
	v_or3_b32 v24, 0, 0, v26
	v_or_b32_e32 v26, v27, v32
	v_lshlrev_b32_e32 v12, 16, v12
	v_and_b32_e32 v9, 0xffff, v9
	v_or_b32_e32 v8, v8, v23
	v_lshlrev_b32_e32 v11, 16, v11
	v_and_b32_e32 v14, 0xffff, v14
	v_or_b32_e32 v10, v10, v13
	v_add_co_u32 v116, vcc_lo, v116, v180
	v_or3_b32 v27, v33, v34, 0
	v_or3_b32 v26, 0, 0, v26
	v_sub_nc_u32_e32 v113, v113, v145
	v_or3_b32 v19, 0, 0, v19
	v_or3_b32 v21, 0, 0, v21
	v_add_co_ci_u32_e32 v117, vcc_lo, v117, v181, vcc_lo
	v_or3_b32 v17, 0, 0, v17
	v_add_co_u32 v118, vcc_lo, v118, v180
	v_or3_b32 v9, v12, v9, 0
	v_or3_b32 v8, 0, 0, v8
	;; [unrolled: 1-line block ×4, first 2 shown]
	v_add_co_ci_u32_e32 v119, vcc_lo, v119, v181, vcc_lo
	s_clause 0x3
	global_store_b128 v[128:129], v[24:27], off glc slc dlc
	global_store_b128 v[128:129], v[19:22], off offset:512 glc slc dlc
	global_store_b128 v[128:129], v[15:18], off offset:1024 glc slc dlc
	;; [unrolled: 1-line block ×3, first 2 shown]
	v_cmp_gt_i32_e32 vcc_lo, 1, v113
	v_add_co_u32 v128, s13, v128, v180
	s_delay_alu instid0(VALU_DEP_1) | instskip(SKIP_1) | instid1(SALU_CYCLE_1)
	v_add_co_ci_u32_e64 v129, s13, v129, v181, s13
	s_or_b32 s31, vcc_lo, s31
	s_and_not1_b32 exec_lo, exec_lo, s31
	s_cbranch_execz .LBB6_2444
.LBB6_2062:                             ;   Parent Loop BB6_51 Depth=1
                                        ;     Parent Loop BB6_1249 Depth=2
                                        ; =>    This Inner Loop Header: Depth=3
	global_load_b128 v[48:51], v[116:117], off slc dlc
	global_load_b128 v[36:39], v[118:119], off slc dlc
	s_clause 0x2
	global_load_b128 v[32:35], v[116:117], off offset:512 slc dlc
	global_load_b128 v[20:23], v[116:117], off offset:1024 slc dlc
	;; [unrolled: 1-line block ×3, first 2 shown]
	s_clause 0x2
	global_load_b128 v[24:27], v[118:119], off offset:512 slc dlc
	global_load_b128 v[16:19], v[118:119], off offset:1024 slc dlc
	;; [unrolled: 1-line block ×3, first 2 shown]
	s_mov_b32 s15, -1
	s_and_b32 vcc_lo, exec_lo, s34
	s_waitcnt vmcnt(7)
	v_and_b32_e32 v131, 0x7fff, v48
	s_waitcnt vmcnt(6)
	v_and_b32_e32 v40, 0x7fff, v36
	v_perm_b32 v41, v36, v48, 0x5040100
	s_delay_alu instid0(VALU_DEP_3) | instskip(NEXT) | instid1(VALU_DEP_3)
	v_cmp_lt_u16_e64 s13, 0x7c00, v131
	v_cmp_gt_u16_e64 s14, 0x7c01, v40
                                        ; implicit-def: $vgpr131
	s_delay_alu instid0(VALU_DEP_1) | instskip(NEXT) | instid1(SALU_CYCLE_1)
	s_and_b32 s35, s13, s14
	s_xor_b32 s35, s35, -1
	s_cbranch_vccz .LBB6_2068
; %bb.2063:                             ;   in Loop: Header=BB6_2062 Depth=3
	v_mov_b32_e32 v131, v36
	s_and_saveexec_b32 s36, s35
	s_cbranch_execz .LBB6_2067
; %bb.2064:                             ;   in Loop: Header=BB6_2062 Depth=3
	v_mov_b32_e32 v131, v48
	s_or_b32 s15, s13, s14
	s_delay_alu instid0(SALU_CYCLE_1)
	s_and_saveexec_b32 s37, s15
; %bb.2065:                             ;   in Loop: Header=BB6_2062 Depth=3
	v_lshrrev_b32_e32 v131, 16, v41
	v_cmp_lt_u16_e32 vcc_lo, 0x7c00, v40
	s_delay_alu instid0(VALU_DEP_2) | instskip(NEXT) | instid1(VALU_DEP_1)
	v_cmp_gt_f16_e64 s15, v41, v131
	v_cndmask_b32_e64 v131, v131, v41, s15
	s_and_b32 s15, s13, vcc_lo
	s_delay_alu instid0(VALU_DEP_1) | instid1(SALU_CYCLE_1)
	v_cndmask_b32_e64 v131, v131, 0x7fff, s15
; %bb.2066:                             ;   in Loop: Header=BB6_2062 Depth=3
	s_or_b32 exec_lo, exec_lo, s37
.LBB6_2067:                             ;   in Loop: Header=BB6_2062 Depth=3
	s_delay_alu instid0(SALU_CYCLE_1)
	s_or_b32 exec_lo, exec_lo, s36
	s_mov_b32 s15, 0
.LBB6_2068:                             ;   in Loop: Header=BB6_2062 Depth=3
	s_delay_alu instid0(SALU_CYCLE_1)
	s_and_not1_b32 vcc_lo, exec_lo, s15
	s_cbranch_vccnz .LBB6_2074
; %bb.2069:                             ;   in Loop: Header=BB6_2062 Depth=3
	v_mov_b32_e32 v131, v36
	s_and_saveexec_b32 s15, s35
	s_cbranch_execz .LBB6_2073
; %bb.2070:                             ;   in Loop: Header=BB6_2062 Depth=3
	v_mov_b32_e32 v131, v48
	s_or_b32 s14, s13, s14
	s_delay_alu instid0(SALU_CYCLE_1)
	s_and_saveexec_b32 s35, s14
; %bb.2071:                             ;   in Loop: Header=BB6_2062 Depth=3
	v_lshrrev_b32_e32 v131, 16, v41
	v_cmp_lt_u16_e32 vcc_lo, 0x7c00, v40
	s_delay_alu instid0(VALU_DEP_2) | instskip(SKIP_1) | instid1(VALU_DEP_1)
	v_cmp_gt_f16_e64 s14, v41, v131
	s_and_b32 s13, s13, vcc_lo
	v_cndmask_b32_e64 v131, v41, v131, s14
	s_delay_alu instid0(VALU_DEP_1)
	v_cndmask_b32_e64 v131, v131, 0x7fff, s13
; %bb.2072:                             ;   in Loop: Header=BB6_2062 Depth=3
	s_or_b32 exec_lo, exec_lo, s35
.LBB6_2073:                             ;   in Loop: Header=BB6_2062 Depth=3
	s_delay_alu instid0(SALU_CYCLE_1)
	s_or_b32 exec_lo, exec_lo, s15
.LBB6_2074:                             ;   in Loop: Header=BB6_2062 Depth=3
	v_mov_b32_e32 v43, v48
	v_mov_b32_e32 v44, v36
	;; [unrolled: 1-line block ×4, first 2 shown]
	s_mov_b32 s15, -1
	v_lshrrev_b32_e32 v40, 16, v43
	v_lshrrev_b32_e32 v42, 16, v44
	s_and_b32 vcc_lo, exec_lo, s34
	s_delay_alu instid0(VALU_DEP_2) | instskip(NEXT) | instid1(VALU_DEP_2)
	v_and_b32_e32 v36, 0x7fff, v40
	v_and_b32_e32 v41, 0x7fff, v42
	v_perm_b32 v37, v44, v43, 0x7060302
	s_delay_alu instid0(VALU_DEP_3) | instskip(NEXT) | instid1(VALU_DEP_3)
	v_cmp_lt_u16_e64 s13, 0x7c00, v36
	v_cmp_gt_u16_e64 s14, 0x7c01, v41
                                        ; implicit-def: $vgpr36
	s_delay_alu instid0(VALU_DEP_1) | instskip(NEXT) | instid1(SALU_CYCLE_1)
	s_and_b32 s35, s13, s14
	s_xor_b32 s35, s35, -1
	s_cbranch_vccz .LBB6_2080
; %bb.2075:                             ;   in Loop: Header=BB6_2062 Depth=3
	v_mov_b32_e32 v36, v42
	s_and_saveexec_b32 s36, s35
	s_cbranch_execz .LBB6_2079
; %bb.2076:                             ;   in Loop: Header=BB6_2062 Depth=3
	v_mov_b32_e32 v36, v40
	s_or_b32 s15, s13, s14
	s_delay_alu instid0(SALU_CYCLE_1)
	s_and_saveexec_b32 s37, s15
; %bb.2077:                             ;   in Loop: Header=BB6_2062 Depth=3
	v_lshrrev_b32_e32 v36, 16, v37
	v_cmp_lt_u16_e32 vcc_lo, 0x7c00, v41
	s_delay_alu instid0(VALU_DEP_2) | instskip(NEXT) | instid1(VALU_DEP_1)
	v_cmp_gt_f16_e64 s15, v37, v36
	v_cndmask_b32_e64 v36, v36, v37, s15
	s_and_b32 s15, s13, vcc_lo
	s_delay_alu instid0(VALU_DEP_1) | instid1(SALU_CYCLE_1)
	v_cndmask_b32_e64 v36, v36, 0x7fff, s15
; %bb.2078:                             ;   in Loop: Header=BB6_2062 Depth=3
	s_or_b32 exec_lo, exec_lo, s37
.LBB6_2079:                             ;   in Loop: Header=BB6_2062 Depth=3
	s_delay_alu instid0(SALU_CYCLE_1)
	s_or_b32 exec_lo, exec_lo, s36
	s_mov_b32 s15, 0
.LBB6_2080:                             ;   in Loop: Header=BB6_2062 Depth=3
	s_delay_alu instid0(SALU_CYCLE_1)
	s_and_not1_b32 vcc_lo, exec_lo, s15
	s_cbranch_vccnz .LBB6_2086
; %bb.2081:                             ;   in Loop: Header=BB6_2062 Depth=3
	s_and_saveexec_b32 s15, s35
	s_cbranch_execz .LBB6_2085
; %bb.2082:                             ;   in Loop: Header=BB6_2062 Depth=3
	s_or_b32 s14, s13, s14
	s_delay_alu instid0(SALU_CYCLE_1)
	s_and_saveexec_b32 s35, s14
; %bb.2083:                             ;   in Loop: Header=BB6_2062 Depth=3
	v_lshrrev_b32_e32 v36, 16, v37
	v_cmp_lt_u16_e32 vcc_lo, 0x7c00, v41
	s_delay_alu instid0(VALU_DEP_2) | instskip(SKIP_1) | instid1(VALU_DEP_1)
	v_cmp_gt_f16_e64 s14, v37, v36
	s_and_b32 s13, s13, vcc_lo
	v_cndmask_b32_e64 v36, v37, v36, s14
	s_delay_alu instid0(VALU_DEP_1)
	v_cndmask_b32_e64 v40, v36, 0x7fff, s13
; %bb.2084:                             ;   in Loop: Header=BB6_2062 Depth=3
	s_or_b32 exec_lo, exec_lo, s35
	s_delay_alu instid0(VALU_DEP_1)
	v_mov_b32_e32 v42, v40
.LBB6_2085:                             ;   in Loop: Header=BB6_2062 Depth=3
	s_or_b32 exec_lo, exec_lo, s15
	s_delay_alu instid0(VALU_DEP_1)
	v_mov_b32_e32 v36, v42
.LBB6_2086:                             ;   in Loop: Header=BB6_2062 Depth=3
	v_and_b32_e32 v37, 0x7fff, v48
	v_and_b32_e32 v40, 0x7fff, v49
	v_perm_b32 v41, v49, v48, 0x5040100
	s_mov_b32 s15, -1
	s_and_b32 vcc_lo, exec_lo, s34
	v_cmp_lt_u16_e64 s13, 0x7c00, v37
	v_cmp_gt_u16_e64 s14, 0x7c01, v40
                                        ; implicit-def: $vgpr37
	s_delay_alu instid0(VALU_DEP_1) | instskip(NEXT) | instid1(SALU_CYCLE_1)
	s_and_b32 s35, s13, s14
	s_xor_b32 s35, s35, -1
	s_cbranch_vccz .LBB6_2092
; %bb.2087:                             ;   in Loop: Header=BB6_2062 Depth=3
	v_mov_b32_e32 v37, v49
	s_and_saveexec_b32 s36, s35
	s_cbranch_execz .LBB6_2091
; %bb.2088:                             ;   in Loop: Header=BB6_2062 Depth=3
	v_mov_b32_e32 v37, v48
	s_or_b32 s15, s13, s14
	s_delay_alu instid0(SALU_CYCLE_1)
	s_and_saveexec_b32 s37, s15
; %bb.2089:                             ;   in Loop: Header=BB6_2062 Depth=3
	v_lshrrev_b32_e32 v37, 16, v41
	v_cmp_lt_u16_e32 vcc_lo, 0x7c00, v40
	s_delay_alu instid0(VALU_DEP_2) | instskip(NEXT) | instid1(VALU_DEP_1)
	v_cmp_gt_f16_e64 s15, v41, v37
	v_cndmask_b32_e64 v37, v37, v41, s15
	s_and_b32 s15, s13, vcc_lo
	s_delay_alu instid0(VALU_DEP_1) | instid1(SALU_CYCLE_1)
	v_cndmask_b32_e64 v37, v37, 0x7fff, s15
; %bb.2090:                             ;   in Loop: Header=BB6_2062 Depth=3
	s_or_b32 exec_lo, exec_lo, s37
.LBB6_2091:                             ;   in Loop: Header=BB6_2062 Depth=3
	s_delay_alu instid0(SALU_CYCLE_1)
	s_or_b32 exec_lo, exec_lo, s36
	s_mov_b32 s15, 0
.LBB6_2092:                             ;   in Loop: Header=BB6_2062 Depth=3
	s_delay_alu instid0(SALU_CYCLE_1)
	s_and_not1_b32 vcc_lo, exec_lo, s15
	s_cbranch_vccnz .LBB6_2098
; %bb.2093:                             ;   in Loop: Header=BB6_2062 Depth=3
	v_mov_b32_e32 v37, v49
	s_and_saveexec_b32 s15, s35
	s_cbranch_execz .LBB6_2097
; %bb.2094:                             ;   in Loop: Header=BB6_2062 Depth=3
	v_mov_b32_e32 v37, v48
	s_or_b32 s14, s13, s14
	s_delay_alu instid0(SALU_CYCLE_1)
	s_and_saveexec_b32 s35, s14
; %bb.2095:                             ;   in Loop: Header=BB6_2062 Depth=3
	v_lshrrev_b32_e32 v37, 16, v41
	v_cmp_lt_u16_e32 vcc_lo, 0x7c00, v40
	s_delay_alu instid0(VALU_DEP_2) | instskip(SKIP_1) | instid1(VALU_DEP_1)
	v_cmp_gt_f16_e64 s14, v41, v37
	s_and_b32 s13, s13, vcc_lo
	v_cndmask_b32_e64 v37, v41, v37, s14
	s_delay_alu instid0(VALU_DEP_1)
	v_cndmask_b32_e64 v37, v37, 0x7fff, s13
; %bb.2096:                             ;   in Loop: Header=BB6_2062 Depth=3
	s_or_b32 exec_lo, exec_lo, s35
.LBB6_2097:                             ;   in Loop: Header=BB6_2062 Depth=3
	s_delay_alu instid0(SALU_CYCLE_1)
	s_or_b32 exec_lo, exec_lo, s15
.LBB6_2098:                             ;   in Loop: Header=BB6_2062 Depth=3
	v_lshrrev_b32_e32 v40, 16, v48
	v_lshrrev_b32_e32 v42, 16, v49
	v_perm_b32 v49, v49, v48, 0x7060302
	s_mov_b32 s15, -1
	s_and_b32 vcc_lo, exec_lo, s34
	v_and_b32_e32 v43, 0x7fff, v40
	v_and_b32_e32 v41, 0x7fff, v42
                                        ; implicit-def: $vgpr48
	s_delay_alu instid0(VALU_DEP_2) | instskip(NEXT) | instid1(VALU_DEP_2)
	v_cmp_lt_u16_e64 s13, 0x7c00, v43
	v_cmp_gt_u16_e64 s14, 0x7c01, v41
	s_delay_alu instid0(VALU_DEP_1) | instskip(NEXT) | instid1(SALU_CYCLE_1)
	s_and_b32 s35, s13, s14
	s_xor_b32 s35, s35, -1
	s_cbranch_vccz .LBB6_2104
; %bb.2099:                             ;   in Loop: Header=BB6_2062 Depth=3
	v_mov_b32_e32 v48, v42
	s_and_saveexec_b32 s36, s35
	s_cbranch_execz .LBB6_2103
; %bb.2100:                             ;   in Loop: Header=BB6_2062 Depth=3
	v_mov_b32_e32 v48, v40
	s_or_b32 s15, s13, s14
	s_delay_alu instid0(SALU_CYCLE_1)
	s_and_saveexec_b32 s37, s15
; %bb.2101:                             ;   in Loop: Header=BB6_2062 Depth=3
	v_lshrrev_b32_e32 v48, 16, v49
	v_cmp_lt_u16_e32 vcc_lo, 0x7c00, v41
	s_delay_alu instid0(VALU_DEP_2) | instskip(NEXT) | instid1(VALU_DEP_1)
	v_cmp_gt_f16_e64 s15, v49, v48
	v_cndmask_b32_e64 v48, v48, v49, s15
	s_and_b32 s15, s13, vcc_lo
	s_delay_alu instid0(VALU_DEP_1) | instid1(SALU_CYCLE_1)
	v_cndmask_b32_e64 v48, v48, 0x7fff, s15
; %bb.2102:                             ;   in Loop: Header=BB6_2062 Depth=3
	s_or_b32 exec_lo, exec_lo, s37
.LBB6_2103:                             ;   in Loop: Header=BB6_2062 Depth=3
	s_delay_alu instid0(SALU_CYCLE_1)
	s_or_b32 exec_lo, exec_lo, s36
	s_mov_b32 s15, 0
.LBB6_2104:                             ;   in Loop: Header=BB6_2062 Depth=3
	s_delay_alu instid0(SALU_CYCLE_1)
	s_and_not1_b32 vcc_lo, exec_lo, s15
	s_cbranch_vccnz .LBB6_2110
; %bb.2105:                             ;   in Loop: Header=BB6_2062 Depth=3
	s_and_saveexec_b32 s15, s35
	s_cbranch_execz .LBB6_2109
; %bb.2106:                             ;   in Loop: Header=BB6_2062 Depth=3
	s_or_b32 s14, s13, s14
	s_delay_alu instid0(SALU_CYCLE_1)
	s_and_saveexec_b32 s35, s14
; %bb.2107:                             ;   in Loop: Header=BB6_2062 Depth=3
	v_lshrrev_b32_e32 v48, 16, v49
	v_cmp_lt_u16_e32 vcc_lo, 0x7c00, v41
	s_delay_alu instid0(VALU_DEP_2) | instskip(SKIP_1) | instid1(VALU_DEP_1)
	v_cmp_gt_f16_e64 s14, v49, v48
	s_and_b32 s13, s13, vcc_lo
	v_cndmask_b32_e64 v48, v49, v48, s14
	s_delay_alu instid0(VALU_DEP_1)
	v_cndmask_b32_e64 v40, v48, 0x7fff, s13
; %bb.2108:                             ;   in Loop: Header=BB6_2062 Depth=3
	s_or_b32 exec_lo, exec_lo, s35
	s_delay_alu instid0(VALU_DEP_1)
	v_mov_b32_e32 v42, v40
.LBB6_2109:                             ;   in Loop: Header=BB6_2062 Depth=3
	s_or_b32 exec_lo, exec_lo, s15
	s_delay_alu instid0(VALU_DEP_1)
	v_mov_b32_e32 v48, v42
.LBB6_2110:                             ;   in Loop: Header=BB6_2062 Depth=3
	v_and_b32_e32 v49, 0x7fff, v50
	v_and_b32_e32 v40, 0x7fff, v38
	v_perm_b32 v41, v38, v50, 0x5040100
	s_mov_b32 s15, -1
	s_and_b32 vcc_lo, exec_lo, s34
	v_cmp_lt_u16_e64 s13, 0x7c00, v49
	v_cmp_gt_u16_e64 s14, 0x7c01, v40
                                        ; implicit-def: $vgpr49
	s_delay_alu instid0(VALU_DEP_1) | instskip(NEXT) | instid1(SALU_CYCLE_1)
	s_and_b32 s35, s13, s14
	s_xor_b32 s35, s35, -1
	s_cbranch_vccz .LBB6_2116
; %bb.2111:                             ;   in Loop: Header=BB6_2062 Depth=3
	v_mov_b32_e32 v49, v38
	s_and_saveexec_b32 s36, s35
	s_cbranch_execz .LBB6_2115
; %bb.2112:                             ;   in Loop: Header=BB6_2062 Depth=3
	v_mov_b32_e32 v49, v50
	s_or_b32 s15, s13, s14
	s_delay_alu instid0(SALU_CYCLE_1)
	s_and_saveexec_b32 s37, s15
; %bb.2113:                             ;   in Loop: Header=BB6_2062 Depth=3
	v_lshrrev_b32_e32 v49, 16, v41
	v_cmp_lt_u16_e32 vcc_lo, 0x7c00, v40
	s_delay_alu instid0(VALU_DEP_2) | instskip(NEXT) | instid1(VALU_DEP_1)
	v_cmp_gt_f16_e64 s15, v41, v49
	v_cndmask_b32_e64 v49, v49, v41, s15
	s_and_b32 s15, s13, vcc_lo
	s_delay_alu instid0(VALU_DEP_1) | instid1(SALU_CYCLE_1)
	v_cndmask_b32_e64 v49, v49, 0x7fff, s15
; %bb.2114:                             ;   in Loop: Header=BB6_2062 Depth=3
	s_or_b32 exec_lo, exec_lo, s37
.LBB6_2115:                             ;   in Loop: Header=BB6_2062 Depth=3
	s_delay_alu instid0(SALU_CYCLE_1)
	s_or_b32 exec_lo, exec_lo, s36
	s_mov_b32 s15, 0
.LBB6_2116:                             ;   in Loop: Header=BB6_2062 Depth=3
	s_delay_alu instid0(SALU_CYCLE_1)
	s_and_not1_b32 vcc_lo, exec_lo, s15
	s_cbranch_vccnz .LBB6_2122
; %bb.2117:                             ;   in Loop: Header=BB6_2062 Depth=3
	v_mov_b32_e32 v49, v38
	s_and_saveexec_b32 s15, s35
	s_cbranch_execz .LBB6_2121
; %bb.2118:                             ;   in Loop: Header=BB6_2062 Depth=3
	v_mov_b32_e32 v49, v50
	s_or_b32 s14, s13, s14
	s_delay_alu instid0(SALU_CYCLE_1)
	s_and_saveexec_b32 s35, s14
; %bb.2119:                             ;   in Loop: Header=BB6_2062 Depth=3
	v_lshrrev_b32_e32 v49, 16, v41
	v_cmp_lt_u16_e32 vcc_lo, 0x7c00, v40
	s_delay_alu instid0(VALU_DEP_2) | instskip(SKIP_1) | instid1(VALU_DEP_1)
	v_cmp_gt_f16_e64 s14, v41, v49
	s_and_b32 s13, s13, vcc_lo
	v_cndmask_b32_e64 v49, v41, v49, s14
	s_delay_alu instid0(VALU_DEP_1)
	v_cndmask_b32_e64 v49, v49, 0x7fff, s13
; %bb.2120:                             ;   in Loop: Header=BB6_2062 Depth=3
	s_or_b32 exec_lo, exec_lo, s35
.LBB6_2121:                             ;   in Loop: Header=BB6_2062 Depth=3
	s_delay_alu instid0(SALU_CYCLE_1)
	s_or_b32 exec_lo, exec_lo, s15
.LBB6_2122:                             ;   in Loop: Header=BB6_2062 Depth=3
	v_mov_b32_e32 v43, v50
	v_lshrrev_b32_e32 v42, 16, v38
	s_mov_b32 s15, -1
	s_and_b32 vcc_lo, exec_lo, s34
	s_delay_alu instid0(VALU_DEP_2) | instskip(NEXT) | instid1(VALU_DEP_2)
	v_lshrrev_b32_e32 v40, 16, v43
	v_and_b32_e32 v41, 0x7fff, v42
	s_delay_alu instid0(VALU_DEP_2) | instskip(NEXT) | instid1(VALU_DEP_2)
	v_and_b32_e32 v50, 0x7fff, v40
	v_cmp_gt_u16_e64 s14, 0x7c01, v41
	v_perm_b32 v38, v38, v43, 0x7060302
	s_delay_alu instid0(VALU_DEP_3) | instskip(NEXT) | instid1(VALU_DEP_1)
	v_cmp_lt_u16_e64 s13, 0x7c00, v50
                                        ; implicit-def: $vgpr50
	s_and_b32 s35, s13, s14
	s_delay_alu instid0(SALU_CYCLE_1)
	s_xor_b32 s35, s35, -1
	s_cbranch_vccz .LBB6_2128
; %bb.2123:                             ;   in Loop: Header=BB6_2062 Depth=3
	v_mov_b32_e32 v50, v42
	s_and_saveexec_b32 s36, s35
	s_cbranch_execz .LBB6_2127
; %bb.2124:                             ;   in Loop: Header=BB6_2062 Depth=3
	v_mov_b32_e32 v50, v40
	s_or_b32 s15, s13, s14
	s_delay_alu instid0(SALU_CYCLE_1)
	s_and_saveexec_b32 s37, s15
; %bb.2125:                             ;   in Loop: Header=BB6_2062 Depth=3
	v_lshrrev_b32_e32 v50, 16, v38
	v_cmp_lt_u16_e32 vcc_lo, 0x7c00, v41
	s_delay_alu instid0(VALU_DEP_2) | instskip(NEXT) | instid1(VALU_DEP_1)
	v_cmp_gt_f16_e64 s15, v38, v50
	v_cndmask_b32_e64 v50, v50, v38, s15
	s_and_b32 s15, s13, vcc_lo
	s_delay_alu instid0(VALU_DEP_1) | instid1(SALU_CYCLE_1)
	v_cndmask_b32_e64 v50, v50, 0x7fff, s15
; %bb.2126:                             ;   in Loop: Header=BB6_2062 Depth=3
	s_or_b32 exec_lo, exec_lo, s37
.LBB6_2127:                             ;   in Loop: Header=BB6_2062 Depth=3
	s_delay_alu instid0(SALU_CYCLE_1)
	s_or_b32 exec_lo, exec_lo, s36
	s_mov_b32 s15, 0
.LBB6_2128:                             ;   in Loop: Header=BB6_2062 Depth=3
	s_delay_alu instid0(SALU_CYCLE_1)
	s_and_not1_b32 vcc_lo, exec_lo, s15
	s_cbranch_vccnz .LBB6_2134
; %bb.2129:                             ;   in Loop: Header=BB6_2062 Depth=3
	s_and_saveexec_b32 s15, s35
	s_cbranch_execz .LBB6_2133
; %bb.2130:                             ;   in Loop: Header=BB6_2062 Depth=3
	s_or_b32 s14, s13, s14
	s_delay_alu instid0(SALU_CYCLE_1)
	s_and_saveexec_b32 s35, s14
; %bb.2131:                             ;   in Loop: Header=BB6_2062 Depth=3
	v_lshrrev_b32_e32 v50, 16, v38
	v_cmp_lt_u16_e32 vcc_lo, 0x7c00, v41
	s_delay_alu instid0(VALU_DEP_2) | instskip(SKIP_1) | instid1(VALU_DEP_1)
	v_cmp_gt_f16_e64 s14, v38, v50
	s_and_b32 s13, s13, vcc_lo
	v_cndmask_b32_e64 v38, v38, v50, s14
	s_delay_alu instid0(VALU_DEP_1)
	v_cndmask_b32_e64 v40, v38, 0x7fff, s13
; %bb.2132:                             ;   in Loop: Header=BB6_2062 Depth=3
	s_or_b32 exec_lo, exec_lo, s35
	s_delay_alu instid0(VALU_DEP_1)
	v_mov_b32_e32 v42, v40
.LBB6_2133:                             ;   in Loop: Header=BB6_2062 Depth=3
	s_or_b32 exec_lo, exec_lo, s15
	s_delay_alu instid0(VALU_DEP_1)
	v_mov_b32_e32 v50, v42
.LBB6_2134:                             ;   in Loop: Header=BB6_2062 Depth=3
	v_and_b32_e32 v38, 0x7fff, v51
	v_and_b32_e32 v40, 0x7fff, v39
	v_perm_b32 v41, v39, v51, 0x5040100
	s_mov_b32 s15, -1
	s_and_b32 vcc_lo, exec_lo, s34
	v_cmp_lt_u16_e64 s13, 0x7c00, v38
	v_cmp_gt_u16_e64 s14, 0x7c01, v40
                                        ; implicit-def: $vgpr38
	s_delay_alu instid0(VALU_DEP_1) | instskip(NEXT) | instid1(SALU_CYCLE_1)
	s_and_b32 s35, s13, s14
	s_xor_b32 s35, s35, -1
	s_cbranch_vccz .LBB6_2140
; %bb.2135:                             ;   in Loop: Header=BB6_2062 Depth=3
	v_mov_b32_e32 v38, v39
	s_and_saveexec_b32 s36, s35
	s_cbranch_execz .LBB6_2139
; %bb.2136:                             ;   in Loop: Header=BB6_2062 Depth=3
	v_mov_b32_e32 v38, v51
	s_or_b32 s15, s13, s14
	s_delay_alu instid0(SALU_CYCLE_1)
	s_and_saveexec_b32 s37, s15
; %bb.2137:                             ;   in Loop: Header=BB6_2062 Depth=3
	v_lshrrev_b32_e32 v38, 16, v41
	v_cmp_lt_u16_e32 vcc_lo, 0x7c00, v40
	s_delay_alu instid0(VALU_DEP_2) | instskip(NEXT) | instid1(VALU_DEP_1)
	v_cmp_gt_f16_e64 s15, v41, v38
	v_cndmask_b32_e64 v38, v38, v41, s15
	s_and_b32 s15, s13, vcc_lo
	s_delay_alu instid0(VALU_DEP_1) | instid1(SALU_CYCLE_1)
	v_cndmask_b32_e64 v38, v38, 0x7fff, s15
; %bb.2138:                             ;   in Loop: Header=BB6_2062 Depth=3
	s_or_b32 exec_lo, exec_lo, s37
.LBB6_2139:                             ;   in Loop: Header=BB6_2062 Depth=3
	s_delay_alu instid0(SALU_CYCLE_1)
	s_or_b32 exec_lo, exec_lo, s36
	s_mov_b32 s15, 0
.LBB6_2140:                             ;   in Loop: Header=BB6_2062 Depth=3
	s_delay_alu instid0(SALU_CYCLE_1)
	s_and_not1_b32 vcc_lo, exec_lo, s15
	s_cbranch_vccnz .LBB6_2146
; %bb.2141:                             ;   in Loop: Header=BB6_2062 Depth=3
	v_mov_b32_e32 v38, v39
	s_and_saveexec_b32 s15, s35
	s_cbranch_execz .LBB6_2145
; %bb.2142:                             ;   in Loop: Header=BB6_2062 Depth=3
	v_mov_b32_e32 v38, v51
	s_or_b32 s14, s13, s14
	s_delay_alu instid0(SALU_CYCLE_1)
	s_and_saveexec_b32 s35, s14
; %bb.2143:                             ;   in Loop: Header=BB6_2062 Depth=3
	v_lshrrev_b32_e32 v38, 16, v41
	v_cmp_lt_u16_e32 vcc_lo, 0x7c00, v40
	s_delay_alu instid0(VALU_DEP_2) | instskip(SKIP_1) | instid1(VALU_DEP_1)
	v_cmp_gt_f16_e64 s14, v41, v38
	s_and_b32 s13, s13, vcc_lo
	v_cndmask_b32_e64 v38, v41, v38, s14
	s_delay_alu instid0(VALU_DEP_1)
	v_cndmask_b32_e64 v38, v38, 0x7fff, s13
; %bb.2144:                             ;   in Loop: Header=BB6_2062 Depth=3
	s_or_b32 exec_lo, exec_lo, s35
.LBB6_2145:                             ;   in Loop: Header=BB6_2062 Depth=3
	s_delay_alu instid0(SALU_CYCLE_1)
	s_or_b32 exec_lo, exec_lo, s15
.LBB6_2146:                             ;   in Loop: Header=BB6_2062 Depth=3
	v_lshrrev_b32_e32 v40, 16, v51
	v_lshrrev_b32_e32 v42, 16, v39
	v_perm_b32 v51, v39, v51, 0x7060302
	s_mov_b32 s15, -1
	s_and_b32 vcc_lo, exec_lo, s34
	v_and_b32_e32 v43, 0x7fff, v40
	v_and_b32_e32 v41, 0x7fff, v42
                                        ; implicit-def: $vgpr39
	s_delay_alu instid0(VALU_DEP_2) | instskip(NEXT) | instid1(VALU_DEP_2)
	v_cmp_lt_u16_e64 s13, 0x7c00, v43
	v_cmp_gt_u16_e64 s14, 0x7c01, v41
	s_delay_alu instid0(VALU_DEP_1) | instskip(NEXT) | instid1(SALU_CYCLE_1)
	s_and_b32 s35, s13, s14
	s_xor_b32 s35, s35, -1
	s_cbranch_vccz .LBB6_2152
; %bb.2147:                             ;   in Loop: Header=BB6_2062 Depth=3
	v_mov_b32_e32 v39, v42
	s_and_saveexec_b32 s36, s35
	s_cbranch_execz .LBB6_2151
; %bb.2148:                             ;   in Loop: Header=BB6_2062 Depth=3
	v_mov_b32_e32 v39, v40
	s_or_b32 s15, s13, s14
	s_delay_alu instid0(SALU_CYCLE_1)
	s_and_saveexec_b32 s37, s15
; %bb.2149:                             ;   in Loop: Header=BB6_2062 Depth=3
	v_lshrrev_b32_e32 v39, 16, v51
	v_cmp_lt_u16_e32 vcc_lo, 0x7c00, v41
	s_delay_alu instid0(VALU_DEP_2) | instskip(NEXT) | instid1(VALU_DEP_1)
	v_cmp_gt_f16_e64 s15, v51, v39
	v_cndmask_b32_e64 v39, v39, v51, s15
	s_and_b32 s15, s13, vcc_lo
	s_delay_alu instid0(VALU_DEP_1) | instid1(SALU_CYCLE_1)
	v_cndmask_b32_e64 v39, v39, 0x7fff, s15
; %bb.2150:                             ;   in Loop: Header=BB6_2062 Depth=3
	s_or_b32 exec_lo, exec_lo, s37
.LBB6_2151:                             ;   in Loop: Header=BB6_2062 Depth=3
	s_delay_alu instid0(SALU_CYCLE_1)
	s_or_b32 exec_lo, exec_lo, s36
	s_mov_b32 s15, 0
.LBB6_2152:                             ;   in Loop: Header=BB6_2062 Depth=3
	s_delay_alu instid0(SALU_CYCLE_1)
	s_and_not1_b32 vcc_lo, exec_lo, s15
	s_cbranch_vccnz .LBB6_2158
; %bb.2153:                             ;   in Loop: Header=BB6_2062 Depth=3
	s_and_saveexec_b32 s15, s35
	s_cbranch_execz .LBB6_2157
; %bb.2154:                             ;   in Loop: Header=BB6_2062 Depth=3
	s_or_b32 s14, s13, s14
	s_delay_alu instid0(SALU_CYCLE_1)
	s_and_saveexec_b32 s35, s14
; %bb.2155:                             ;   in Loop: Header=BB6_2062 Depth=3
	v_lshrrev_b32_e32 v39, 16, v51
	v_cmp_lt_u16_e32 vcc_lo, 0x7c00, v41
	s_delay_alu instid0(VALU_DEP_2) | instskip(SKIP_1) | instid1(VALU_DEP_1)
	v_cmp_gt_f16_e64 s14, v51, v39
	s_and_b32 s13, s13, vcc_lo
	v_cndmask_b32_e64 v39, v51, v39, s14
	s_delay_alu instid0(VALU_DEP_1)
	v_cndmask_b32_e64 v40, v39, 0x7fff, s13
; %bb.2156:                             ;   in Loop: Header=BB6_2062 Depth=3
	s_or_b32 exec_lo, exec_lo, s35
	s_delay_alu instid0(VALU_DEP_1)
	v_mov_b32_e32 v42, v40
.LBB6_2157:                             ;   in Loop: Header=BB6_2062 Depth=3
	s_or_b32 exec_lo, exec_lo, s15
	s_delay_alu instid0(VALU_DEP_1)
	v_mov_b32_e32 v39, v42
.LBB6_2158:                             ;   in Loop: Header=BB6_2062 Depth=3
	s_waitcnt vmcnt(5)
	v_and_b32_e32 v51, 0x7fff, v32
	s_waitcnt vmcnt(2)
	v_and_b32_e32 v40, 0x7fff, v24
	v_perm_b32 v41, v24, v32, 0x5040100
	s_mov_b32 s15, -1
	s_and_not1_b32 vcc_lo, exec_lo, s34
	v_cmp_lt_u16_e64 s13, 0x7c00, v51
	v_cmp_gt_u16_e64 s14, 0x7c01, v40
                                        ; implicit-def: $vgpr51
	s_delay_alu instid0(VALU_DEP_1) | instskip(NEXT) | instid1(SALU_CYCLE_1)
	s_and_b32 s35, s13, s14
	s_xor_b32 s35, s35, -1
	s_cbranch_vccnz .LBB6_2164
; %bb.2159:                             ;   in Loop: Header=BB6_2062 Depth=3
	v_mov_b32_e32 v51, v24
	s_and_saveexec_b32 s36, s35
	s_cbranch_execz .LBB6_2163
; %bb.2160:                             ;   in Loop: Header=BB6_2062 Depth=3
	v_mov_b32_e32 v51, v32
	s_or_b32 s15, s13, s14
	s_delay_alu instid0(SALU_CYCLE_1)
	s_and_saveexec_b32 s37, s15
; %bb.2161:                             ;   in Loop: Header=BB6_2062 Depth=3
	v_lshrrev_b32_e32 v51, 16, v41
	v_cmp_lt_u16_e32 vcc_lo, 0x7c00, v40
	s_delay_alu instid0(VALU_DEP_2) | instskip(NEXT) | instid1(VALU_DEP_1)
	v_cmp_gt_f16_e64 s15, v41, v51
	v_cndmask_b32_e64 v51, v51, v41, s15
	s_and_b32 s15, s13, vcc_lo
	s_delay_alu instid0(VALU_DEP_1) | instid1(SALU_CYCLE_1)
	v_cndmask_b32_e64 v51, v51, 0x7fff, s15
; %bb.2162:                             ;   in Loop: Header=BB6_2062 Depth=3
	s_or_b32 exec_lo, exec_lo, s37
.LBB6_2163:                             ;   in Loop: Header=BB6_2062 Depth=3
	s_delay_alu instid0(SALU_CYCLE_1)
	s_or_b32 exec_lo, exec_lo, s36
	s_mov_b32 s15, 0
.LBB6_2164:                             ;   in Loop: Header=BB6_2062 Depth=3
	s_delay_alu instid0(SALU_CYCLE_1)
	s_and_not1_b32 vcc_lo, exec_lo, s15
	s_cbranch_vccnz .LBB6_2170
; %bb.2165:                             ;   in Loop: Header=BB6_2062 Depth=3
	v_mov_b32_e32 v51, v24
	s_and_saveexec_b32 s15, s35
	s_cbranch_execz .LBB6_2169
; %bb.2166:                             ;   in Loop: Header=BB6_2062 Depth=3
	v_mov_b32_e32 v51, v32
	s_or_b32 s14, s13, s14
	s_delay_alu instid0(SALU_CYCLE_1)
	s_and_saveexec_b32 s35, s14
; %bb.2167:                             ;   in Loop: Header=BB6_2062 Depth=3
	v_lshrrev_b32_e32 v51, 16, v41
	v_cmp_lt_u16_e32 vcc_lo, 0x7c00, v40
	s_delay_alu instid0(VALU_DEP_2) | instskip(SKIP_1) | instid1(VALU_DEP_1)
	v_cmp_gt_f16_e64 s14, v41, v51
	s_and_b32 s13, s13, vcc_lo
	v_cndmask_b32_e64 v51, v41, v51, s14
	s_delay_alu instid0(VALU_DEP_1)
	v_cndmask_b32_e64 v51, v51, 0x7fff, s13
; %bb.2168:                             ;   in Loop: Header=BB6_2062 Depth=3
	s_or_b32 exec_lo, exec_lo, s35
.LBB6_2169:                             ;   in Loop: Header=BB6_2062 Depth=3
	s_delay_alu instid0(SALU_CYCLE_1)
	s_or_b32 exec_lo, exec_lo, s15
.LBB6_2170:                             ;   in Loop: Header=BB6_2062 Depth=3
	v_mov_b32_e32 v43, v32
	v_lshrrev_b32_e32 v42, 16, v24
	s_mov_b32 s15, -1
	s_and_not1_b32 vcc_lo, exec_lo, s34
	s_delay_alu instid0(VALU_DEP_2) | instskip(NEXT) | instid1(VALU_DEP_2)
	v_lshrrev_b32_e32 v40, 16, v43
	v_and_b32_e32 v41, 0x7fff, v42
	s_delay_alu instid0(VALU_DEP_2) | instskip(NEXT) | instid1(VALU_DEP_1)
	v_and_b32_e32 v32, 0x7fff, v40
	v_cmp_lt_u16_e64 s13, 0x7c00, v32
	v_mov_b32_e32 v32, v33
	s_delay_alu instid0(VALU_DEP_4) | instskip(SKIP_2) | instid1(VALU_DEP_3)
	v_cmp_gt_u16_e64 s14, 0x7c01, v41
	v_mov_b32_e32 v33, v25
	v_perm_b32 v25, v24, v43, 0x7060302
                                        ; implicit-def: $vgpr24
	s_and_b32 s35, s13, s14
	s_delay_alu instid0(SALU_CYCLE_1)
	s_xor_b32 s35, s35, -1
	s_cbranch_vccnz .LBB6_2176
; %bb.2171:                             ;   in Loop: Header=BB6_2062 Depth=3
	v_mov_b32_e32 v24, v42
	s_and_saveexec_b32 s36, s35
	s_cbranch_execz .LBB6_2175
; %bb.2172:                             ;   in Loop: Header=BB6_2062 Depth=3
	v_mov_b32_e32 v24, v40
	s_or_b32 s15, s13, s14
	s_delay_alu instid0(SALU_CYCLE_1)
	s_and_saveexec_b32 s37, s15
; %bb.2173:                             ;   in Loop: Header=BB6_2062 Depth=3
	v_lshrrev_b32_e32 v24, 16, v25
	v_cmp_lt_u16_e32 vcc_lo, 0x7c00, v41
	s_delay_alu instid0(VALU_DEP_2) | instskip(NEXT) | instid1(VALU_DEP_1)
	v_cmp_gt_f16_e64 s15, v25, v24
	v_cndmask_b32_e64 v24, v24, v25, s15
	s_and_b32 s15, s13, vcc_lo
	s_delay_alu instid0(VALU_DEP_1) | instid1(SALU_CYCLE_1)
	v_cndmask_b32_e64 v24, v24, 0x7fff, s15
; %bb.2174:                             ;   in Loop: Header=BB6_2062 Depth=3
	s_or_b32 exec_lo, exec_lo, s37
.LBB6_2175:                             ;   in Loop: Header=BB6_2062 Depth=3
	s_delay_alu instid0(SALU_CYCLE_1)
	s_or_b32 exec_lo, exec_lo, s36
	s_mov_b32 s15, 0
.LBB6_2176:                             ;   in Loop: Header=BB6_2062 Depth=3
	s_delay_alu instid0(SALU_CYCLE_1)
	s_and_not1_b32 vcc_lo, exec_lo, s15
	s_cbranch_vccnz .LBB6_2182
; %bb.2177:                             ;   in Loop: Header=BB6_2062 Depth=3
	s_and_saveexec_b32 s15, s35
	s_cbranch_execz .LBB6_2181
; %bb.2178:                             ;   in Loop: Header=BB6_2062 Depth=3
	s_or_b32 s14, s13, s14
	s_delay_alu instid0(SALU_CYCLE_1)
	s_and_saveexec_b32 s35, s14
; %bb.2179:                             ;   in Loop: Header=BB6_2062 Depth=3
	v_lshrrev_b32_e32 v24, 16, v25
	v_cmp_lt_u16_e32 vcc_lo, 0x7c00, v41
	s_delay_alu instid0(VALU_DEP_2) | instskip(SKIP_1) | instid1(VALU_DEP_1)
	v_cmp_gt_f16_e64 s14, v25, v24
	s_and_b32 s13, s13, vcc_lo
	v_cndmask_b32_e64 v24, v25, v24, s14
	s_delay_alu instid0(VALU_DEP_1)
	v_cndmask_b32_e64 v40, v24, 0x7fff, s13
; %bb.2180:                             ;   in Loop: Header=BB6_2062 Depth=3
	s_or_b32 exec_lo, exec_lo, s35
	s_delay_alu instid0(VALU_DEP_1)
	v_mov_b32_e32 v42, v40
.LBB6_2181:                             ;   in Loop: Header=BB6_2062 Depth=3
	s_or_b32 exec_lo, exec_lo, s15
	s_delay_alu instid0(VALU_DEP_1)
	v_mov_b32_e32 v24, v42
.LBB6_2182:                             ;   in Loop: Header=BB6_2062 Depth=3
	v_and_b32_e32 v25, 0x7fff, v32
	v_and_b32_e32 v40, 0x7fff, v33
	v_perm_b32 v41, v33, v32, 0x5040100
	s_mov_b32 s15, -1
	s_and_not1_b32 vcc_lo, exec_lo, s34
	v_cmp_lt_u16_e64 s13, 0x7c00, v25
	v_cmp_gt_u16_e64 s14, 0x7c01, v40
                                        ; implicit-def: $vgpr25
	s_delay_alu instid0(VALU_DEP_1) | instskip(NEXT) | instid1(SALU_CYCLE_1)
	s_and_b32 s35, s13, s14
	s_xor_b32 s35, s35, -1
	s_cbranch_vccnz .LBB6_2188
; %bb.2183:                             ;   in Loop: Header=BB6_2062 Depth=3
	v_mov_b32_e32 v25, v33
	s_and_saveexec_b32 s36, s35
	s_cbranch_execz .LBB6_2187
; %bb.2184:                             ;   in Loop: Header=BB6_2062 Depth=3
	v_mov_b32_e32 v25, v32
	s_or_b32 s15, s13, s14
	s_delay_alu instid0(SALU_CYCLE_1)
	s_and_saveexec_b32 s37, s15
; %bb.2185:                             ;   in Loop: Header=BB6_2062 Depth=3
	v_lshrrev_b32_e32 v25, 16, v41
	v_cmp_lt_u16_e32 vcc_lo, 0x7c00, v40
	s_delay_alu instid0(VALU_DEP_2) | instskip(NEXT) | instid1(VALU_DEP_1)
	v_cmp_gt_f16_e64 s15, v41, v25
	v_cndmask_b32_e64 v25, v25, v41, s15
	s_and_b32 s15, s13, vcc_lo
	s_delay_alu instid0(VALU_DEP_1) | instid1(SALU_CYCLE_1)
	v_cndmask_b32_e64 v25, v25, 0x7fff, s15
; %bb.2186:                             ;   in Loop: Header=BB6_2062 Depth=3
	s_or_b32 exec_lo, exec_lo, s37
.LBB6_2187:                             ;   in Loop: Header=BB6_2062 Depth=3
	s_delay_alu instid0(SALU_CYCLE_1)
	s_or_b32 exec_lo, exec_lo, s36
	s_mov_b32 s15, 0
.LBB6_2188:                             ;   in Loop: Header=BB6_2062 Depth=3
	s_delay_alu instid0(SALU_CYCLE_1)
	s_and_not1_b32 vcc_lo, exec_lo, s15
	s_cbranch_vccnz .LBB6_2194
; %bb.2189:                             ;   in Loop: Header=BB6_2062 Depth=3
	v_mov_b32_e32 v25, v33
	s_and_saveexec_b32 s15, s35
	s_cbranch_execz .LBB6_2193
; %bb.2190:                             ;   in Loop: Header=BB6_2062 Depth=3
	v_mov_b32_e32 v25, v32
	s_or_b32 s14, s13, s14
	s_delay_alu instid0(SALU_CYCLE_1)
	s_and_saveexec_b32 s35, s14
; %bb.2191:                             ;   in Loop: Header=BB6_2062 Depth=3
	v_lshrrev_b32_e32 v25, 16, v41
	v_cmp_lt_u16_e32 vcc_lo, 0x7c00, v40
	s_delay_alu instid0(VALU_DEP_2) | instskip(SKIP_1) | instid1(VALU_DEP_1)
	v_cmp_gt_f16_e64 s14, v41, v25
	s_and_b32 s13, s13, vcc_lo
	v_cndmask_b32_e64 v25, v41, v25, s14
	s_delay_alu instid0(VALU_DEP_1)
	v_cndmask_b32_e64 v25, v25, 0x7fff, s13
; %bb.2192:                             ;   in Loop: Header=BB6_2062 Depth=3
	s_or_b32 exec_lo, exec_lo, s35
.LBB6_2193:                             ;   in Loop: Header=BB6_2062 Depth=3
	s_delay_alu instid0(SALU_CYCLE_1)
	s_or_b32 exec_lo, exec_lo, s15
.LBB6_2194:                             ;   in Loop: Header=BB6_2062 Depth=3
	v_lshrrev_b32_e32 v40, 16, v32
	v_lshrrev_b32_e32 v42, 16, v33
	v_perm_b32 v33, v33, v32, 0x7060302
	s_mov_b32 s15, -1
	s_and_not1_b32 vcc_lo, exec_lo, s34
	v_and_b32_e32 v43, 0x7fff, v40
	v_and_b32_e32 v41, 0x7fff, v42
                                        ; implicit-def: $vgpr32
	s_delay_alu instid0(VALU_DEP_2) | instskip(NEXT) | instid1(VALU_DEP_2)
	v_cmp_lt_u16_e64 s13, 0x7c00, v43
	v_cmp_gt_u16_e64 s14, 0x7c01, v41
	s_delay_alu instid0(VALU_DEP_1) | instskip(NEXT) | instid1(SALU_CYCLE_1)
	s_and_b32 s35, s13, s14
	s_xor_b32 s35, s35, -1
	s_cbranch_vccnz .LBB6_2200
; %bb.2195:                             ;   in Loop: Header=BB6_2062 Depth=3
	v_mov_b32_e32 v32, v42
	s_and_saveexec_b32 s36, s35
	s_cbranch_execz .LBB6_2199
; %bb.2196:                             ;   in Loop: Header=BB6_2062 Depth=3
	v_mov_b32_e32 v32, v40
	s_or_b32 s15, s13, s14
	s_delay_alu instid0(SALU_CYCLE_1)
	s_and_saveexec_b32 s37, s15
; %bb.2197:                             ;   in Loop: Header=BB6_2062 Depth=3
	v_lshrrev_b32_e32 v32, 16, v33
	v_cmp_lt_u16_e32 vcc_lo, 0x7c00, v41
	s_delay_alu instid0(VALU_DEP_2) | instskip(NEXT) | instid1(VALU_DEP_1)
	v_cmp_gt_f16_e64 s15, v33, v32
	v_cndmask_b32_e64 v32, v32, v33, s15
	s_and_b32 s15, s13, vcc_lo
	s_delay_alu instid0(VALU_DEP_1) | instid1(SALU_CYCLE_1)
	v_cndmask_b32_e64 v32, v32, 0x7fff, s15
; %bb.2198:                             ;   in Loop: Header=BB6_2062 Depth=3
	s_or_b32 exec_lo, exec_lo, s37
.LBB6_2199:                             ;   in Loop: Header=BB6_2062 Depth=3
	s_delay_alu instid0(SALU_CYCLE_1)
	s_or_b32 exec_lo, exec_lo, s36
	s_mov_b32 s15, 0
.LBB6_2200:                             ;   in Loop: Header=BB6_2062 Depth=3
	s_delay_alu instid0(SALU_CYCLE_1)
	s_and_not1_b32 vcc_lo, exec_lo, s15
	s_cbranch_vccnz .LBB6_2206
; %bb.2201:                             ;   in Loop: Header=BB6_2062 Depth=3
	s_and_saveexec_b32 s15, s35
	s_cbranch_execz .LBB6_2205
; %bb.2202:                             ;   in Loop: Header=BB6_2062 Depth=3
	s_or_b32 s14, s13, s14
	s_delay_alu instid0(SALU_CYCLE_1)
	s_and_saveexec_b32 s35, s14
; %bb.2203:                             ;   in Loop: Header=BB6_2062 Depth=3
	v_lshrrev_b32_e32 v32, 16, v33
	v_cmp_lt_u16_e32 vcc_lo, 0x7c00, v41
	s_delay_alu instid0(VALU_DEP_2) | instskip(SKIP_1) | instid1(VALU_DEP_1)
	v_cmp_gt_f16_e64 s14, v33, v32
	s_and_b32 s13, s13, vcc_lo
	v_cndmask_b32_e64 v32, v33, v32, s14
	s_delay_alu instid0(VALU_DEP_1)
	v_cndmask_b32_e64 v40, v32, 0x7fff, s13
; %bb.2204:                             ;   in Loop: Header=BB6_2062 Depth=3
	s_or_b32 exec_lo, exec_lo, s35
	s_delay_alu instid0(VALU_DEP_1)
	v_mov_b32_e32 v42, v40
.LBB6_2205:                             ;   in Loop: Header=BB6_2062 Depth=3
	s_or_b32 exec_lo, exec_lo, s15
	s_delay_alu instid0(VALU_DEP_1)
	v_mov_b32_e32 v32, v42
.LBB6_2206:                             ;   in Loop: Header=BB6_2062 Depth=3
	v_and_b32_e32 v33, 0x7fff, v34
	v_and_b32_e32 v40, 0x7fff, v26
	v_perm_b32 v41, v26, v34, 0x5040100
	s_mov_b32 s15, -1
	s_and_not1_b32 vcc_lo, exec_lo, s34
	v_cmp_lt_u16_e64 s13, 0x7c00, v33
	v_cmp_gt_u16_e64 s14, 0x7c01, v40
                                        ; implicit-def: $vgpr33
	s_delay_alu instid0(VALU_DEP_1) | instskip(NEXT) | instid1(SALU_CYCLE_1)
	s_and_b32 s35, s13, s14
	s_xor_b32 s35, s35, -1
	s_cbranch_vccnz .LBB6_2212
; %bb.2207:                             ;   in Loop: Header=BB6_2062 Depth=3
	v_mov_b32_e32 v33, v26
	s_and_saveexec_b32 s36, s35
	s_cbranch_execz .LBB6_2211
; %bb.2208:                             ;   in Loop: Header=BB6_2062 Depth=3
	v_mov_b32_e32 v33, v34
	s_or_b32 s15, s13, s14
	s_delay_alu instid0(SALU_CYCLE_1)
	s_and_saveexec_b32 s37, s15
; %bb.2209:                             ;   in Loop: Header=BB6_2062 Depth=3
	v_lshrrev_b32_e32 v33, 16, v41
	v_cmp_lt_u16_e32 vcc_lo, 0x7c00, v40
	s_delay_alu instid0(VALU_DEP_2) | instskip(NEXT) | instid1(VALU_DEP_1)
	v_cmp_gt_f16_e64 s15, v41, v33
	v_cndmask_b32_e64 v33, v33, v41, s15
	s_and_b32 s15, s13, vcc_lo
	s_delay_alu instid0(VALU_DEP_1) | instid1(SALU_CYCLE_1)
	v_cndmask_b32_e64 v33, v33, 0x7fff, s15
; %bb.2210:                             ;   in Loop: Header=BB6_2062 Depth=3
	s_or_b32 exec_lo, exec_lo, s37
.LBB6_2211:                             ;   in Loop: Header=BB6_2062 Depth=3
	s_delay_alu instid0(SALU_CYCLE_1)
	s_or_b32 exec_lo, exec_lo, s36
	s_mov_b32 s15, 0
.LBB6_2212:                             ;   in Loop: Header=BB6_2062 Depth=3
	s_delay_alu instid0(SALU_CYCLE_1)
	s_and_not1_b32 vcc_lo, exec_lo, s15
	s_cbranch_vccnz .LBB6_2218
; %bb.2213:                             ;   in Loop: Header=BB6_2062 Depth=3
	v_mov_b32_e32 v33, v26
	s_and_saveexec_b32 s15, s35
	s_cbranch_execz .LBB6_2217
; %bb.2214:                             ;   in Loop: Header=BB6_2062 Depth=3
	v_mov_b32_e32 v33, v34
	s_or_b32 s14, s13, s14
	s_delay_alu instid0(SALU_CYCLE_1)
	s_and_saveexec_b32 s35, s14
; %bb.2215:                             ;   in Loop: Header=BB6_2062 Depth=3
	v_lshrrev_b32_e32 v33, 16, v41
	v_cmp_lt_u16_e32 vcc_lo, 0x7c00, v40
	s_delay_alu instid0(VALU_DEP_2) | instskip(SKIP_1) | instid1(VALU_DEP_1)
	v_cmp_gt_f16_e64 s14, v41, v33
	s_and_b32 s13, s13, vcc_lo
	v_cndmask_b32_e64 v33, v41, v33, s14
	s_delay_alu instid0(VALU_DEP_1)
	v_cndmask_b32_e64 v33, v33, 0x7fff, s13
; %bb.2216:                             ;   in Loop: Header=BB6_2062 Depth=3
	s_or_b32 exec_lo, exec_lo, s35
.LBB6_2217:                             ;   in Loop: Header=BB6_2062 Depth=3
	s_delay_alu instid0(SALU_CYCLE_1)
	s_or_b32 exec_lo, exec_lo, s15
.LBB6_2218:                             ;   in Loop: Header=BB6_2062 Depth=3
	v_mov_b32_e32 v42, v34
	v_lshrrev_b32_e32 v41, 16, v26
	s_mov_b32 s15, -1
	s_and_not1_b32 vcc_lo, exec_lo, s34
	s_delay_alu instid0(VALU_DEP_2) | instskip(NEXT) | instid1(VALU_DEP_2)
	v_lshrrev_b32_e32 v34, 16, v42
	v_and_b32_e32 v40, 0x7fff, v41
	s_delay_alu instid0(VALU_DEP_2) | instskip(NEXT) | instid1(VALU_DEP_2)
	v_and_b32_e32 v43, 0x7fff, v34
	v_cmp_gt_u16_e64 s14, 0x7c01, v40
	v_perm_b32 v42, v26, v42, 0x7060302
                                        ; implicit-def: $vgpr26
	s_delay_alu instid0(VALU_DEP_3) | instskip(NEXT) | instid1(VALU_DEP_1)
	v_cmp_lt_u16_e64 s13, 0x7c00, v43
	s_and_b32 s35, s13, s14
	s_delay_alu instid0(SALU_CYCLE_1)
	s_xor_b32 s35, s35, -1
	s_cbranch_vccnz .LBB6_2224
; %bb.2219:                             ;   in Loop: Header=BB6_2062 Depth=3
	v_mov_b32_e32 v26, v41
	s_and_saveexec_b32 s36, s35
	s_cbranch_execz .LBB6_2223
; %bb.2220:                             ;   in Loop: Header=BB6_2062 Depth=3
	v_mov_b32_e32 v26, v34
	s_or_b32 s15, s13, s14
	s_delay_alu instid0(SALU_CYCLE_1)
	s_and_saveexec_b32 s37, s15
; %bb.2221:                             ;   in Loop: Header=BB6_2062 Depth=3
	v_lshrrev_b32_e32 v26, 16, v42
	v_cmp_lt_u16_e32 vcc_lo, 0x7c00, v40
	s_delay_alu instid0(VALU_DEP_2) | instskip(NEXT) | instid1(VALU_DEP_1)
	v_cmp_gt_f16_e64 s15, v42, v26
	v_cndmask_b32_e64 v26, v26, v42, s15
	s_and_b32 s15, s13, vcc_lo
	s_delay_alu instid0(VALU_DEP_1) | instid1(SALU_CYCLE_1)
	v_cndmask_b32_e64 v26, v26, 0x7fff, s15
; %bb.2222:                             ;   in Loop: Header=BB6_2062 Depth=3
	s_or_b32 exec_lo, exec_lo, s37
.LBB6_2223:                             ;   in Loop: Header=BB6_2062 Depth=3
	s_delay_alu instid0(SALU_CYCLE_1)
	s_or_b32 exec_lo, exec_lo, s36
	s_mov_b32 s15, 0
.LBB6_2224:                             ;   in Loop: Header=BB6_2062 Depth=3
	s_delay_alu instid0(SALU_CYCLE_1)
	s_and_not1_b32 vcc_lo, exec_lo, s15
	s_cbranch_vccnz .LBB6_2230
; %bb.2225:                             ;   in Loop: Header=BB6_2062 Depth=3
	s_and_saveexec_b32 s15, s35
	s_cbranch_execz .LBB6_2229
; %bb.2226:                             ;   in Loop: Header=BB6_2062 Depth=3
	s_or_b32 s14, s13, s14
	s_delay_alu instid0(SALU_CYCLE_1)
	s_and_saveexec_b32 s35, s14
; %bb.2227:                             ;   in Loop: Header=BB6_2062 Depth=3
	v_lshrrev_b32_e32 v26, 16, v42
	v_cmp_lt_u16_e32 vcc_lo, 0x7c00, v40
	s_delay_alu instid0(VALU_DEP_2) | instskip(SKIP_1) | instid1(VALU_DEP_1)
	v_cmp_gt_f16_e64 s14, v42, v26
	s_and_b32 s13, s13, vcc_lo
	v_cndmask_b32_e64 v26, v42, v26, s14
	s_delay_alu instid0(VALU_DEP_1)
	v_cndmask_b32_e64 v34, v26, 0x7fff, s13
; %bb.2228:                             ;   in Loop: Header=BB6_2062 Depth=3
	s_or_b32 exec_lo, exec_lo, s35
	s_delay_alu instid0(VALU_DEP_1)
	v_mov_b32_e32 v41, v34
.LBB6_2229:                             ;   in Loop: Header=BB6_2062 Depth=3
	s_or_b32 exec_lo, exec_lo, s15
	s_delay_alu instid0(VALU_DEP_1)
	v_mov_b32_e32 v26, v41
.LBB6_2230:                             ;   in Loop: Header=BB6_2062 Depth=3
	v_and_b32_e32 v34, 0x7fff, v35
	v_and_b32_e32 v40, 0x7fff, v27
	v_perm_b32 v41, v27, v35, 0x5040100
	s_mov_b32 s15, -1
	s_and_not1_b32 vcc_lo, exec_lo, s34
	v_cmp_lt_u16_e64 s13, 0x7c00, v34
	v_cmp_gt_u16_e64 s14, 0x7c01, v40
                                        ; implicit-def: $vgpr34
	s_delay_alu instid0(VALU_DEP_1) | instskip(NEXT) | instid1(SALU_CYCLE_1)
	s_and_b32 s35, s13, s14
	s_xor_b32 s35, s35, -1
	s_cbranch_vccnz .LBB6_2236
; %bb.2231:                             ;   in Loop: Header=BB6_2062 Depth=3
	v_mov_b32_e32 v34, v27
	s_and_saveexec_b32 s36, s35
	s_cbranch_execz .LBB6_2235
; %bb.2232:                             ;   in Loop: Header=BB6_2062 Depth=3
	v_mov_b32_e32 v34, v35
	s_or_b32 s15, s13, s14
	s_delay_alu instid0(SALU_CYCLE_1)
	s_and_saveexec_b32 s37, s15
; %bb.2233:                             ;   in Loop: Header=BB6_2062 Depth=3
	v_lshrrev_b32_e32 v34, 16, v41
	v_cmp_lt_u16_e32 vcc_lo, 0x7c00, v40
	s_delay_alu instid0(VALU_DEP_2) | instskip(NEXT) | instid1(VALU_DEP_1)
	v_cmp_gt_f16_e64 s15, v41, v34
	v_cndmask_b32_e64 v34, v34, v41, s15
	s_and_b32 s15, s13, vcc_lo
	s_delay_alu instid0(VALU_DEP_1) | instid1(SALU_CYCLE_1)
	v_cndmask_b32_e64 v34, v34, 0x7fff, s15
; %bb.2234:                             ;   in Loop: Header=BB6_2062 Depth=3
	s_or_b32 exec_lo, exec_lo, s37
.LBB6_2235:                             ;   in Loop: Header=BB6_2062 Depth=3
	s_delay_alu instid0(SALU_CYCLE_1)
	s_or_b32 exec_lo, exec_lo, s36
	s_mov_b32 s15, 0
.LBB6_2236:                             ;   in Loop: Header=BB6_2062 Depth=3
	s_delay_alu instid0(SALU_CYCLE_1)
	s_and_not1_b32 vcc_lo, exec_lo, s15
	s_cbranch_vccnz .LBB6_2242
; %bb.2237:                             ;   in Loop: Header=BB6_2062 Depth=3
	v_mov_b32_e32 v34, v27
	s_and_saveexec_b32 s15, s35
	s_cbranch_execz .LBB6_2241
; %bb.2238:                             ;   in Loop: Header=BB6_2062 Depth=3
	v_mov_b32_e32 v34, v35
	s_or_b32 s14, s13, s14
	s_delay_alu instid0(SALU_CYCLE_1)
	s_and_saveexec_b32 s35, s14
; %bb.2239:                             ;   in Loop: Header=BB6_2062 Depth=3
	v_lshrrev_b32_e32 v34, 16, v41
	v_cmp_lt_u16_e32 vcc_lo, 0x7c00, v40
	s_delay_alu instid0(VALU_DEP_2) | instskip(SKIP_1) | instid1(VALU_DEP_1)
	v_cmp_gt_f16_e64 s14, v41, v34
	s_and_b32 s13, s13, vcc_lo
	v_cndmask_b32_e64 v34, v41, v34, s14
	s_delay_alu instid0(VALU_DEP_1)
	v_cndmask_b32_e64 v34, v34, 0x7fff, s13
; %bb.2240:                             ;   in Loop: Header=BB6_2062 Depth=3
	s_or_b32 exec_lo, exec_lo, s35
.LBB6_2241:                             ;   in Loop: Header=BB6_2062 Depth=3
	s_delay_alu instid0(SALU_CYCLE_1)
	s_or_b32 exec_lo, exec_lo, s15
.LBB6_2242:                             ;   in Loop: Header=BB6_2062 Depth=3
	v_lshrrev_b32_e32 v40, 16, v35
	v_lshrrev_b32_e32 v42, 16, v27
	v_perm_b32 v35, v27, v35, 0x7060302
	s_mov_b32 s15, -1
	s_and_not1_b32 vcc_lo, exec_lo, s34
	v_and_b32_e32 v43, 0x7fff, v40
	v_and_b32_e32 v41, 0x7fff, v42
                                        ; implicit-def: $vgpr27
	s_delay_alu instid0(VALU_DEP_2) | instskip(NEXT) | instid1(VALU_DEP_2)
	v_cmp_lt_u16_e64 s13, 0x7c00, v43
	v_cmp_gt_u16_e64 s14, 0x7c01, v41
	s_delay_alu instid0(VALU_DEP_1) | instskip(NEXT) | instid1(SALU_CYCLE_1)
	s_and_b32 s35, s13, s14
	s_xor_b32 s35, s35, -1
	s_cbranch_vccnz .LBB6_2248
; %bb.2243:                             ;   in Loop: Header=BB6_2062 Depth=3
	v_mov_b32_e32 v27, v42
	s_and_saveexec_b32 s36, s35
	s_cbranch_execz .LBB6_2247
; %bb.2244:                             ;   in Loop: Header=BB6_2062 Depth=3
	v_mov_b32_e32 v27, v40
	s_or_b32 s15, s13, s14
	s_delay_alu instid0(SALU_CYCLE_1)
	s_and_saveexec_b32 s37, s15
; %bb.2245:                             ;   in Loop: Header=BB6_2062 Depth=3
	v_lshrrev_b32_e32 v27, 16, v35
	v_cmp_lt_u16_e32 vcc_lo, 0x7c00, v41
	s_delay_alu instid0(VALU_DEP_2) | instskip(NEXT) | instid1(VALU_DEP_1)
	v_cmp_gt_f16_e64 s15, v35, v27
	v_cndmask_b32_e64 v27, v27, v35, s15
	s_and_b32 s15, s13, vcc_lo
	s_delay_alu instid0(VALU_DEP_1) | instid1(SALU_CYCLE_1)
	v_cndmask_b32_e64 v27, v27, 0x7fff, s15
; %bb.2246:                             ;   in Loop: Header=BB6_2062 Depth=3
	s_or_b32 exec_lo, exec_lo, s37
.LBB6_2247:                             ;   in Loop: Header=BB6_2062 Depth=3
	s_delay_alu instid0(SALU_CYCLE_1)
	s_or_b32 exec_lo, exec_lo, s36
	s_mov_b32 s15, 0
.LBB6_2248:                             ;   in Loop: Header=BB6_2062 Depth=3
	s_delay_alu instid0(SALU_CYCLE_1)
	s_and_not1_b32 vcc_lo, exec_lo, s15
	s_cbranch_vccnz .LBB6_2254
; %bb.2249:                             ;   in Loop: Header=BB6_2062 Depth=3
	s_and_saveexec_b32 s15, s35
	s_cbranch_execz .LBB6_2253
; %bb.2250:                             ;   in Loop: Header=BB6_2062 Depth=3
	s_or_b32 s14, s13, s14
	s_delay_alu instid0(SALU_CYCLE_1)
	s_and_saveexec_b32 s35, s14
; %bb.2251:                             ;   in Loop: Header=BB6_2062 Depth=3
	v_lshrrev_b32_e32 v27, 16, v35
	v_cmp_lt_u16_e32 vcc_lo, 0x7c00, v41
	s_delay_alu instid0(VALU_DEP_2) | instskip(SKIP_1) | instid1(VALU_DEP_1)
	v_cmp_gt_f16_e64 s14, v35, v27
	s_and_b32 s13, s13, vcc_lo
	v_cndmask_b32_e64 v27, v35, v27, s14
	s_delay_alu instid0(VALU_DEP_1)
	v_cndmask_b32_e64 v40, v27, 0x7fff, s13
; %bb.2252:                             ;   in Loop: Header=BB6_2062 Depth=3
	s_or_b32 exec_lo, exec_lo, s35
	s_delay_alu instid0(VALU_DEP_1)
	v_mov_b32_e32 v42, v40
.LBB6_2253:                             ;   in Loop: Header=BB6_2062 Depth=3
	s_or_b32 exec_lo, exec_lo, s15
	s_delay_alu instid0(VALU_DEP_1)
	v_mov_b32_e32 v27, v42
.LBB6_2254:                             ;   in Loop: Header=BB6_2062 Depth=3
	v_and_b32_e32 v35, 0x7fff, v20
	s_waitcnt vmcnt(1)
	v_and_b32_e32 v40, 0x7fff, v16
	v_perm_b32 v41, v16, v20, 0x5040100
	s_mov_b32 s15, -1
	s_and_not1_b32 vcc_lo, exec_lo, s34
	v_cmp_lt_u16_e64 s13, 0x7c00, v35
	v_cmp_gt_u16_e64 s14, 0x7c01, v40
                                        ; implicit-def: $vgpr35
	s_delay_alu instid0(VALU_DEP_1) | instskip(NEXT) | instid1(SALU_CYCLE_1)
	s_and_b32 s35, s13, s14
	s_xor_b32 s35, s35, -1
	s_cbranch_vccnz .LBB6_2260
; %bb.2255:                             ;   in Loop: Header=BB6_2062 Depth=3
	v_mov_b32_e32 v35, v16
	s_and_saveexec_b32 s36, s35
	s_cbranch_execz .LBB6_2259
; %bb.2256:                             ;   in Loop: Header=BB6_2062 Depth=3
	v_mov_b32_e32 v35, v20
	s_or_b32 s15, s13, s14
	s_delay_alu instid0(SALU_CYCLE_1)
	s_and_saveexec_b32 s37, s15
; %bb.2257:                             ;   in Loop: Header=BB6_2062 Depth=3
	v_lshrrev_b32_e32 v35, 16, v41
	v_cmp_lt_u16_e32 vcc_lo, 0x7c00, v40
	s_delay_alu instid0(VALU_DEP_2) | instskip(NEXT) | instid1(VALU_DEP_1)
	v_cmp_gt_f16_e64 s15, v41, v35
	v_cndmask_b32_e64 v35, v35, v41, s15
	s_and_b32 s15, s13, vcc_lo
	s_delay_alu instid0(VALU_DEP_1) | instid1(SALU_CYCLE_1)
	v_cndmask_b32_e64 v35, v35, 0x7fff, s15
; %bb.2258:                             ;   in Loop: Header=BB6_2062 Depth=3
	s_or_b32 exec_lo, exec_lo, s37
.LBB6_2259:                             ;   in Loop: Header=BB6_2062 Depth=3
	s_delay_alu instid0(SALU_CYCLE_1)
	s_or_b32 exec_lo, exec_lo, s36
	s_mov_b32 s15, 0
.LBB6_2260:                             ;   in Loop: Header=BB6_2062 Depth=3
	s_delay_alu instid0(SALU_CYCLE_1)
	s_and_not1_b32 vcc_lo, exec_lo, s15
	s_cbranch_vccnz .LBB6_2266
; %bb.2261:                             ;   in Loop: Header=BB6_2062 Depth=3
	v_mov_b32_e32 v35, v16
	s_and_saveexec_b32 s15, s35
	s_cbranch_execz .LBB6_2265
; %bb.2262:                             ;   in Loop: Header=BB6_2062 Depth=3
	v_mov_b32_e32 v35, v20
	s_or_b32 s14, s13, s14
	s_delay_alu instid0(SALU_CYCLE_1)
	s_and_saveexec_b32 s35, s14
; %bb.2263:                             ;   in Loop: Header=BB6_2062 Depth=3
	v_lshrrev_b32_e32 v35, 16, v41
	v_cmp_lt_u16_e32 vcc_lo, 0x7c00, v40
	s_delay_alu instid0(VALU_DEP_2) | instskip(SKIP_1) | instid1(VALU_DEP_1)
	v_cmp_gt_f16_e64 s14, v41, v35
	s_and_b32 s13, s13, vcc_lo
	v_cndmask_b32_e64 v35, v41, v35, s14
	s_delay_alu instid0(VALU_DEP_1)
	v_cndmask_b32_e64 v35, v35, 0x7fff, s13
; %bb.2264:                             ;   in Loop: Header=BB6_2062 Depth=3
	s_or_b32 exec_lo, exec_lo, s35
.LBB6_2265:                             ;   in Loop: Header=BB6_2062 Depth=3
	s_delay_alu instid0(SALU_CYCLE_1)
	s_or_b32 exec_lo, exec_lo, s15
.LBB6_2266:                             ;   in Loop: Header=BB6_2062 Depth=3
	v_mov_b32_e32 v43, v20
	v_lshrrev_b32_e32 v42, 16, v16
	s_mov_b32 s15, -1
	s_and_not1_b32 vcc_lo, exec_lo, s34
	s_delay_alu instid0(VALU_DEP_2) | instskip(NEXT) | instid1(VALU_DEP_2)
	v_lshrrev_b32_e32 v40, 16, v43
	v_and_b32_e32 v41, 0x7fff, v42
	s_delay_alu instid0(VALU_DEP_2) | instskip(NEXT) | instid1(VALU_DEP_1)
	v_and_b32_e32 v20, 0x7fff, v40
	v_cmp_lt_u16_e64 s13, 0x7c00, v20
	v_mov_b32_e32 v20, v21
	s_delay_alu instid0(VALU_DEP_4) | instskip(SKIP_2) | instid1(VALU_DEP_3)
	v_cmp_gt_u16_e64 s14, 0x7c01, v41
	v_mov_b32_e32 v21, v17
	v_perm_b32 v17, v16, v43, 0x7060302
                                        ; implicit-def: $vgpr16
	s_and_b32 s35, s13, s14
	s_delay_alu instid0(SALU_CYCLE_1)
	s_xor_b32 s35, s35, -1
	s_cbranch_vccnz .LBB6_2272
; %bb.2267:                             ;   in Loop: Header=BB6_2062 Depth=3
	v_mov_b32_e32 v16, v42
	s_and_saveexec_b32 s36, s35
	s_cbranch_execz .LBB6_2271
; %bb.2268:                             ;   in Loop: Header=BB6_2062 Depth=3
	v_mov_b32_e32 v16, v40
	s_or_b32 s15, s13, s14
	s_delay_alu instid0(SALU_CYCLE_1)
	s_and_saveexec_b32 s37, s15
; %bb.2269:                             ;   in Loop: Header=BB6_2062 Depth=3
	v_lshrrev_b32_e32 v16, 16, v17
	v_cmp_lt_u16_e32 vcc_lo, 0x7c00, v41
	s_delay_alu instid0(VALU_DEP_2) | instskip(NEXT) | instid1(VALU_DEP_1)
	v_cmp_gt_f16_e64 s15, v17, v16
	v_cndmask_b32_e64 v16, v16, v17, s15
	s_and_b32 s15, s13, vcc_lo
	s_delay_alu instid0(VALU_DEP_1) | instid1(SALU_CYCLE_1)
	v_cndmask_b32_e64 v16, v16, 0x7fff, s15
; %bb.2270:                             ;   in Loop: Header=BB6_2062 Depth=3
	s_or_b32 exec_lo, exec_lo, s37
.LBB6_2271:                             ;   in Loop: Header=BB6_2062 Depth=3
	s_delay_alu instid0(SALU_CYCLE_1)
	s_or_b32 exec_lo, exec_lo, s36
	s_mov_b32 s15, 0
.LBB6_2272:                             ;   in Loop: Header=BB6_2062 Depth=3
	s_delay_alu instid0(SALU_CYCLE_1)
	s_and_not1_b32 vcc_lo, exec_lo, s15
	s_cbranch_vccnz .LBB6_2278
; %bb.2273:                             ;   in Loop: Header=BB6_2062 Depth=3
	s_and_saveexec_b32 s15, s35
	s_cbranch_execz .LBB6_2277
; %bb.2274:                             ;   in Loop: Header=BB6_2062 Depth=3
	s_or_b32 s14, s13, s14
	s_delay_alu instid0(SALU_CYCLE_1)
	s_and_saveexec_b32 s35, s14
; %bb.2275:                             ;   in Loop: Header=BB6_2062 Depth=3
	v_lshrrev_b32_e32 v16, 16, v17
	v_cmp_lt_u16_e32 vcc_lo, 0x7c00, v41
	s_delay_alu instid0(VALU_DEP_2) | instskip(SKIP_1) | instid1(VALU_DEP_1)
	v_cmp_gt_f16_e64 s14, v17, v16
	s_and_b32 s13, s13, vcc_lo
	v_cndmask_b32_e64 v16, v17, v16, s14
	s_delay_alu instid0(VALU_DEP_1)
	v_cndmask_b32_e64 v40, v16, 0x7fff, s13
; %bb.2276:                             ;   in Loop: Header=BB6_2062 Depth=3
	s_or_b32 exec_lo, exec_lo, s35
	s_delay_alu instid0(VALU_DEP_1)
	v_mov_b32_e32 v42, v40
.LBB6_2277:                             ;   in Loop: Header=BB6_2062 Depth=3
	s_or_b32 exec_lo, exec_lo, s15
	s_delay_alu instid0(VALU_DEP_1)
	v_mov_b32_e32 v16, v42
.LBB6_2278:                             ;   in Loop: Header=BB6_2062 Depth=3
	v_and_b32_e32 v17, 0x7fff, v20
	v_and_b32_e32 v40, 0x7fff, v21
	v_perm_b32 v41, v21, v20, 0x5040100
	s_mov_b32 s15, -1
	s_and_not1_b32 vcc_lo, exec_lo, s34
	v_cmp_lt_u16_e64 s13, 0x7c00, v17
	v_cmp_gt_u16_e64 s14, 0x7c01, v40
                                        ; implicit-def: $vgpr17
	s_delay_alu instid0(VALU_DEP_1) | instskip(NEXT) | instid1(SALU_CYCLE_1)
	s_and_b32 s35, s13, s14
	s_xor_b32 s35, s35, -1
	s_cbranch_vccnz .LBB6_2284
; %bb.2279:                             ;   in Loop: Header=BB6_2062 Depth=3
	v_mov_b32_e32 v17, v21
	s_and_saveexec_b32 s36, s35
	s_cbranch_execz .LBB6_2283
; %bb.2280:                             ;   in Loop: Header=BB6_2062 Depth=3
	v_mov_b32_e32 v17, v20
	s_or_b32 s15, s13, s14
	s_delay_alu instid0(SALU_CYCLE_1)
	s_and_saveexec_b32 s37, s15
; %bb.2281:                             ;   in Loop: Header=BB6_2062 Depth=3
	v_lshrrev_b32_e32 v17, 16, v41
	v_cmp_lt_u16_e32 vcc_lo, 0x7c00, v40
	s_delay_alu instid0(VALU_DEP_2) | instskip(NEXT) | instid1(VALU_DEP_1)
	v_cmp_gt_f16_e64 s15, v41, v17
	v_cndmask_b32_e64 v17, v17, v41, s15
	s_and_b32 s15, s13, vcc_lo
	s_delay_alu instid0(VALU_DEP_1) | instid1(SALU_CYCLE_1)
	v_cndmask_b32_e64 v17, v17, 0x7fff, s15
; %bb.2282:                             ;   in Loop: Header=BB6_2062 Depth=3
	s_or_b32 exec_lo, exec_lo, s37
.LBB6_2283:                             ;   in Loop: Header=BB6_2062 Depth=3
	s_delay_alu instid0(SALU_CYCLE_1)
	s_or_b32 exec_lo, exec_lo, s36
	s_mov_b32 s15, 0
.LBB6_2284:                             ;   in Loop: Header=BB6_2062 Depth=3
	s_delay_alu instid0(SALU_CYCLE_1)
	s_and_not1_b32 vcc_lo, exec_lo, s15
	s_cbranch_vccnz .LBB6_2290
; %bb.2285:                             ;   in Loop: Header=BB6_2062 Depth=3
	v_mov_b32_e32 v17, v21
	s_and_saveexec_b32 s15, s35
	s_cbranch_execz .LBB6_2289
; %bb.2286:                             ;   in Loop: Header=BB6_2062 Depth=3
	v_mov_b32_e32 v17, v20
	s_or_b32 s14, s13, s14
	s_delay_alu instid0(SALU_CYCLE_1)
	s_and_saveexec_b32 s35, s14
; %bb.2287:                             ;   in Loop: Header=BB6_2062 Depth=3
	v_lshrrev_b32_e32 v17, 16, v41
	v_cmp_lt_u16_e32 vcc_lo, 0x7c00, v40
	s_delay_alu instid0(VALU_DEP_2) | instskip(SKIP_1) | instid1(VALU_DEP_1)
	v_cmp_gt_f16_e64 s14, v41, v17
	s_and_b32 s13, s13, vcc_lo
	v_cndmask_b32_e64 v17, v41, v17, s14
	s_delay_alu instid0(VALU_DEP_1)
	v_cndmask_b32_e64 v17, v17, 0x7fff, s13
; %bb.2288:                             ;   in Loop: Header=BB6_2062 Depth=3
	s_or_b32 exec_lo, exec_lo, s35
.LBB6_2289:                             ;   in Loop: Header=BB6_2062 Depth=3
	s_delay_alu instid0(SALU_CYCLE_1)
	s_or_b32 exec_lo, exec_lo, s15
.LBB6_2290:                             ;   in Loop: Header=BB6_2062 Depth=3
	v_lshrrev_b32_e32 v40, 16, v20
	v_lshrrev_b32_e32 v42, 16, v21
	v_perm_b32 v21, v21, v20, 0x7060302
	s_mov_b32 s15, -1
	s_and_not1_b32 vcc_lo, exec_lo, s34
	v_and_b32_e32 v43, 0x7fff, v40
	v_and_b32_e32 v41, 0x7fff, v42
                                        ; implicit-def: $vgpr20
	s_delay_alu instid0(VALU_DEP_2) | instskip(NEXT) | instid1(VALU_DEP_2)
	v_cmp_lt_u16_e64 s13, 0x7c00, v43
	v_cmp_gt_u16_e64 s14, 0x7c01, v41
	s_delay_alu instid0(VALU_DEP_1) | instskip(NEXT) | instid1(SALU_CYCLE_1)
	s_and_b32 s35, s13, s14
	s_xor_b32 s35, s35, -1
	s_cbranch_vccnz .LBB6_2296
; %bb.2291:                             ;   in Loop: Header=BB6_2062 Depth=3
	v_mov_b32_e32 v20, v42
	s_and_saveexec_b32 s36, s35
	s_cbranch_execz .LBB6_2295
; %bb.2292:                             ;   in Loop: Header=BB6_2062 Depth=3
	v_mov_b32_e32 v20, v40
	s_or_b32 s15, s13, s14
	s_delay_alu instid0(SALU_CYCLE_1)
	s_and_saveexec_b32 s37, s15
; %bb.2293:                             ;   in Loop: Header=BB6_2062 Depth=3
	v_lshrrev_b32_e32 v20, 16, v21
	v_cmp_lt_u16_e32 vcc_lo, 0x7c00, v41
	s_delay_alu instid0(VALU_DEP_2) | instskip(NEXT) | instid1(VALU_DEP_1)
	v_cmp_gt_f16_e64 s15, v21, v20
	v_cndmask_b32_e64 v20, v20, v21, s15
	s_and_b32 s15, s13, vcc_lo
	s_delay_alu instid0(VALU_DEP_1) | instid1(SALU_CYCLE_1)
	v_cndmask_b32_e64 v20, v20, 0x7fff, s15
; %bb.2294:                             ;   in Loop: Header=BB6_2062 Depth=3
	s_or_b32 exec_lo, exec_lo, s37
.LBB6_2295:                             ;   in Loop: Header=BB6_2062 Depth=3
	s_delay_alu instid0(SALU_CYCLE_1)
	s_or_b32 exec_lo, exec_lo, s36
	s_mov_b32 s15, 0
.LBB6_2296:                             ;   in Loop: Header=BB6_2062 Depth=3
	s_delay_alu instid0(SALU_CYCLE_1)
	s_and_not1_b32 vcc_lo, exec_lo, s15
	s_cbranch_vccnz .LBB6_2302
; %bb.2297:                             ;   in Loop: Header=BB6_2062 Depth=3
	s_and_saveexec_b32 s15, s35
	s_cbranch_execz .LBB6_2301
; %bb.2298:                             ;   in Loop: Header=BB6_2062 Depth=3
	s_or_b32 s14, s13, s14
	s_delay_alu instid0(SALU_CYCLE_1)
	s_and_saveexec_b32 s35, s14
; %bb.2299:                             ;   in Loop: Header=BB6_2062 Depth=3
	v_lshrrev_b32_e32 v20, 16, v21
	v_cmp_lt_u16_e32 vcc_lo, 0x7c00, v41
	s_delay_alu instid0(VALU_DEP_2) | instskip(SKIP_1) | instid1(VALU_DEP_1)
	v_cmp_gt_f16_e64 s14, v21, v20
	s_and_b32 s13, s13, vcc_lo
	v_cndmask_b32_e64 v20, v21, v20, s14
	s_delay_alu instid0(VALU_DEP_1)
	v_cndmask_b32_e64 v40, v20, 0x7fff, s13
; %bb.2300:                             ;   in Loop: Header=BB6_2062 Depth=3
	s_or_b32 exec_lo, exec_lo, s35
	s_delay_alu instid0(VALU_DEP_1)
	v_mov_b32_e32 v42, v40
.LBB6_2301:                             ;   in Loop: Header=BB6_2062 Depth=3
	s_or_b32 exec_lo, exec_lo, s15
	s_delay_alu instid0(VALU_DEP_1)
	v_mov_b32_e32 v20, v42
.LBB6_2302:                             ;   in Loop: Header=BB6_2062 Depth=3
	v_and_b32_e32 v21, 0x7fff, v22
	v_and_b32_e32 v40, 0x7fff, v18
	v_perm_b32 v41, v18, v22, 0x5040100
	s_mov_b32 s15, -1
	s_and_not1_b32 vcc_lo, exec_lo, s34
	v_cmp_lt_u16_e64 s13, 0x7c00, v21
	v_cmp_gt_u16_e64 s14, 0x7c01, v40
                                        ; implicit-def: $vgpr21
	s_delay_alu instid0(VALU_DEP_1) | instskip(NEXT) | instid1(SALU_CYCLE_1)
	s_and_b32 s35, s13, s14
	s_xor_b32 s35, s35, -1
	s_cbranch_vccnz .LBB6_2308
; %bb.2303:                             ;   in Loop: Header=BB6_2062 Depth=3
	v_mov_b32_e32 v21, v18
	s_and_saveexec_b32 s36, s35
	s_cbranch_execz .LBB6_2307
; %bb.2304:                             ;   in Loop: Header=BB6_2062 Depth=3
	v_mov_b32_e32 v21, v22
	s_or_b32 s15, s13, s14
	s_delay_alu instid0(SALU_CYCLE_1)
	s_and_saveexec_b32 s37, s15
; %bb.2305:                             ;   in Loop: Header=BB6_2062 Depth=3
	v_lshrrev_b32_e32 v21, 16, v41
	v_cmp_lt_u16_e32 vcc_lo, 0x7c00, v40
	s_delay_alu instid0(VALU_DEP_2) | instskip(NEXT) | instid1(VALU_DEP_1)
	v_cmp_gt_f16_e64 s15, v41, v21
	v_cndmask_b32_e64 v21, v21, v41, s15
	s_and_b32 s15, s13, vcc_lo
	s_delay_alu instid0(VALU_DEP_1) | instid1(SALU_CYCLE_1)
	v_cndmask_b32_e64 v21, v21, 0x7fff, s15
; %bb.2306:                             ;   in Loop: Header=BB6_2062 Depth=3
	s_or_b32 exec_lo, exec_lo, s37
.LBB6_2307:                             ;   in Loop: Header=BB6_2062 Depth=3
	s_delay_alu instid0(SALU_CYCLE_1)
	s_or_b32 exec_lo, exec_lo, s36
	s_mov_b32 s15, 0
.LBB6_2308:                             ;   in Loop: Header=BB6_2062 Depth=3
	s_delay_alu instid0(SALU_CYCLE_1)
	s_and_not1_b32 vcc_lo, exec_lo, s15
	s_cbranch_vccnz .LBB6_2314
; %bb.2309:                             ;   in Loop: Header=BB6_2062 Depth=3
	v_mov_b32_e32 v21, v18
	s_and_saveexec_b32 s15, s35
	s_cbranch_execz .LBB6_2313
; %bb.2310:                             ;   in Loop: Header=BB6_2062 Depth=3
	v_mov_b32_e32 v21, v22
	s_or_b32 s14, s13, s14
	s_delay_alu instid0(SALU_CYCLE_1)
	s_and_saveexec_b32 s35, s14
; %bb.2311:                             ;   in Loop: Header=BB6_2062 Depth=3
	v_lshrrev_b32_e32 v21, 16, v41
	v_cmp_lt_u16_e32 vcc_lo, 0x7c00, v40
	s_delay_alu instid0(VALU_DEP_2) | instskip(SKIP_1) | instid1(VALU_DEP_1)
	v_cmp_gt_f16_e64 s14, v41, v21
	s_and_b32 s13, s13, vcc_lo
	v_cndmask_b32_e64 v21, v41, v21, s14
	s_delay_alu instid0(VALU_DEP_1)
	v_cndmask_b32_e64 v21, v21, 0x7fff, s13
; %bb.2312:                             ;   in Loop: Header=BB6_2062 Depth=3
	s_or_b32 exec_lo, exec_lo, s35
.LBB6_2313:                             ;   in Loop: Header=BB6_2062 Depth=3
	s_delay_alu instid0(SALU_CYCLE_1)
	s_or_b32 exec_lo, exec_lo, s15
.LBB6_2314:                             ;   in Loop: Header=BB6_2062 Depth=3
	v_mov_b32_e32 v42, v22
	v_lshrrev_b32_e32 v41, 16, v18
	s_mov_b32 s15, -1
	s_and_not1_b32 vcc_lo, exec_lo, s34
	s_delay_alu instid0(VALU_DEP_2) | instskip(NEXT) | instid1(VALU_DEP_2)
	v_lshrrev_b32_e32 v22, 16, v42
	v_and_b32_e32 v40, 0x7fff, v41
	s_delay_alu instid0(VALU_DEP_2) | instskip(NEXT) | instid1(VALU_DEP_2)
	v_and_b32_e32 v43, 0x7fff, v22
	v_cmp_gt_u16_e64 s14, 0x7c01, v40
	v_perm_b32 v42, v18, v42, 0x7060302
                                        ; implicit-def: $vgpr18
	s_delay_alu instid0(VALU_DEP_3) | instskip(NEXT) | instid1(VALU_DEP_1)
	v_cmp_lt_u16_e64 s13, 0x7c00, v43
	s_and_b32 s35, s13, s14
	s_delay_alu instid0(SALU_CYCLE_1)
	s_xor_b32 s35, s35, -1
	s_cbranch_vccnz .LBB6_2320
; %bb.2315:                             ;   in Loop: Header=BB6_2062 Depth=3
	v_mov_b32_e32 v18, v41
	s_and_saveexec_b32 s36, s35
	s_cbranch_execz .LBB6_2319
; %bb.2316:                             ;   in Loop: Header=BB6_2062 Depth=3
	v_mov_b32_e32 v18, v22
	s_or_b32 s15, s13, s14
	s_delay_alu instid0(SALU_CYCLE_1)
	s_and_saveexec_b32 s37, s15
; %bb.2317:                             ;   in Loop: Header=BB6_2062 Depth=3
	v_lshrrev_b32_e32 v18, 16, v42
	v_cmp_lt_u16_e32 vcc_lo, 0x7c00, v40
	s_delay_alu instid0(VALU_DEP_2) | instskip(NEXT) | instid1(VALU_DEP_1)
	v_cmp_gt_f16_e64 s15, v42, v18
	v_cndmask_b32_e64 v18, v18, v42, s15
	s_and_b32 s15, s13, vcc_lo
	s_delay_alu instid0(VALU_DEP_1) | instid1(SALU_CYCLE_1)
	v_cndmask_b32_e64 v18, v18, 0x7fff, s15
; %bb.2318:                             ;   in Loop: Header=BB6_2062 Depth=3
	s_or_b32 exec_lo, exec_lo, s37
.LBB6_2319:                             ;   in Loop: Header=BB6_2062 Depth=3
	s_delay_alu instid0(SALU_CYCLE_1)
	s_or_b32 exec_lo, exec_lo, s36
	s_mov_b32 s15, 0
.LBB6_2320:                             ;   in Loop: Header=BB6_2062 Depth=3
	s_delay_alu instid0(SALU_CYCLE_1)
	s_and_not1_b32 vcc_lo, exec_lo, s15
	s_cbranch_vccnz .LBB6_2326
; %bb.2321:                             ;   in Loop: Header=BB6_2062 Depth=3
	s_and_saveexec_b32 s15, s35
	s_cbranch_execz .LBB6_2325
; %bb.2322:                             ;   in Loop: Header=BB6_2062 Depth=3
	s_or_b32 s14, s13, s14
	s_delay_alu instid0(SALU_CYCLE_1)
	s_and_saveexec_b32 s35, s14
; %bb.2323:                             ;   in Loop: Header=BB6_2062 Depth=3
	v_lshrrev_b32_e32 v18, 16, v42
	v_cmp_lt_u16_e32 vcc_lo, 0x7c00, v40
	s_delay_alu instid0(VALU_DEP_2) | instskip(SKIP_1) | instid1(VALU_DEP_1)
	v_cmp_gt_f16_e64 s14, v42, v18
	s_and_b32 s13, s13, vcc_lo
	v_cndmask_b32_e64 v18, v42, v18, s14
	s_delay_alu instid0(VALU_DEP_1)
	v_cndmask_b32_e64 v22, v18, 0x7fff, s13
; %bb.2324:                             ;   in Loop: Header=BB6_2062 Depth=3
	s_or_b32 exec_lo, exec_lo, s35
	s_delay_alu instid0(VALU_DEP_1)
	v_mov_b32_e32 v41, v22
.LBB6_2325:                             ;   in Loop: Header=BB6_2062 Depth=3
	s_or_b32 exec_lo, exec_lo, s15
	s_delay_alu instid0(VALU_DEP_1)
	v_mov_b32_e32 v18, v41
.LBB6_2326:                             ;   in Loop: Header=BB6_2062 Depth=3
	v_and_b32_e32 v22, 0x7fff, v23
	v_and_b32_e32 v40, 0x7fff, v19
	v_perm_b32 v41, v19, v23, 0x5040100
	s_mov_b32 s15, -1
	s_and_not1_b32 vcc_lo, exec_lo, s34
	v_cmp_lt_u16_e64 s13, 0x7c00, v22
	v_cmp_gt_u16_e64 s14, 0x7c01, v40
                                        ; implicit-def: $vgpr22
	s_delay_alu instid0(VALU_DEP_1) | instskip(NEXT) | instid1(SALU_CYCLE_1)
	s_and_b32 s35, s13, s14
	s_xor_b32 s35, s35, -1
	s_cbranch_vccnz .LBB6_2332
; %bb.2327:                             ;   in Loop: Header=BB6_2062 Depth=3
	v_mov_b32_e32 v22, v19
	s_and_saveexec_b32 s36, s35
	s_cbranch_execz .LBB6_2331
; %bb.2328:                             ;   in Loop: Header=BB6_2062 Depth=3
	v_mov_b32_e32 v22, v23
	s_or_b32 s15, s13, s14
	s_delay_alu instid0(SALU_CYCLE_1)
	s_and_saveexec_b32 s37, s15
; %bb.2329:                             ;   in Loop: Header=BB6_2062 Depth=3
	v_lshrrev_b32_e32 v22, 16, v41
	v_cmp_lt_u16_e32 vcc_lo, 0x7c00, v40
	s_delay_alu instid0(VALU_DEP_2) | instskip(NEXT) | instid1(VALU_DEP_1)
	v_cmp_gt_f16_e64 s15, v41, v22
	v_cndmask_b32_e64 v22, v22, v41, s15
	s_and_b32 s15, s13, vcc_lo
	s_delay_alu instid0(VALU_DEP_1) | instid1(SALU_CYCLE_1)
	v_cndmask_b32_e64 v22, v22, 0x7fff, s15
; %bb.2330:                             ;   in Loop: Header=BB6_2062 Depth=3
	s_or_b32 exec_lo, exec_lo, s37
.LBB6_2331:                             ;   in Loop: Header=BB6_2062 Depth=3
	s_delay_alu instid0(SALU_CYCLE_1)
	s_or_b32 exec_lo, exec_lo, s36
	s_mov_b32 s15, 0
.LBB6_2332:                             ;   in Loop: Header=BB6_2062 Depth=3
	s_delay_alu instid0(SALU_CYCLE_1)
	s_and_not1_b32 vcc_lo, exec_lo, s15
	s_cbranch_vccnz .LBB6_2338
; %bb.2333:                             ;   in Loop: Header=BB6_2062 Depth=3
	v_mov_b32_e32 v22, v19
	s_and_saveexec_b32 s15, s35
	s_cbranch_execz .LBB6_2337
; %bb.2334:                             ;   in Loop: Header=BB6_2062 Depth=3
	v_mov_b32_e32 v22, v23
	s_or_b32 s14, s13, s14
	s_delay_alu instid0(SALU_CYCLE_1)
	s_and_saveexec_b32 s35, s14
; %bb.2335:                             ;   in Loop: Header=BB6_2062 Depth=3
	v_lshrrev_b32_e32 v22, 16, v41
	v_cmp_lt_u16_e32 vcc_lo, 0x7c00, v40
	s_delay_alu instid0(VALU_DEP_2) | instskip(SKIP_1) | instid1(VALU_DEP_1)
	v_cmp_gt_f16_e64 s14, v41, v22
	s_and_b32 s13, s13, vcc_lo
	v_cndmask_b32_e64 v22, v41, v22, s14
	s_delay_alu instid0(VALU_DEP_1)
	v_cndmask_b32_e64 v22, v22, 0x7fff, s13
; %bb.2336:                             ;   in Loop: Header=BB6_2062 Depth=3
	s_or_b32 exec_lo, exec_lo, s35
.LBB6_2337:                             ;   in Loop: Header=BB6_2062 Depth=3
	s_delay_alu instid0(SALU_CYCLE_1)
	s_or_b32 exec_lo, exec_lo, s15
.LBB6_2338:                             ;   in Loop: Header=BB6_2062 Depth=3
	v_lshrrev_b32_e32 v40, 16, v23
	v_lshrrev_b32_e32 v42, 16, v19
	v_perm_b32 v23, v19, v23, 0x7060302
	s_mov_b32 s15, -1
	s_and_not1_b32 vcc_lo, exec_lo, s34
	v_and_b32_e32 v43, 0x7fff, v40
	v_and_b32_e32 v41, 0x7fff, v42
                                        ; implicit-def: $vgpr19
	s_delay_alu instid0(VALU_DEP_2) | instskip(NEXT) | instid1(VALU_DEP_2)
	v_cmp_lt_u16_e64 s13, 0x7c00, v43
	v_cmp_gt_u16_e64 s14, 0x7c01, v41
	s_delay_alu instid0(VALU_DEP_1) | instskip(NEXT) | instid1(SALU_CYCLE_1)
	s_and_b32 s35, s13, s14
	s_xor_b32 s35, s35, -1
	s_cbranch_vccnz .LBB6_2344
; %bb.2339:                             ;   in Loop: Header=BB6_2062 Depth=3
	v_mov_b32_e32 v19, v42
	s_and_saveexec_b32 s36, s35
	s_cbranch_execz .LBB6_2343
; %bb.2340:                             ;   in Loop: Header=BB6_2062 Depth=3
	v_mov_b32_e32 v19, v40
	s_or_b32 s15, s13, s14
	s_delay_alu instid0(SALU_CYCLE_1)
	s_and_saveexec_b32 s37, s15
; %bb.2341:                             ;   in Loop: Header=BB6_2062 Depth=3
	v_lshrrev_b32_e32 v19, 16, v23
	v_cmp_lt_u16_e32 vcc_lo, 0x7c00, v41
	s_delay_alu instid0(VALU_DEP_2) | instskip(NEXT) | instid1(VALU_DEP_1)
	v_cmp_gt_f16_e64 s15, v23, v19
	v_cndmask_b32_e64 v19, v19, v23, s15
	s_and_b32 s15, s13, vcc_lo
	s_delay_alu instid0(VALU_DEP_1) | instid1(SALU_CYCLE_1)
	v_cndmask_b32_e64 v19, v19, 0x7fff, s15
; %bb.2342:                             ;   in Loop: Header=BB6_2062 Depth=3
	s_or_b32 exec_lo, exec_lo, s37
.LBB6_2343:                             ;   in Loop: Header=BB6_2062 Depth=3
	s_delay_alu instid0(SALU_CYCLE_1)
	s_or_b32 exec_lo, exec_lo, s36
	s_mov_b32 s15, 0
.LBB6_2344:                             ;   in Loop: Header=BB6_2062 Depth=3
	s_delay_alu instid0(SALU_CYCLE_1)
	s_and_not1_b32 vcc_lo, exec_lo, s15
	s_cbranch_vccnz .LBB6_2350
; %bb.2345:                             ;   in Loop: Header=BB6_2062 Depth=3
	s_and_saveexec_b32 s15, s35
	s_cbranch_execz .LBB6_2349
; %bb.2346:                             ;   in Loop: Header=BB6_2062 Depth=3
	s_or_b32 s14, s13, s14
	s_delay_alu instid0(SALU_CYCLE_1)
	s_and_saveexec_b32 s35, s14
; %bb.2347:                             ;   in Loop: Header=BB6_2062 Depth=3
	v_lshrrev_b32_e32 v19, 16, v23
	v_cmp_lt_u16_e32 vcc_lo, 0x7c00, v41
	s_delay_alu instid0(VALU_DEP_2) | instskip(SKIP_1) | instid1(VALU_DEP_1)
	v_cmp_gt_f16_e64 s14, v23, v19
	s_and_b32 s13, s13, vcc_lo
	v_cndmask_b32_e64 v19, v23, v19, s14
	s_delay_alu instid0(VALU_DEP_1)
	v_cndmask_b32_e64 v40, v19, 0x7fff, s13
; %bb.2348:                             ;   in Loop: Header=BB6_2062 Depth=3
	s_or_b32 exec_lo, exec_lo, s35
	s_delay_alu instid0(VALU_DEP_1)
	v_mov_b32_e32 v42, v40
.LBB6_2349:                             ;   in Loop: Header=BB6_2062 Depth=3
	s_or_b32 exec_lo, exec_lo, s15
	s_delay_alu instid0(VALU_DEP_1)
	v_mov_b32_e32 v19, v42
.LBB6_2350:                             ;   in Loop: Header=BB6_2062 Depth=3
	v_and_b32_e32 v23, 0x7fff, v12
	s_waitcnt vmcnt(0)
	v_and_b32_e32 v40, 0x7fff, v8
	v_perm_b32 v41, v8, v12, 0x5040100
	s_mov_b32 s15, -1
	s_and_not1_b32 vcc_lo, exec_lo, s34
	v_cmp_lt_u16_e64 s13, 0x7c00, v23
	v_cmp_gt_u16_e64 s14, 0x7c01, v40
                                        ; implicit-def: $vgpr23
	s_delay_alu instid0(VALU_DEP_1) | instskip(NEXT) | instid1(SALU_CYCLE_1)
	s_and_b32 s35, s13, s14
	s_xor_b32 s35, s35, -1
	s_cbranch_vccnz .LBB6_2356
; %bb.2351:                             ;   in Loop: Header=BB6_2062 Depth=3
	v_mov_b32_e32 v23, v8
	s_and_saveexec_b32 s36, s35
	s_cbranch_execz .LBB6_2355
; %bb.2352:                             ;   in Loop: Header=BB6_2062 Depth=3
	v_mov_b32_e32 v23, v12
	s_or_b32 s15, s13, s14
	s_delay_alu instid0(SALU_CYCLE_1)
	s_and_saveexec_b32 s37, s15
; %bb.2353:                             ;   in Loop: Header=BB6_2062 Depth=3
	v_lshrrev_b32_e32 v23, 16, v41
	v_cmp_lt_u16_e32 vcc_lo, 0x7c00, v40
	s_delay_alu instid0(VALU_DEP_2) | instskip(NEXT) | instid1(VALU_DEP_1)
	v_cmp_gt_f16_e64 s15, v41, v23
	v_cndmask_b32_e64 v23, v23, v41, s15
	s_and_b32 s15, s13, vcc_lo
	s_delay_alu instid0(VALU_DEP_1) | instid1(SALU_CYCLE_1)
	v_cndmask_b32_e64 v23, v23, 0x7fff, s15
; %bb.2354:                             ;   in Loop: Header=BB6_2062 Depth=3
	s_or_b32 exec_lo, exec_lo, s37
.LBB6_2355:                             ;   in Loop: Header=BB6_2062 Depth=3
	s_delay_alu instid0(SALU_CYCLE_1)
	s_or_b32 exec_lo, exec_lo, s36
	s_mov_b32 s15, 0
.LBB6_2356:                             ;   in Loop: Header=BB6_2062 Depth=3
	s_delay_alu instid0(SALU_CYCLE_1)
	s_and_not1_b32 vcc_lo, exec_lo, s15
	s_cbranch_vccnz .LBB6_2362
; %bb.2357:                             ;   in Loop: Header=BB6_2062 Depth=3
	v_mov_b32_e32 v23, v8
	s_and_saveexec_b32 s15, s35
	s_cbranch_execz .LBB6_2361
; %bb.2358:                             ;   in Loop: Header=BB6_2062 Depth=3
	v_mov_b32_e32 v23, v12
	s_or_b32 s14, s13, s14
	s_delay_alu instid0(SALU_CYCLE_1)
	s_and_saveexec_b32 s35, s14
; %bb.2359:                             ;   in Loop: Header=BB6_2062 Depth=3
	v_lshrrev_b32_e32 v23, 16, v41
	v_cmp_lt_u16_e32 vcc_lo, 0x7c00, v40
	s_delay_alu instid0(VALU_DEP_2) | instskip(SKIP_1) | instid1(VALU_DEP_1)
	v_cmp_gt_f16_e64 s14, v41, v23
	s_and_b32 s13, s13, vcc_lo
	v_cndmask_b32_e64 v23, v41, v23, s14
	s_delay_alu instid0(VALU_DEP_1)
	v_cndmask_b32_e64 v23, v23, 0x7fff, s13
; %bb.2360:                             ;   in Loop: Header=BB6_2062 Depth=3
	s_or_b32 exec_lo, exec_lo, s35
.LBB6_2361:                             ;   in Loop: Header=BB6_2062 Depth=3
	s_delay_alu instid0(SALU_CYCLE_1)
	s_or_b32 exec_lo, exec_lo, s15
.LBB6_2362:                             ;   in Loop: Header=BB6_2062 Depth=3
	v_mov_b32_e32 v43, v12
	v_lshrrev_b32_e32 v42, 16, v8
	s_mov_b32 s15, -1
	s_and_not1_b32 vcc_lo, exec_lo, s34
	s_delay_alu instid0(VALU_DEP_2) | instskip(NEXT) | instid1(VALU_DEP_2)
	v_lshrrev_b32_e32 v40, 16, v43
	v_and_b32_e32 v41, 0x7fff, v42
	s_delay_alu instid0(VALU_DEP_2) | instskip(NEXT) | instid1(VALU_DEP_1)
	v_and_b32_e32 v12, 0x7fff, v40
	v_cmp_lt_u16_e64 s13, 0x7c00, v12
	v_mov_b32_e32 v12, v13
	s_delay_alu instid0(VALU_DEP_4) | instskip(SKIP_2) | instid1(VALU_DEP_3)
	v_cmp_gt_u16_e64 s14, 0x7c01, v41
	v_mov_b32_e32 v13, v9
	v_perm_b32 v9, v8, v43, 0x7060302
                                        ; implicit-def: $vgpr8
	s_and_b32 s35, s13, s14
	s_delay_alu instid0(SALU_CYCLE_1)
	s_xor_b32 s35, s35, -1
	s_cbranch_vccnz .LBB6_2368
; %bb.2363:                             ;   in Loop: Header=BB6_2062 Depth=3
	v_mov_b32_e32 v8, v42
	s_and_saveexec_b32 s36, s35
	s_cbranch_execz .LBB6_2367
; %bb.2364:                             ;   in Loop: Header=BB6_2062 Depth=3
	v_mov_b32_e32 v8, v40
	s_or_b32 s15, s13, s14
	s_delay_alu instid0(SALU_CYCLE_1)
	s_and_saveexec_b32 s37, s15
; %bb.2365:                             ;   in Loop: Header=BB6_2062 Depth=3
	v_lshrrev_b32_e32 v8, 16, v9
	v_cmp_lt_u16_e32 vcc_lo, 0x7c00, v41
	s_delay_alu instid0(VALU_DEP_2) | instskip(NEXT) | instid1(VALU_DEP_1)
	v_cmp_gt_f16_e64 s15, v9, v8
	v_cndmask_b32_e64 v8, v8, v9, s15
	s_and_b32 s15, s13, vcc_lo
	s_delay_alu instid0(VALU_DEP_1) | instid1(SALU_CYCLE_1)
	v_cndmask_b32_e64 v8, v8, 0x7fff, s15
; %bb.2366:                             ;   in Loop: Header=BB6_2062 Depth=3
	s_or_b32 exec_lo, exec_lo, s37
.LBB6_2367:                             ;   in Loop: Header=BB6_2062 Depth=3
	s_delay_alu instid0(SALU_CYCLE_1)
	s_or_b32 exec_lo, exec_lo, s36
	s_mov_b32 s15, 0
.LBB6_2368:                             ;   in Loop: Header=BB6_2062 Depth=3
	s_delay_alu instid0(SALU_CYCLE_1)
	s_and_not1_b32 vcc_lo, exec_lo, s15
	s_cbranch_vccnz .LBB6_2374
; %bb.2369:                             ;   in Loop: Header=BB6_2062 Depth=3
	s_and_saveexec_b32 s15, s35
	s_cbranch_execz .LBB6_2373
; %bb.2370:                             ;   in Loop: Header=BB6_2062 Depth=3
	s_or_b32 s14, s13, s14
	s_delay_alu instid0(SALU_CYCLE_1)
	s_and_saveexec_b32 s35, s14
; %bb.2371:                             ;   in Loop: Header=BB6_2062 Depth=3
	v_lshrrev_b32_e32 v8, 16, v9
	v_cmp_lt_u16_e32 vcc_lo, 0x7c00, v41
	s_delay_alu instid0(VALU_DEP_2) | instskip(SKIP_1) | instid1(VALU_DEP_1)
	v_cmp_gt_f16_e64 s14, v9, v8
	s_and_b32 s13, s13, vcc_lo
	v_cndmask_b32_e64 v8, v9, v8, s14
	s_delay_alu instid0(VALU_DEP_1)
	v_cndmask_b32_e64 v40, v8, 0x7fff, s13
; %bb.2372:                             ;   in Loop: Header=BB6_2062 Depth=3
	s_or_b32 exec_lo, exec_lo, s35
	s_delay_alu instid0(VALU_DEP_1)
	v_mov_b32_e32 v42, v40
.LBB6_2373:                             ;   in Loop: Header=BB6_2062 Depth=3
	s_or_b32 exec_lo, exec_lo, s15
	s_delay_alu instid0(VALU_DEP_1)
	v_mov_b32_e32 v8, v42
.LBB6_2374:                             ;   in Loop: Header=BB6_2062 Depth=3
	v_and_b32_e32 v9, 0x7fff, v12
	v_and_b32_e32 v40, 0x7fff, v13
	v_perm_b32 v41, v13, v12, 0x5040100
	s_mov_b32 s15, -1
	s_and_not1_b32 vcc_lo, exec_lo, s34
	v_cmp_lt_u16_e64 s13, 0x7c00, v9
	v_cmp_gt_u16_e64 s14, 0x7c01, v40
                                        ; implicit-def: $vgpr9
	s_delay_alu instid0(VALU_DEP_1) | instskip(NEXT) | instid1(SALU_CYCLE_1)
	s_and_b32 s35, s13, s14
	s_xor_b32 s35, s35, -1
	s_cbranch_vccnz .LBB6_2380
; %bb.2375:                             ;   in Loop: Header=BB6_2062 Depth=3
	v_mov_b32_e32 v9, v13
	s_and_saveexec_b32 s36, s35
	s_cbranch_execz .LBB6_2379
; %bb.2376:                             ;   in Loop: Header=BB6_2062 Depth=3
	v_mov_b32_e32 v9, v12
	s_or_b32 s15, s13, s14
	s_delay_alu instid0(SALU_CYCLE_1)
	s_and_saveexec_b32 s37, s15
; %bb.2377:                             ;   in Loop: Header=BB6_2062 Depth=3
	v_lshrrev_b32_e32 v9, 16, v41
	v_cmp_lt_u16_e32 vcc_lo, 0x7c00, v40
	s_delay_alu instid0(VALU_DEP_2) | instskip(NEXT) | instid1(VALU_DEP_1)
	v_cmp_gt_f16_e64 s15, v41, v9
	v_cndmask_b32_e64 v9, v9, v41, s15
	s_and_b32 s15, s13, vcc_lo
	s_delay_alu instid0(VALU_DEP_1) | instid1(SALU_CYCLE_1)
	v_cndmask_b32_e64 v9, v9, 0x7fff, s15
; %bb.2378:                             ;   in Loop: Header=BB6_2062 Depth=3
	s_or_b32 exec_lo, exec_lo, s37
.LBB6_2379:                             ;   in Loop: Header=BB6_2062 Depth=3
	s_delay_alu instid0(SALU_CYCLE_1)
	s_or_b32 exec_lo, exec_lo, s36
	s_mov_b32 s15, 0
.LBB6_2380:                             ;   in Loop: Header=BB6_2062 Depth=3
	s_delay_alu instid0(SALU_CYCLE_1)
	s_and_not1_b32 vcc_lo, exec_lo, s15
	s_cbranch_vccnz .LBB6_2386
; %bb.2381:                             ;   in Loop: Header=BB6_2062 Depth=3
	v_mov_b32_e32 v9, v13
	s_and_saveexec_b32 s15, s35
	s_cbranch_execz .LBB6_2385
; %bb.2382:                             ;   in Loop: Header=BB6_2062 Depth=3
	v_mov_b32_e32 v9, v12
	s_or_b32 s14, s13, s14
	s_delay_alu instid0(SALU_CYCLE_1)
	s_and_saveexec_b32 s35, s14
; %bb.2383:                             ;   in Loop: Header=BB6_2062 Depth=3
	v_lshrrev_b32_e32 v9, 16, v41
	v_cmp_lt_u16_e32 vcc_lo, 0x7c00, v40
	s_delay_alu instid0(VALU_DEP_2) | instskip(SKIP_1) | instid1(VALU_DEP_1)
	v_cmp_gt_f16_e64 s14, v41, v9
	s_and_b32 s13, s13, vcc_lo
	v_cndmask_b32_e64 v9, v41, v9, s14
	s_delay_alu instid0(VALU_DEP_1)
	v_cndmask_b32_e64 v9, v9, 0x7fff, s13
; %bb.2384:                             ;   in Loop: Header=BB6_2062 Depth=3
	s_or_b32 exec_lo, exec_lo, s35
.LBB6_2385:                             ;   in Loop: Header=BB6_2062 Depth=3
	s_delay_alu instid0(SALU_CYCLE_1)
	s_or_b32 exec_lo, exec_lo, s15
.LBB6_2386:                             ;   in Loop: Header=BB6_2062 Depth=3
	v_lshrrev_b32_e32 v40, 16, v12
	v_lshrrev_b32_e32 v42, 16, v13
	v_perm_b32 v13, v13, v12, 0x7060302
	s_mov_b32 s15, -1
	s_and_not1_b32 vcc_lo, exec_lo, s34
	v_and_b32_e32 v43, 0x7fff, v40
	v_and_b32_e32 v41, 0x7fff, v42
                                        ; implicit-def: $vgpr12
	s_delay_alu instid0(VALU_DEP_2) | instskip(NEXT) | instid1(VALU_DEP_2)
	v_cmp_lt_u16_e64 s13, 0x7c00, v43
	v_cmp_gt_u16_e64 s14, 0x7c01, v41
	s_delay_alu instid0(VALU_DEP_1) | instskip(NEXT) | instid1(SALU_CYCLE_1)
	s_and_b32 s35, s13, s14
	s_xor_b32 s35, s35, -1
	s_cbranch_vccnz .LBB6_2392
; %bb.2387:                             ;   in Loop: Header=BB6_2062 Depth=3
	v_mov_b32_e32 v12, v42
	s_and_saveexec_b32 s36, s35
	s_cbranch_execz .LBB6_2391
; %bb.2388:                             ;   in Loop: Header=BB6_2062 Depth=3
	v_mov_b32_e32 v12, v40
	s_or_b32 s15, s13, s14
	s_delay_alu instid0(SALU_CYCLE_1)
	s_and_saveexec_b32 s37, s15
; %bb.2389:                             ;   in Loop: Header=BB6_2062 Depth=3
	v_lshrrev_b32_e32 v12, 16, v13
	v_cmp_lt_u16_e32 vcc_lo, 0x7c00, v41
	s_delay_alu instid0(VALU_DEP_2) | instskip(NEXT) | instid1(VALU_DEP_1)
	v_cmp_gt_f16_e64 s15, v13, v12
	v_cndmask_b32_e64 v12, v12, v13, s15
	s_and_b32 s15, s13, vcc_lo
	s_delay_alu instid0(VALU_DEP_1) | instid1(SALU_CYCLE_1)
	v_cndmask_b32_e64 v12, v12, 0x7fff, s15
; %bb.2390:                             ;   in Loop: Header=BB6_2062 Depth=3
	s_or_b32 exec_lo, exec_lo, s37
.LBB6_2391:                             ;   in Loop: Header=BB6_2062 Depth=3
	s_delay_alu instid0(SALU_CYCLE_1)
	s_or_b32 exec_lo, exec_lo, s36
	s_mov_b32 s15, 0
.LBB6_2392:                             ;   in Loop: Header=BB6_2062 Depth=3
	s_delay_alu instid0(SALU_CYCLE_1)
	s_and_not1_b32 vcc_lo, exec_lo, s15
	s_cbranch_vccnz .LBB6_2398
; %bb.2393:                             ;   in Loop: Header=BB6_2062 Depth=3
	s_and_saveexec_b32 s15, s35
	s_cbranch_execz .LBB6_2397
; %bb.2394:                             ;   in Loop: Header=BB6_2062 Depth=3
	s_or_b32 s14, s13, s14
	s_delay_alu instid0(SALU_CYCLE_1)
	s_and_saveexec_b32 s35, s14
; %bb.2395:                             ;   in Loop: Header=BB6_2062 Depth=3
	v_lshrrev_b32_e32 v12, 16, v13
	v_cmp_lt_u16_e32 vcc_lo, 0x7c00, v41
	s_delay_alu instid0(VALU_DEP_2) | instskip(SKIP_1) | instid1(VALU_DEP_1)
	v_cmp_gt_f16_e64 s14, v13, v12
	s_and_b32 s13, s13, vcc_lo
	v_cndmask_b32_e64 v12, v13, v12, s14
	s_delay_alu instid0(VALU_DEP_1)
	v_cndmask_b32_e64 v40, v12, 0x7fff, s13
; %bb.2396:                             ;   in Loop: Header=BB6_2062 Depth=3
	s_or_b32 exec_lo, exec_lo, s35
	s_delay_alu instid0(VALU_DEP_1)
	v_mov_b32_e32 v42, v40
.LBB6_2397:                             ;   in Loop: Header=BB6_2062 Depth=3
	s_or_b32 exec_lo, exec_lo, s15
	s_delay_alu instid0(VALU_DEP_1)
	v_mov_b32_e32 v12, v42
.LBB6_2398:                             ;   in Loop: Header=BB6_2062 Depth=3
	v_and_b32_e32 v13, 0x7fff, v14
	v_and_b32_e32 v40, 0x7fff, v10
	v_perm_b32 v41, v10, v14, 0x5040100
	s_mov_b32 s15, -1
	s_and_not1_b32 vcc_lo, exec_lo, s34
	v_cmp_lt_u16_e64 s13, 0x7c00, v13
	v_cmp_gt_u16_e64 s14, 0x7c01, v40
                                        ; implicit-def: $vgpr13
	s_delay_alu instid0(VALU_DEP_1) | instskip(NEXT) | instid1(SALU_CYCLE_1)
	s_and_b32 s35, s13, s14
	s_xor_b32 s35, s35, -1
	s_cbranch_vccnz .LBB6_2404
; %bb.2399:                             ;   in Loop: Header=BB6_2062 Depth=3
	v_mov_b32_e32 v13, v10
	s_and_saveexec_b32 s36, s35
	s_cbranch_execz .LBB6_2403
; %bb.2400:                             ;   in Loop: Header=BB6_2062 Depth=3
	v_mov_b32_e32 v13, v14
	s_or_b32 s15, s13, s14
	s_delay_alu instid0(SALU_CYCLE_1)
	s_and_saveexec_b32 s37, s15
; %bb.2401:                             ;   in Loop: Header=BB6_2062 Depth=3
	v_lshrrev_b32_e32 v13, 16, v41
	v_cmp_lt_u16_e32 vcc_lo, 0x7c00, v40
	s_delay_alu instid0(VALU_DEP_2) | instskip(NEXT) | instid1(VALU_DEP_1)
	v_cmp_gt_f16_e64 s15, v41, v13
	v_cndmask_b32_e64 v13, v13, v41, s15
	s_and_b32 s15, s13, vcc_lo
	s_delay_alu instid0(VALU_DEP_1) | instid1(SALU_CYCLE_1)
	v_cndmask_b32_e64 v13, v13, 0x7fff, s15
; %bb.2402:                             ;   in Loop: Header=BB6_2062 Depth=3
	s_or_b32 exec_lo, exec_lo, s37
.LBB6_2403:                             ;   in Loop: Header=BB6_2062 Depth=3
	s_delay_alu instid0(SALU_CYCLE_1)
	s_or_b32 exec_lo, exec_lo, s36
	s_mov_b32 s15, 0
.LBB6_2404:                             ;   in Loop: Header=BB6_2062 Depth=3
	s_delay_alu instid0(SALU_CYCLE_1)
	s_and_not1_b32 vcc_lo, exec_lo, s15
	s_cbranch_vccnz .LBB6_2410
; %bb.2405:                             ;   in Loop: Header=BB6_2062 Depth=3
	v_mov_b32_e32 v13, v10
	s_and_saveexec_b32 s15, s35
	s_cbranch_execz .LBB6_2409
; %bb.2406:                             ;   in Loop: Header=BB6_2062 Depth=3
	v_mov_b32_e32 v13, v14
	s_or_b32 s14, s13, s14
	s_delay_alu instid0(SALU_CYCLE_1)
	s_and_saveexec_b32 s35, s14
; %bb.2407:                             ;   in Loop: Header=BB6_2062 Depth=3
	v_lshrrev_b32_e32 v13, 16, v41
	v_cmp_lt_u16_e32 vcc_lo, 0x7c00, v40
	s_delay_alu instid0(VALU_DEP_2) | instskip(SKIP_1) | instid1(VALU_DEP_1)
	v_cmp_gt_f16_e64 s14, v41, v13
	s_and_b32 s13, s13, vcc_lo
	v_cndmask_b32_e64 v13, v41, v13, s14
	s_delay_alu instid0(VALU_DEP_1)
	v_cndmask_b32_e64 v13, v13, 0x7fff, s13
; %bb.2408:                             ;   in Loop: Header=BB6_2062 Depth=3
	s_or_b32 exec_lo, exec_lo, s35
.LBB6_2409:                             ;   in Loop: Header=BB6_2062 Depth=3
	s_delay_alu instid0(SALU_CYCLE_1)
	s_or_b32 exec_lo, exec_lo, s15
.LBB6_2410:                             ;   in Loop: Header=BB6_2062 Depth=3
	v_mov_b32_e32 v42, v14
	v_lshrrev_b32_e32 v41, 16, v10
	s_mov_b32 s15, -1
	s_and_not1_b32 vcc_lo, exec_lo, s34
	s_delay_alu instid0(VALU_DEP_2) | instskip(NEXT) | instid1(VALU_DEP_2)
	v_lshrrev_b32_e32 v14, 16, v42
	v_and_b32_e32 v40, 0x7fff, v41
	s_delay_alu instid0(VALU_DEP_2) | instskip(NEXT) | instid1(VALU_DEP_2)
	v_and_b32_e32 v43, 0x7fff, v14
	v_cmp_gt_u16_e64 s14, 0x7c01, v40
	v_perm_b32 v42, v10, v42, 0x7060302
                                        ; implicit-def: $vgpr10
	s_delay_alu instid0(VALU_DEP_3) | instskip(NEXT) | instid1(VALU_DEP_1)
	v_cmp_lt_u16_e64 s13, 0x7c00, v43
	s_and_b32 s35, s13, s14
	s_delay_alu instid0(SALU_CYCLE_1)
	s_xor_b32 s35, s35, -1
	s_cbranch_vccnz .LBB6_2416
; %bb.2411:                             ;   in Loop: Header=BB6_2062 Depth=3
	v_mov_b32_e32 v10, v41
	s_and_saveexec_b32 s36, s35
	s_cbranch_execz .LBB6_2415
; %bb.2412:                             ;   in Loop: Header=BB6_2062 Depth=3
	v_mov_b32_e32 v10, v14
	s_or_b32 s15, s13, s14
	s_delay_alu instid0(SALU_CYCLE_1)
	s_and_saveexec_b32 s37, s15
; %bb.2413:                             ;   in Loop: Header=BB6_2062 Depth=3
	v_lshrrev_b32_e32 v10, 16, v42
	v_cmp_lt_u16_e32 vcc_lo, 0x7c00, v40
	s_delay_alu instid0(VALU_DEP_2) | instskip(NEXT) | instid1(VALU_DEP_1)
	v_cmp_gt_f16_e64 s15, v42, v10
	v_cndmask_b32_e64 v10, v10, v42, s15
	s_and_b32 s15, s13, vcc_lo
	s_delay_alu instid0(VALU_DEP_1) | instid1(SALU_CYCLE_1)
	v_cndmask_b32_e64 v10, v10, 0x7fff, s15
; %bb.2414:                             ;   in Loop: Header=BB6_2062 Depth=3
	s_or_b32 exec_lo, exec_lo, s37
.LBB6_2415:                             ;   in Loop: Header=BB6_2062 Depth=3
	s_delay_alu instid0(SALU_CYCLE_1)
	s_or_b32 exec_lo, exec_lo, s36
	s_mov_b32 s15, 0
.LBB6_2416:                             ;   in Loop: Header=BB6_2062 Depth=3
	s_delay_alu instid0(SALU_CYCLE_1)
	s_and_not1_b32 vcc_lo, exec_lo, s15
	s_cbranch_vccnz .LBB6_2422
; %bb.2417:                             ;   in Loop: Header=BB6_2062 Depth=3
	s_and_saveexec_b32 s15, s35
	s_cbranch_execz .LBB6_2421
; %bb.2418:                             ;   in Loop: Header=BB6_2062 Depth=3
	s_or_b32 s14, s13, s14
	s_delay_alu instid0(SALU_CYCLE_1)
	s_and_saveexec_b32 s35, s14
; %bb.2419:                             ;   in Loop: Header=BB6_2062 Depth=3
	v_lshrrev_b32_e32 v10, 16, v42
	v_cmp_lt_u16_e32 vcc_lo, 0x7c00, v40
	s_delay_alu instid0(VALU_DEP_2) | instskip(SKIP_1) | instid1(VALU_DEP_1)
	v_cmp_gt_f16_e64 s14, v42, v10
	s_and_b32 s13, s13, vcc_lo
	v_cndmask_b32_e64 v10, v42, v10, s14
	s_delay_alu instid0(VALU_DEP_1)
	v_cndmask_b32_e64 v14, v10, 0x7fff, s13
; %bb.2420:                             ;   in Loop: Header=BB6_2062 Depth=3
	s_or_b32 exec_lo, exec_lo, s35
	s_delay_alu instid0(VALU_DEP_1)
	v_mov_b32_e32 v41, v14
.LBB6_2421:                             ;   in Loop: Header=BB6_2062 Depth=3
	s_or_b32 exec_lo, exec_lo, s15
	s_delay_alu instid0(VALU_DEP_1)
	v_mov_b32_e32 v10, v41
.LBB6_2422:                             ;   in Loop: Header=BB6_2062 Depth=3
	v_and_b32_e32 v14, 0x7fff, v15
	v_and_b32_e32 v40, 0x7fff, v11
	v_perm_b32 v41, v11, v15, 0x5040100
	s_mov_b32 s15, -1
	s_and_not1_b32 vcc_lo, exec_lo, s34
	v_cmp_lt_u16_e64 s13, 0x7c00, v14
	v_cmp_gt_u16_e64 s14, 0x7c01, v40
                                        ; implicit-def: $vgpr14
	s_delay_alu instid0(VALU_DEP_1) | instskip(NEXT) | instid1(SALU_CYCLE_1)
	s_and_b32 s35, s13, s14
	s_xor_b32 s35, s35, -1
	s_cbranch_vccnz .LBB6_2428
; %bb.2423:                             ;   in Loop: Header=BB6_2062 Depth=3
	v_mov_b32_e32 v14, v11
	s_and_saveexec_b32 s36, s35
	s_cbranch_execz .LBB6_2427
; %bb.2424:                             ;   in Loop: Header=BB6_2062 Depth=3
	v_mov_b32_e32 v14, v15
	s_or_b32 s15, s13, s14
	s_delay_alu instid0(SALU_CYCLE_1)
	s_and_saveexec_b32 s37, s15
; %bb.2425:                             ;   in Loop: Header=BB6_2062 Depth=3
	v_lshrrev_b32_e32 v14, 16, v41
	v_cmp_lt_u16_e32 vcc_lo, 0x7c00, v40
	s_delay_alu instid0(VALU_DEP_2) | instskip(NEXT) | instid1(VALU_DEP_1)
	v_cmp_gt_f16_e64 s15, v41, v14
	v_cndmask_b32_e64 v14, v14, v41, s15
	s_and_b32 s15, s13, vcc_lo
	s_delay_alu instid0(VALU_DEP_1) | instid1(SALU_CYCLE_1)
	v_cndmask_b32_e64 v14, v14, 0x7fff, s15
; %bb.2426:                             ;   in Loop: Header=BB6_2062 Depth=3
	s_or_b32 exec_lo, exec_lo, s37
.LBB6_2427:                             ;   in Loop: Header=BB6_2062 Depth=3
	s_delay_alu instid0(SALU_CYCLE_1)
	s_or_b32 exec_lo, exec_lo, s36
	s_mov_b32 s15, 0
.LBB6_2428:                             ;   in Loop: Header=BB6_2062 Depth=3
	s_delay_alu instid0(SALU_CYCLE_1)
	s_and_not1_b32 vcc_lo, exec_lo, s15
	s_cbranch_vccnz .LBB6_2434
; %bb.2429:                             ;   in Loop: Header=BB6_2062 Depth=3
	v_mov_b32_e32 v14, v11
	s_and_saveexec_b32 s15, s35
	s_cbranch_execz .LBB6_2433
; %bb.2430:                             ;   in Loop: Header=BB6_2062 Depth=3
	v_mov_b32_e32 v14, v15
	s_or_b32 s14, s13, s14
	s_delay_alu instid0(SALU_CYCLE_1)
	s_and_saveexec_b32 s35, s14
; %bb.2431:                             ;   in Loop: Header=BB6_2062 Depth=3
	v_lshrrev_b32_e32 v14, 16, v41
	v_cmp_lt_u16_e32 vcc_lo, 0x7c00, v40
	s_delay_alu instid0(VALU_DEP_2) | instskip(SKIP_1) | instid1(VALU_DEP_1)
	v_cmp_gt_f16_e64 s14, v41, v14
	s_and_b32 s13, s13, vcc_lo
	v_cndmask_b32_e64 v14, v41, v14, s14
	s_delay_alu instid0(VALU_DEP_1)
	v_cndmask_b32_e64 v14, v14, 0x7fff, s13
; %bb.2432:                             ;   in Loop: Header=BB6_2062 Depth=3
	s_or_b32 exec_lo, exec_lo, s35
.LBB6_2433:                             ;   in Loop: Header=BB6_2062 Depth=3
	s_delay_alu instid0(SALU_CYCLE_1)
	s_or_b32 exec_lo, exec_lo, s15
.LBB6_2434:                             ;   in Loop: Header=BB6_2062 Depth=3
	v_lshrrev_b32_e32 v40, 16, v15
	v_lshrrev_b32_e32 v42, 16, v11
	v_perm_b32 v15, v11, v15, 0x7060302
	s_mov_b32 s15, -1
	s_and_not1_b32 vcc_lo, exec_lo, s34
	v_and_b32_e32 v43, 0x7fff, v40
	v_and_b32_e32 v41, 0x7fff, v42
                                        ; implicit-def: $vgpr11
	s_delay_alu instid0(VALU_DEP_2) | instskip(NEXT) | instid1(VALU_DEP_2)
	v_cmp_lt_u16_e64 s13, 0x7c00, v43
	v_cmp_gt_u16_e64 s14, 0x7c01, v41
	s_delay_alu instid0(VALU_DEP_1) | instskip(NEXT) | instid1(SALU_CYCLE_1)
	s_and_b32 s35, s13, s14
	s_xor_b32 s35, s35, -1
	s_cbranch_vccnz .LBB6_2440
; %bb.2435:                             ;   in Loop: Header=BB6_2062 Depth=3
	v_mov_b32_e32 v11, v42
	s_and_saveexec_b32 s36, s35
	s_cbranch_execz .LBB6_2439
; %bb.2436:                             ;   in Loop: Header=BB6_2062 Depth=3
	v_mov_b32_e32 v11, v40
	s_or_b32 s15, s13, s14
	s_delay_alu instid0(SALU_CYCLE_1)
	s_and_saveexec_b32 s37, s15
; %bb.2437:                             ;   in Loop: Header=BB6_2062 Depth=3
	v_lshrrev_b32_e32 v11, 16, v15
	v_cmp_lt_u16_e32 vcc_lo, 0x7c00, v41
	s_delay_alu instid0(VALU_DEP_2) | instskip(NEXT) | instid1(VALU_DEP_1)
	v_cmp_gt_f16_e64 s15, v15, v11
	v_cndmask_b32_e64 v11, v11, v15, s15
	s_and_b32 s15, s13, vcc_lo
	s_delay_alu instid0(VALU_DEP_1) | instid1(SALU_CYCLE_1)
	v_cndmask_b32_e64 v11, v11, 0x7fff, s15
; %bb.2438:                             ;   in Loop: Header=BB6_2062 Depth=3
	s_or_b32 exec_lo, exec_lo, s37
.LBB6_2439:                             ;   in Loop: Header=BB6_2062 Depth=3
	s_delay_alu instid0(SALU_CYCLE_1)
	s_or_b32 exec_lo, exec_lo, s36
	s_mov_b32 s15, 0
.LBB6_2440:                             ;   in Loop: Header=BB6_2062 Depth=3
	s_delay_alu instid0(SALU_CYCLE_1)
	s_and_not1_b32 vcc_lo, exec_lo, s15
	s_cbranch_vccnz .LBB6_2061
; %bb.2441:                             ;   in Loop: Header=BB6_2062 Depth=3
	s_and_saveexec_b32 s15, s35
	s_cbranch_execz .LBB6_2060
; %bb.2442:                             ;   in Loop: Header=BB6_2062 Depth=3
	s_or_b32 s14, s13, s14
	s_delay_alu instid0(SALU_CYCLE_1)
	s_and_saveexec_b32 s35, s14
	s_cbranch_execz .LBB6_2059
; %bb.2443:                             ;   in Loop: Header=BB6_2062 Depth=3
	v_lshrrev_b32_e32 v11, 16, v15
	v_cmp_lt_u16_e32 vcc_lo, 0x7c00, v41
	s_delay_alu instid0(VALU_DEP_2) | instskip(SKIP_1) | instid1(VALU_DEP_1)
	v_cmp_gt_f16_e64 s14, v15, v11
	s_and_b32 s13, s13, vcc_lo
	v_cndmask_b32_e64 v11, v15, v11, s14
	s_delay_alu instid0(VALU_DEP_1)
	v_cndmask_b32_e64 v40, v11, 0x7fff, s13
	s_branch .LBB6_2059
.LBB6_2444:                             ;   in Loop: Header=BB6_1249 Depth=2
	s_or_b32 exec_lo, exec_lo, s31
.LBB6_2445:                             ;   in Loop: Header=BB6_1249 Depth=2
	s_delay_alu instid0(SALU_CYCLE_1) | instskip(SKIP_4) | instid1(VALU_DEP_2)
	s_or_b32 exec_lo, exec_lo, s16
	v_lshlrev_b32_e32 v22, 11, v130
	v_mov_b32_e32 v14, 0
	s_mov_b32 s13, 0
	s_mov_b32 s31, exec_lo
                                        ; implicit-def: $vgpr15
                                        ; implicit-def: $vgpr8
	v_cmpx_ne_u32_e64 v2, v22
	s_cbranch_execz .LBB6_2550
; %bb.2446:                             ;   in Loop: Header=BB6_1249 Depth=2
	v_lshlrev_b32_e32 v8, 5, v113
	v_sub_nc_u32_e32 v10, v2, v22
	s_mov_b32 s34, exec_lo
	s_delay_alu instid0(VALU_DEP_2) | instskip(NEXT) | instid1(VALU_DEP_2)
	v_sub_nc_u32_e32 v8, v144, v8
	v_ashrrev_i32_e32 v11, 31, v10
	s_delay_alu instid0(VALU_DEP_2) | instskip(NEXT) | instid1(VALU_DEP_2)
	v_ashrrev_i32_e32 v9, 31, v8
	v_lshrrev_b32_e32 v11, 23, v11
	s_delay_alu instid0(VALU_DEP_2) | instskip(NEXT) | instid1(VALU_DEP_2)
	v_lshrrev_b32_e32 v9, 27, v9
	v_add_nc_u32_e32 v11, v10, v11
	s_delay_alu instid0(VALU_DEP_2) | instskip(NEXT) | instid1(VALU_DEP_2)
	v_add_nc_u32_e32 v9, v8, v9
	v_and_b32_e32 v23, 0xfffffe00, v11
	v_ashrrev_i32_e32 v11, 9, v11
	s_delay_alu instid0(VALU_DEP_3) | instskip(NEXT) | instid1(VALU_DEP_3)
	v_and_b32_e32 v12, 0xffffffe0, v9
	v_sub_nc_u32_e32 v25, v10, v23
	v_ashrrev_i32_e32 v9, 5, v9
	s_delay_alu instid0(VALU_DEP_3) | instskip(NEXT) | instid1(VALU_DEP_3)
	v_sub_nc_u32_e32 v24, v8, v12
	v_cmp_lt_i32_e64 s13, 15, v25
	s_delay_alu instid0(VALU_DEP_2) | instskip(NEXT) | instid1(VALU_DEP_2)
	v_lshlrev_b32_e32 v8, 4, v24
	v_add_co_ci_u32_e64 v11, vcc_lo, 0, v11, s13
	s_delay_alu instid0(VALU_DEP_2) | instskip(NEXT) | instid1(VALU_DEP_2)
	v_lshl_add_u32 v8, v9, 9, v8
	v_sub_nc_u32_e32 v26, v11, v9
	s_delay_alu instid0(VALU_DEP_2) | instskip(NEXT) | instid1(VALU_DEP_1)
	v_sub_nc_u32_e32 v27, v10, v8
	v_cmpx_lt_i32_e32 15, v27
	s_cbranch_execz .LBB6_2547
; %bb.2447:                             ;   in Loop: Header=BB6_1249 Depth=2
	s_cbranch_execnz .LBB6_3897
; %bb.2448:                             ;   in Loop: Header=BB6_1249 Depth=2
	ds_load_b128 v[9:12], v0
	ds_load_b64 v[13:14], v0
	v_add_nc_u32_e32 v8, v8, v22
	s_bitcmp1_b32 s30, 0
	s_mov_b32 s35, 0
	s_cselect_b32 s36, -1, 0
	s_delay_alu instid0(VALU_DEP_1) | instskip(SKIP_2) | instid1(VALU_DEP_2)
	v_ashrrev_i32_e32 v15, 31, v8
	s_waitcnt lgkmcnt(1)
	v_add_co_u32 v16, vcc_lo, v9, v8
	v_add_co_ci_u32_e32 v17, vcc_lo, v10, v15, vcc_lo
	v_add_co_u32 v18, vcc_lo, v11, v8
	v_add_co_ci_u32_e32 v19, vcc_lo, v12, v15, vcc_lo
	s_waitcnt lgkmcnt(0)
	v_add_co_u32 v20, vcc_lo, v13, v8
	v_add_co_ci_u32_e32 v21, vcc_lo, v14, v15, vcc_lo
	s_branch .LBB6_2452
.LBB6_2449:                             ;   in Loop: Header=BB6_2452 Depth=3
	s_or_b32 exec_lo, exec_lo, s37
	s_delay_alu instid0(VALU_DEP_1)
	v_mov_b32_e32 v35, v33
.LBB6_2450:                             ;   in Loop: Header=BB6_2452 Depth=3
	s_or_b32 exec_lo, exec_lo, s16
	s_delay_alu instid0(VALU_DEP_1)
	v_mov_b32_e32 v15, v35
.LBB6_2451:                             ;   in Loop: Header=BB6_2452 Depth=3
	v_lshlrev_b32_e32 v8, 16, v8
	v_and_b32_e32 v11, 0xffff, v32
	v_lshlrev_b32_e32 v14, 16, v14
	v_and_b32_e32 v13, 0xffff, v13
	v_lshlrev_b32_e32 v12, 16, v12
	v_and_b32_e32 v9, 0xffff, v9
	v_or_b32_e32 v8, v8, v11
	v_lshlrev_b32_e32 v11, 16, v15
	v_and_b32_e32 v10, 0xffff, v10
	v_or_b32_e32 v13, v14, v13
	v_add_co_u32 v16, vcc_lo, v16, v162
	v_or3_b32 v9, v12, v9, 0
	v_or3_b32 v8, 0, 0, v8
	;; [unrolled: 1-line block ×4, first 2 shown]
	v_sub_nc_u32_e32 v27, v27, v147
	v_add_co_ci_u32_e32 v17, vcc_lo, v17, v163, vcc_lo
	v_add_co_u32 v18, vcc_lo, v18, v162
	v_add_co_ci_u32_e32 v19, vcc_lo, v19, v163, vcc_lo
	global_store_b128 v[20:21], v[8:11], off glc slc dlc
	v_cmp_gt_i32_e32 vcc_lo, 16, v27
	v_add_co_u32 v20, s14, v20, v162
	s_delay_alu instid0(VALU_DEP_1) | instskip(SKIP_2) | instid1(SALU_CYCLE_1)
	v_add_co_ci_u32_e64 v21, s14, v21, v163, s14
	v_sub_nc_u32_e32 v26, v26, v145
	s_or_b32 s35, vcc_lo, s35
	s_and_not1_b32 exec_lo, exec_lo, s35
	s_cbranch_execz .LBB6_2546
.LBB6_2452:                             ;   Parent Loop BB6_51 Depth=1
                                        ;     Parent Loop BB6_1249 Depth=2
                                        ; =>    This Inner Loop Header: Depth=3
	global_load_b128 v[12:15], v[16:17], off slc dlc
	global_load_b128 v[8:11], v[18:19], off slc dlc
	s_mov_b32 s16, -1
	s_and_b32 vcc_lo, exec_lo, s36
	s_waitcnt vmcnt(1)
	v_and_b32_e32 v32, 0x7fff, v12
	s_waitcnt vmcnt(0)
	v_and_b32_e32 v33, 0x7fff, v8
	v_perm_b32 v34, v8, v12, 0x5040100
	s_delay_alu instid0(VALU_DEP_3) | instskip(NEXT) | instid1(VALU_DEP_3)
	v_cmp_lt_u16_e64 s14, 0x7c00, v32
	v_cmp_gt_u16_e64 s15, 0x7c01, v33
                                        ; implicit-def: $vgpr32
	s_delay_alu instid0(VALU_DEP_1) | instskip(NEXT) | instid1(SALU_CYCLE_1)
	s_and_b32 s37, s14, s15
	s_xor_b32 s37, s37, -1
	s_cbranch_vccz .LBB6_2458
; %bb.2453:                             ;   in Loop: Header=BB6_2452 Depth=3
	v_mov_b32_e32 v32, v8
	s_and_saveexec_b32 s38, s37
	s_cbranch_execz .LBB6_2457
; %bb.2454:                             ;   in Loop: Header=BB6_2452 Depth=3
	v_mov_b32_e32 v32, v12
	s_or_b32 s16, s14, s15
	s_delay_alu instid0(SALU_CYCLE_1)
	s_and_saveexec_b32 s39, s16
; %bb.2455:                             ;   in Loop: Header=BB6_2452 Depth=3
	v_lshrrev_b32_e32 v32, 16, v34
	v_cmp_lt_u16_e32 vcc_lo, 0x7c00, v33
	s_delay_alu instid0(VALU_DEP_2) | instskip(NEXT) | instid1(VALU_DEP_1)
	v_cmp_gt_f16_e64 s16, v34, v32
	v_cndmask_b32_e64 v32, v32, v34, s16
	s_and_b32 s16, s14, vcc_lo
	s_delay_alu instid0(VALU_DEP_1) | instid1(SALU_CYCLE_1)
	v_cndmask_b32_e64 v32, v32, 0x7fff, s16
; %bb.2456:                             ;   in Loop: Header=BB6_2452 Depth=3
	s_or_b32 exec_lo, exec_lo, s39
.LBB6_2457:                             ;   in Loop: Header=BB6_2452 Depth=3
	s_delay_alu instid0(SALU_CYCLE_1)
	s_or_b32 exec_lo, exec_lo, s38
	s_mov_b32 s16, 0
.LBB6_2458:                             ;   in Loop: Header=BB6_2452 Depth=3
	s_delay_alu instid0(SALU_CYCLE_1)
	s_and_not1_b32 vcc_lo, exec_lo, s16
	s_cbranch_vccnz .LBB6_2464
; %bb.2459:                             ;   in Loop: Header=BB6_2452 Depth=3
	v_mov_b32_e32 v32, v8
	s_and_saveexec_b32 s16, s37
	s_cbranch_execz .LBB6_2463
; %bb.2460:                             ;   in Loop: Header=BB6_2452 Depth=3
	v_mov_b32_e32 v32, v12
	s_or_b32 s15, s14, s15
	s_delay_alu instid0(SALU_CYCLE_1)
	s_and_saveexec_b32 s37, s15
; %bb.2461:                             ;   in Loop: Header=BB6_2452 Depth=3
	v_lshrrev_b32_e32 v32, 16, v34
	v_cmp_lt_u16_e32 vcc_lo, 0x7c00, v33
	s_delay_alu instid0(VALU_DEP_2) | instskip(SKIP_1) | instid1(VALU_DEP_1)
	v_cmp_gt_f16_e64 s15, v34, v32
	s_and_b32 s14, s14, vcc_lo
	v_cndmask_b32_e64 v32, v34, v32, s15
	s_delay_alu instid0(VALU_DEP_1)
	v_cndmask_b32_e64 v32, v32, 0x7fff, s14
; %bb.2462:                             ;   in Loop: Header=BB6_2452 Depth=3
	s_or_b32 exec_lo, exec_lo, s37
.LBB6_2463:                             ;   in Loop: Header=BB6_2452 Depth=3
	s_delay_alu instid0(SALU_CYCLE_1)
	s_or_b32 exec_lo, exec_lo, s16
.LBB6_2464:                             ;   in Loop: Header=BB6_2452 Depth=3
	v_mov_b32_e32 v36, v12
	v_mov_b32_e32 v12, v13
	;; [unrolled: 1-line block ×3, first 2 shown]
	s_mov_b32 s16, -1
	s_and_b32 vcc_lo, exec_lo, s36
	v_lshrrev_b32_e32 v33, 16, v36
	s_delay_alu instid0(VALU_DEP_1) | instskip(NEXT) | instid1(VALU_DEP_1)
	v_dual_mov_b32 v37, v8 :: v_dual_and_b32 v8, 0x7fff, v33
	v_lshrrev_b32_e32 v35, 16, v37
	v_perm_b32 v9, v37, v36, 0x7060302
	s_delay_alu instid0(VALU_DEP_3) | instskip(NEXT) | instid1(VALU_DEP_3)
	v_cmp_lt_u16_e64 s14, 0x7c00, v8
	v_and_b32_e32 v34, 0x7fff, v35
                                        ; implicit-def: $vgpr8
	s_delay_alu instid0(VALU_DEP_1) | instskip(NEXT) | instid1(VALU_DEP_1)
	v_cmp_gt_u16_e64 s15, 0x7c01, v34
	s_and_b32 s37, s14, s15
	s_delay_alu instid0(SALU_CYCLE_1)
	s_xor_b32 s37, s37, -1
	s_cbranch_vccz .LBB6_2470
; %bb.2465:                             ;   in Loop: Header=BB6_2452 Depth=3
	v_mov_b32_e32 v8, v35
	s_and_saveexec_b32 s38, s37
	s_cbranch_execz .LBB6_2469
; %bb.2466:                             ;   in Loop: Header=BB6_2452 Depth=3
	v_mov_b32_e32 v8, v33
	s_or_b32 s16, s14, s15
	s_delay_alu instid0(SALU_CYCLE_1)
	s_and_saveexec_b32 s39, s16
; %bb.2467:                             ;   in Loop: Header=BB6_2452 Depth=3
	v_lshrrev_b32_e32 v8, 16, v9
	v_cmp_lt_u16_e32 vcc_lo, 0x7c00, v34
	s_delay_alu instid0(VALU_DEP_2) | instskip(NEXT) | instid1(VALU_DEP_1)
	v_cmp_gt_f16_e64 s16, v9, v8
	v_cndmask_b32_e64 v8, v8, v9, s16
	s_and_b32 s16, s14, vcc_lo
	s_delay_alu instid0(VALU_DEP_1) | instid1(SALU_CYCLE_1)
	v_cndmask_b32_e64 v8, v8, 0x7fff, s16
; %bb.2468:                             ;   in Loop: Header=BB6_2452 Depth=3
	s_or_b32 exec_lo, exec_lo, s39
.LBB6_2469:                             ;   in Loop: Header=BB6_2452 Depth=3
	s_delay_alu instid0(SALU_CYCLE_1)
	s_or_b32 exec_lo, exec_lo, s38
	s_mov_b32 s16, 0
.LBB6_2470:                             ;   in Loop: Header=BB6_2452 Depth=3
	s_delay_alu instid0(SALU_CYCLE_1)
	s_and_not1_b32 vcc_lo, exec_lo, s16
	s_cbranch_vccnz .LBB6_2476
; %bb.2471:                             ;   in Loop: Header=BB6_2452 Depth=3
	s_and_saveexec_b32 s16, s37
	s_cbranch_execz .LBB6_2475
; %bb.2472:                             ;   in Loop: Header=BB6_2452 Depth=3
	s_or_b32 s15, s14, s15
	s_delay_alu instid0(SALU_CYCLE_1)
	s_and_saveexec_b32 s37, s15
; %bb.2473:                             ;   in Loop: Header=BB6_2452 Depth=3
	v_lshrrev_b32_e32 v8, 16, v9
	v_cmp_lt_u16_e32 vcc_lo, 0x7c00, v34
	s_delay_alu instid0(VALU_DEP_2) | instskip(SKIP_1) | instid1(VALU_DEP_1)
	v_cmp_gt_f16_e64 s15, v9, v8
	s_and_b32 s14, s14, vcc_lo
	v_cndmask_b32_e64 v8, v9, v8, s15
	s_delay_alu instid0(VALU_DEP_1)
	v_cndmask_b32_e64 v33, v8, 0x7fff, s14
; %bb.2474:                             ;   in Loop: Header=BB6_2452 Depth=3
	s_or_b32 exec_lo, exec_lo, s37
	s_delay_alu instid0(VALU_DEP_1)
	v_mov_b32_e32 v35, v33
.LBB6_2475:                             ;   in Loop: Header=BB6_2452 Depth=3
	s_or_b32 exec_lo, exec_lo, s16
	s_delay_alu instid0(VALU_DEP_1)
	v_mov_b32_e32 v8, v35
.LBB6_2476:                             ;   in Loop: Header=BB6_2452 Depth=3
	v_and_b32_e32 v9, 0x7fff, v12
	v_and_b32_e32 v33, 0x7fff, v13
	v_perm_b32 v34, v13, v12, 0x5040100
	s_mov_b32 s16, -1
	s_and_b32 vcc_lo, exec_lo, s36
	v_cmp_lt_u16_e64 s14, 0x7c00, v9
	v_cmp_gt_u16_e64 s15, 0x7c01, v33
                                        ; implicit-def: $vgpr9
	s_delay_alu instid0(VALU_DEP_1) | instskip(NEXT) | instid1(SALU_CYCLE_1)
	s_and_b32 s37, s14, s15
	s_xor_b32 s37, s37, -1
	s_cbranch_vccz .LBB6_2482
; %bb.2477:                             ;   in Loop: Header=BB6_2452 Depth=3
	v_mov_b32_e32 v9, v13
	s_and_saveexec_b32 s38, s37
	s_cbranch_execz .LBB6_2481
; %bb.2478:                             ;   in Loop: Header=BB6_2452 Depth=3
	v_mov_b32_e32 v9, v12
	s_or_b32 s16, s14, s15
	s_delay_alu instid0(SALU_CYCLE_1)
	s_and_saveexec_b32 s39, s16
; %bb.2479:                             ;   in Loop: Header=BB6_2452 Depth=3
	v_lshrrev_b32_e32 v9, 16, v34
	v_cmp_lt_u16_e32 vcc_lo, 0x7c00, v33
	s_delay_alu instid0(VALU_DEP_2) | instskip(NEXT) | instid1(VALU_DEP_1)
	v_cmp_gt_f16_e64 s16, v34, v9
	v_cndmask_b32_e64 v9, v9, v34, s16
	s_and_b32 s16, s14, vcc_lo
	s_delay_alu instid0(VALU_DEP_1) | instid1(SALU_CYCLE_1)
	v_cndmask_b32_e64 v9, v9, 0x7fff, s16
; %bb.2480:                             ;   in Loop: Header=BB6_2452 Depth=3
	s_or_b32 exec_lo, exec_lo, s39
.LBB6_2481:                             ;   in Loop: Header=BB6_2452 Depth=3
	s_delay_alu instid0(SALU_CYCLE_1)
	s_or_b32 exec_lo, exec_lo, s38
	s_mov_b32 s16, 0
.LBB6_2482:                             ;   in Loop: Header=BB6_2452 Depth=3
	s_delay_alu instid0(SALU_CYCLE_1)
	s_and_not1_b32 vcc_lo, exec_lo, s16
	s_cbranch_vccnz .LBB6_2488
; %bb.2483:                             ;   in Loop: Header=BB6_2452 Depth=3
	v_mov_b32_e32 v9, v13
	s_and_saveexec_b32 s16, s37
	s_cbranch_execz .LBB6_2487
; %bb.2484:                             ;   in Loop: Header=BB6_2452 Depth=3
	v_mov_b32_e32 v9, v12
	s_or_b32 s15, s14, s15
	s_delay_alu instid0(SALU_CYCLE_1)
	s_and_saveexec_b32 s37, s15
; %bb.2485:                             ;   in Loop: Header=BB6_2452 Depth=3
	v_lshrrev_b32_e32 v9, 16, v34
	v_cmp_lt_u16_e32 vcc_lo, 0x7c00, v33
	s_delay_alu instid0(VALU_DEP_2) | instskip(SKIP_1) | instid1(VALU_DEP_1)
	v_cmp_gt_f16_e64 s15, v34, v9
	s_and_b32 s14, s14, vcc_lo
	v_cndmask_b32_e64 v9, v34, v9, s15
	s_delay_alu instid0(VALU_DEP_1)
	v_cndmask_b32_e64 v9, v9, 0x7fff, s14
; %bb.2486:                             ;   in Loop: Header=BB6_2452 Depth=3
	s_or_b32 exec_lo, exec_lo, s37
.LBB6_2487:                             ;   in Loop: Header=BB6_2452 Depth=3
	s_delay_alu instid0(SALU_CYCLE_1)
	s_or_b32 exec_lo, exec_lo, s16
.LBB6_2488:                             ;   in Loop: Header=BB6_2452 Depth=3
	v_lshrrev_b32_e32 v33, 16, v12
	v_lshrrev_b32_e32 v35, 16, v13
	v_perm_b32 v13, v13, v12, 0x7060302
	s_mov_b32 s16, -1
	s_and_b32 vcc_lo, exec_lo, s36
	v_and_b32_e32 v36, 0x7fff, v33
	v_and_b32_e32 v34, 0x7fff, v35
                                        ; implicit-def: $vgpr12
	s_delay_alu instid0(VALU_DEP_2) | instskip(NEXT) | instid1(VALU_DEP_2)
	v_cmp_lt_u16_e64 s14, 0x7c00, v36
	v_cmp_gt_u16_e64 s15, 0x7c01, v34
	s_delay_alu instid0(VALU_DEP_1) | instskip(NEXT) | instid1(SALU_CYCLE_1)
	s_and_b32 s37, s14, s15
	s_xor_b32 s37, s37, -1
	s_cbranch_vccz .LBB6_2494
; %bb.2489:                             ;   in Loop: Header=BB6_2452 Depth=3
	v_mov_b32_e32 v12, v35
	s_and_saveexec_b32 s38, s37
	s_cbranch_execz .LBB6_2493
; %bb.2490:                             ;   in Loop: Header=BB6_2452 Depth=3
	v_mov_b32_e32 v12, v33
	s_or_b32 s16, s14, s15
	s_delay_alu instid0(SALU_CYCLE_1)
	s_and_saveexec_b32 s39, s16
; %bb.2491:                             ;   in Loop: Header=BB6_2452 Depth=3
	v_lshrrev_b32_e32 v12, 16, v13
	v_cmp_lt_u16_e32 vcc_lo, 0x7c00, v34
	s_delay_alu instid0(VALU_DEP_2) | instskip(NEXT) | instid1(VALU_DEP_1)
	v_cmp_gt_f16_e64 s16, v13, v12
	v_cndmask_b32_e64 v12, v12, v13, s16
	s_and_b32 s16, s14, vcc_lo
	s_delay_alu instid0(VALU_DEP_1) | instid1(SALU_CYCLE_1)
	v_cndmask_b32_e64 v12, v12, 0x7fff, s16
; %bb.2492:                             ;   in Loop: Header=BB6_2452 Depth=3
	s_or_b32 exec_lo, exec_lo, s39
.LBB6_2493:                             ;   in Loop: Header=BB6_2452 Depth=3
	s_delay_alu instid0(SALU_CYCLE_1)
	s_or_b32 exec_lo, exec_lo, s38
	s_mov_b32 s16, 0
.LBB6_2494:                             ;   in Loop: Header=BB6_2452 Depth=3
	s_delay_alu instid0(SALU_CYCLE_1)
	s_and_not1_b32 vcc_lo, exec_lo, s16
	s_cbranch_vccnz .LBB6_2500
; %bb.2495:                             ;   in Loop: Header=BB6_2452 Depth=3
	s_and_saveexec_b32 s16, s37
	s_cbranch_execz .LBB6_2499
; %bb.2496:                             ;   in Loop: Header=BB6_2452 Depth=3
	s_or_b32 s15, s14, s15
	s_delay_alu instid0(SALU_CYCLE_1)
	s_and_saveexec_b32 s37, s15
; %bb.2497:                             ;   in Loop: Header=BB6_2452 Depth=3
	v_lshrrev_b32_e32 v12, 16, v13
	v_cmp_lt_u16_e32 vcc_lo, 0x7c00, v34
	s_delay_alu instid0(VALU_DEP_2) | instskip(SKIP_1) | instid1(VALU_DEP_1)
	v_cmp_gt_f16_e64 s15, v13, v12
	s_and_b32 s14, s14, vcc_lo
	v_cndmask_b32_e64 v12, v13, v12, s15
	s_delay_alu instid0(VALU_DEP_1)
	v_cndmask_b32_e64 v33, v12, 0x7fff, s14
; %bb.2498:                             ;   in Loop: Header=BB6_2452 Depth=3
	s_or_b32 exec_lo, exec_lo, s37
	s_delay_alu instid0(VALU_DEP_1)
	v_mov_b32_e32 v35, v33
.LBB6_2499:                             ;   in Loop: Header=BB6_2452 Depth=3
	s_or_b32 exec_lo, exec_lo, s16
	s_delay_alu instid0(VALU_DEP_1)
	v_mov_b32_e32 v12, v35
.LBB6_2500:                             ;   in Loop: Header=BB6_2452 Depth=3
	v_and_b32_e32 v13, 0x7fff, v14
	v_and_b32_e32 v33, 0x7fff, v10
	v_perm_b32 v34, v10, v14, 0x5040100
	s_mov_b32 s16, -1
	s_and_b32 vcc_lo, exec_lo, s36
	v_cmp_lt_u16_e64 s14, 0x7c00, v13
	v_cmp_gt_u16_e64 s15, 0x7c01, v33
                                        ; implicit-def: $vgpr13
	s_delay_alu instid0(VALU_DEP_1) | instskip(NEXT) | instid1(SALU_CYCLE_1)
	s_and_b32 s37, s14, s15
	s_xor_b32 s37, s37, -1
	s_cbranch_vccz .LBB6_2506
; %bb.2501:                             ;   in Loop: Header=BB6_2452 Depth=3
	v_mov_b32_e32 v13, v10
	s_and_saveexec_b32 s38, s37
	s_cbranch_execz .LBB6_2505
; %bb.2502:                             ;   in Loop: Header=BB6_2452 Depth=3
	v_mov_b32_e32 v13, v14
	s_or_b32 s16, s14, s15
	s_delay_alu instid0(SALU_CYCLE_1)
	s_and_saveexec_b32 s39, s16
; %bb.2503:                             ;   in Loop: Header=BB6_2452 Depth=3
	v_lshrrev_b32_e32 v13, 16, v34
	v_cmp_lt_u16_e32 vcc_lo, 0x7c00, v33
	s_delay_alu instid0(VALU_DEP_2) | instskip(NEXT) | instid1(VALU_DEP_1)
	v_cmp_gt_f16_e64 s16, v34, v13
	v_cndmask_b32_e64 v13, v13, v34, s16
	s_and_b32 s16, s14, vcc_lo
	s_delay_alu instid0(VALU_DEP_1) | instid1(SALU_CYCLE_1)
	v_cndmask_b32_e64 v13, v13, 0x7fff, s16
; %bb.2504:                             ;   in Loop: Header=BB6_2452 Depth=3
	s_or_b32 exec_lo, exec_lo, s39
.LBB6_2505:                             ;   in Loop: Header=BB6_2452 Depth=3
	s_delay_alu instid0(SALU_CYCLE_1)
	s_or_b32 exec_lo, exec_lo, s38
	s_mov_b32 s16, 0
.LBB6_2506:                             ;   in Loop: Header=BB6_2452 Depth=3
	s_delay_alu instid0(SALU_CYCLE_1)
	s_and_not1_b32 vcc_lo, exec_lo, s16
	s_cbranch_vccnz .LBB6_2512
; %bb.2507:                             ;   in Loop: Header=BB6_2452 Depth=3
	v_mov_b32_e32 v13, v10
	s_and_saveexec_b32 s16, s37
	s_cbranch_execz .LBB6_2511
; %bb.2508:                             ;   in Loop: Header=BB6_2452 Depth=3
	v_mov_b32_e32 v13, v14
	s_or_b32 s15, s14, s15
	s_delay_alu instid0(SALU_CYCLE_1)
	s_and_saveexec_b32 s37, s15
; %bb.2509:                             ;   in Loop: Header=BB6_2452 Depth=3
	v_lshrrev_b32_e32 v13, 16, v34
	v_cmp_lt_u16_e32 vcc_lo, 0x7c00, v33
	s_delay_alu instid0(VALU_DEP_2) | instskip(SKIP_1) | instid1(VALU_DEP_1)
	v_cmp_gt_f16_e64 s15, v34, v13
	s_and_b32 s14, s14, vcc_lo
	v_cndmask_b32_e64 v13, v34, v13, s15
	s_delay_alu instid0(VALU_DEP_1)
	v_cndmask_b32_e64 v13, v13, 0x7fff, s14
; %bb.2510:                             ;   in Loop: Header=BB6_2452 Depth=3
	s_or_b32 exec_lo, exec_lo, s37
.LBB6_2511:                             ;   in Loop: Header=BB6_2452 Depth=3
	s_delay_alu instid0(SALU_CYCLE_1)
	s_or_b32 exec_lo, exec_lo, s16
.LBB6_2512:                             ;   in Loop: Header=BB6_2452 Depth=3
	v_mov_b32_e32 v36, v14
	v_lshrrev_b32_e32 v35, 16, v10
	s_mov_b32 s16, -1
	s_and_b32 vcc_lo, exec_lo, s36
	s_delay_alu instid0(VALU_DEP_2) | instskip(NEXT) | instid1(VALU_DEP_2)
	v_lshrrev_b32_e32 v33, 16, v36
	v_and_b32_e32 v34, 0x7fff, v35
	v_perm_b32 v10, v10, v36, 0x7060302
	s_delay_alu instid0(VALU_DEP_3) | instskip(NEXT) | instid1(VALU_DEP_3)
	v_and_b32_e32 v14, 0x7fff, v33
	v_cmp_gt_u16_e64 s15, 0x7c01, v34
	s_delay_alu instid0(VALU_DEP_2) | instskip(NEXT) | instid1(VALU_DEP_1)
	v_cmp_lt_u16_e64 s14, 0x7c00, v14
                                        ; implicit-def: $vgpr14
	s_and_b32 s37, s14, s15
	s_delay_alu instid0(SALU_CYCLE_1)
	s_xor_b32 s37, s37, -1
	s_cbranch_vccz .LBB6_2518
; %bb.2513:                             ;   in Loop: Header=BB6_2452 Depth=3
	v_mov_b32_e32 v14, v35
	s_and_saveexec_b32 s38, s37
	s_cbranch_execz .LBB6_2517
; %bb.2514:                             ;   in Loop: Header=BB6_2452 Depth=3
	v_mov_b32_e32 v14, v33
	s_or_b32 s16, s14, s15
	s_delay_alu instid0(SALU_CYCLE_1)
	s_and_saveexec_b32 s39, s16
; %bb.2515:                             ;   in Loop: Header=BB6_2452 Depth=3
	v_lshrrev_b32_e32 v14, 16, v10
	v_cmp_lt_u16_e32 vcc_lo, 0x7c00, v34
	s_delay_alu instid0(VALU_DEP_2) | instskip(NEXT) | instid1(VALU_DEP_1)
	v_cmp_gt_f16_e64 s16, v10, v14
	v_cndmask_b32_e64 v14, v14, v10, s16
	s_and_b32 s16, s14, vcc_lo
	s_delay_alu instid0(VALU_DEP_1) | instid1(SALU_CYCLE_1)
	v_cndmask_b32_e64 v14, v14, 0x7fff, s16
; %bb.2516:                             ;   in Loop: Header=BB6_2452 Depth=3
	s_or_b32 exec_lo, exec_lo, s39
.LBB6_2517:                             ;   in Loop: Header=BB6_2452 Depth=3
	s_delay_alu instid0(SALU_CYCLE_1)
	s_or_b32 exec_lo, exec_lo, s38
	s_mov_b32 s16, 0
.LBB6_2518:                             ;   in Loop: Header=BB6_2452 Depth=3
	s_delay_alu instid0(SALU_CYCLE_1)
	s_and_not1_b32 vcc_lo, exec_lo, s16
	s_cbranch_vccnz .LBB6_2524
; %bb.2519:                             ;   in Loop: Header=BB6_2452 Depth=3
	s_and_saveexec_b32 s16, s37
	s_cbranch_execz .LBB6_2523
; %bb.2520:                             ;   in Loop: Header=BB6_2452 Depth=3
	s_or_b32 s15, s14, s15
	s_delay_alu instid0(SALU_CYCLE_1)
	s_and_saveexec_b32 s37, s15
; %bb.2521:                             ;   in Loop: Header=BB6_2452 Depth=3
	v_lshrrev_b32_e32 v14, 16, v10
	v_cmp_lt_u16_e32 vcc_lo, 0x7c00, v34
	s_delay_alu instid0(VALU_DEP_2) | instskip(SKIP_1) | instid1(VALU_DEP_1)
	v_cmp_gt_f16_e64 s15, v10, v14
	s_and_b32 s14, s14, vcc_lo
	v_cndmask_b32_e64 v10, v10, v14, s15
	s_delay_alu instid0(VALU_DEP_1)
	v_cndmask_b32_e64 v33, v10, 0x7fff, s14
; %bb.2522:                             ;   in Loop: Header=BB6_2452 Depth=3
	s_or_b32 exec_lo, exec_lo, s37
	s_delay_alu instid0(VALU_DEP_1)
	v_mov_b32_e32 v35, v33
.LBB6_2523:                             ;   in Loop: Header=BB6_2452 Depth=3
	s_or_b32 exec_lo, exec_lo, s16
	s_delay_alu instid0(VALU_DEP_1)
	v_mov_b32_e32 v14, v35
.LBB6_2524:                             ;   in Loop: Header=BB6_2452 Depth=3
	v_and_b32_e32 v10, 0x7fff, v15
	v_and_b32_e32 v33, 0x7fff, v11
	v_perm_b32 v34, v11, v15, 0x5040100
	s_mov_b32 s16, -1
	s_and_b32 vcc_lo, exec_lo, s36
	v_cmp_lt_u16_e64 s14, 0x7c00, v10
	v_cmp_gt_u16_e64 s15, 0x7c01, v33
                                        ; implicit-def: $vgpr10
	s_delay_alu instid0(VALU_DEP_1) | instskip(NEXT) | instid1(SALU_CYCLE_1)
	s_and_b32 s37, s14, s15
	s_xor_b32 s37, s37, -1
	s_cbranch_vccz .LBB6_2530
; %bb.2525:                             ;   in Loop: Header=BB6_2452 Depth=3
	v_mov_b32_e32 v10, v11
	s_and_saveexec_b32 s38, s37
	s_cbranch_execz .LBB6_2529
; %bb.2526:                             ;   in Loop: Header=BB6_2452 Depth=3
	v_mov_b32_e32 v10, v15
	s_or_b32 s16, s14, s15
	s_delay_alu instid0(SALU_CYCLE_1)
	s_and_saveexec_b32 s39, s16
; %bb.2527:                             ;   in Loop: Header=BB6_2452 Depth=3
	v_lshrrev_b32_e32 v10, 16, v34
	v_cmp_lt_u16_e32 vcc_lo, 0x7c00, v33
	s_delay_alu instid0(VALU_DEP_2) | instskip(NEXT) | instid1(VALU_DEP_1)
	v_cmp_gt_f16_e64 s16, v34, v10
	v_cndmask_b32_e64 v10, v10, v34, s16
	s_and_b32 s16, s14, vcc_lo
	s_delay_alu instid0(VALU_DEP_1) | instid1(SALU_CYCLE_1)
	v_cndmask_b32_e64 v10, v10, 0x7fff, s16
; %bb.2528:                             ;   in Loop: Header=BB6_2452 Depth=3
	s_or_b32 exec_lo, exec_lo, s39
.LBB6_2529:                             ;   in Loop: Header=BB6_2452 Depth=3
	s_delay_alu instid0(SALU_CYCLE_1)
	s_or_b32 exec_lo, exec_lo, s38
	s_mov_b32 s16, 0
.LBB6_2530:                             ;   in Loop: Header=BB6_2452 Depth=3
	s_delay_alu instid0(SALU_CYCLE_1)
	s_and_not1_b32 vcc_lo, exec_lo, s16
	s_cbranch_vccnz .LBB6_2536
; %bb.2531:                             ;   in Loop: Header=BB6_2452 Depth=3
	v_mov_b32_e32 v10, v11
	s_and_saveexec_b32 s16, s37
	s_cbranch_execz .LBB6_2535
; %bb.2532:                             ;   in Loop: Header=BB6_2452 Depth=3
	v_mov_b32_e32 v10, v15
	s_or_b32 s15, s14, s15
	s_delay_alu instid0(SALU_CYCLE_1)
	s_and_saveexec_b32 s37, s15
; %bb.2533:                             ;   in Loop: Header=BB6_2452 Depth=3
	v_lshrrev_b32_e32 v10, 16, v34
	v_cmp_lt_u16_e32 vcc_lo, 0x7c00, v33
	s_delay_alu instid0(VALU_DEP_2) | instskip(SKIP_1) | instid1(VALU_DEP_1)
	v_cmp_gt_f16_e64 s15, v34, v10
	s_and_b32 s14, s14, vcc_lo
	v_cndmask_b32_e64 v10, v34, v10, s15
	s_delay_alu instid0(VALU_DEP_1)
	v_cndmask_b32_e64 v10, v10, 0x7fff, s14
; %bb.2534:                             ;   in Loop: Header=BB6_2452 Depth=3
	s_or_b32 exec_lo, exec_lo, s37
.LBB6_2535:                             ;   in Loop: Header=BB6_2452 Depth=3
	s_delay_alu instid0(SALU_CYCLE_1)
	s_or_b32 exec_lo, exec_lo, s16
.LBB6_2536:                             ;   in Loop: Header=BB6_2452 Depth=3
	v_lshrrev_b32_e32 v33, 16, v15
	v_lshrrev_b32_e32 v35, 16, v11
	v_perm_b32 v11, v11, v15, 0x7060302
	s_mov_b32 s16, -1
	s_and_b32 vcc_lo, exec_lo, s36
	v_and_b32_e32 v36, 0x7fff, v33
	v_and_b32_e32 v34, 0x7fff, v35
                                        ; implicit-def: $vgpr15
	s_delay_alu instid0(VALU_DEP_2) | instskip(NEXT) | instid1(VALU_DEP_2)
	v_cmp_lt_u16_e64 s14, 0x7c00, v36
	v_cmp_gt_u16_e64 s15, 0x7c01, v34
	s_delay_alu instid0(VALU_DEP_1) | instskip(NEXT) | instid1(SALU_CYCLE_1)
	s_and_b32 s37, s14, s15
	s_xor_b32 s37, s37, -1
	s_cbranch_vccz .LBB6_2542
; %bb.2537:                             ;   in Loop: Header=BB6_2452 Depth=3
	v_mov_b32_e32 v15, v35
	s_and_saveexec_b32 s38, s37
	s_cbranch_execz .LBB6_2541
; %bb.2538:                             ;   in Loop: Header=BB6_2452 Depth=3
	v_mov_b32_e32 v15, v33
	s_or_b32 s16, s14, s15
	s_delay_alu instid0(SALU_CYCLE_1)
	s_and_saveexec_b32 s39, s16
; %bb.2539:                             ;   in Loop: Header=BB6_2452 Depth=3
	v_lshrrev_b32_e32 v15, 16, v11
	v_cmp_lt_u16_e32 vcc_lo, 0x7c00, v34
	s_delay_alu instid0(VALU_DEP_2) | instskip(NEXT) | instid1(VALU_DEP_1)
	v_cmp_gt_f16_e64 s16, v11, v15
	v_cndmask_b32_e64 v15, v15, v11, s16
	s_and_b32 s16, s14, vcc_lo
	s_delay_alu instid0(VALU_DEP_1) | instid1(SALU_CYCLE_1)
	v_cndmask_b32_e64 v15, v15, 0x7fff, s16
; %bb.2540:                             ;   in Loop: Header=BB6_2452 Depth=3
	s_or_b32 exec_lo, exec_lo, s39
.LBB6_2541:                             ;   in Loop: Header=BB6_2452 Depth=3
	s_delay_alu instid0(SALU_CYCLE_1)
	s_or_b32 exec_lo, exec_lo, s38
	s_mov_b32 s16, 0
.LBB6_2542:                             ;   in Loop: Header=BB6_2452 Depth=3
	s_delay_alu instid0(SALU_CYCLE_1)
	s_and_not1_b32 vcc_lo, exec_lo, s16
	s_cbranch_vccnz .LBB6_2451
; %bb.2543:                             ;   in Loop: Header=BB6_2452 Depth=3
	s_and_saveexec_b32 s16, s37
	s_cbranch_execz .LBB6_2450
; %bb.2544:                             ;   in Loop: Header=BB6_2452 Depth=3
	s_or_b32 s15, s14, s15
	s_delay_alu instid0(SALU_CYCLE_1)
	s_and_saveexec_b32 s37, s15
	s_cbranch_execz .LBB6_2449
; %bb.2545:                             ;   in Loop: Header=BB6_2452 Depth=3
	v_lshrrev_b32_e32 v15, 16, v11
	v_cmp_lt_u16_e32 vcc_lo, 0x7c00, v34
	s_delay_alu instid0(VALU_DEP_2) | instskip(SKIP_1) | instid1(VALU_DEP_1)
	v_cmp_gt_f16_e64 s15, v11, v15
	s_and_b32 s14, s14, vcc_lo
	v_cndmask_b32_e64 v11, v11, v15, s15
	s_delay_alu instid0(VALU_DEP_1)
	v_cndmask_b32_e64 v33, v11, 0x7fff, s14
	s_branch .LBB6_2449
.LBB6_2546:                             ;   in Loop: Header=BB6_1249 Depth=2
	s_or_b32 exec_lo, exec_lo, s35
.LBB6_2547:                             ;   in Loop: Header=BB6_1249 Depth=2
	s_delay_alu instid0(SALU_CYCLE_1) | instskip(SKIP_3) | instid1(VALU_DEP_1)
	s_or_b32 exec_lo, exec_lo, s34
	v_dual_mov_b32 v14, 0 :: v_dual_and_b32 v9, 14, v2
	s_mov_b32 s14, 0
	s_mov_b32 s15, exec_lo
                                        ; implicit-def: $vgpr15
                                        ; implicit-def: $vgpr8
	v_cndmask_b32_e64 v2, v25, v9, s13
	s_delay_alu instid0(VALU_DEP_1)
	v_cmpx_ne_u32_e32 0, v2
	s_cbranch_execz .LBB6_2549
; %bb.2548:                             ;   in Loop: Header=BB6_1249 Depth=2
	v_cmp_lt_i32_e32 vcc_lo, 0, v26
	v_sub_nc_u32_e32 v9, v25, v9
	s_mov_b32 s14, exec_lo
	v_cndmask_b32_e32 v8, 0, v145, vcc_lo
	s_delay_alu instid0(VALU_DEP_2) | instskip(NEXT) | instid1(VALU_DEP_2)
	v_cndmask_b32_e64 v9, 0, v9, s13
	v_sub_nc_u32_e32 v8, v8, v26
	s_delay_alu instid0(VALU_DEP_2) | instskip(NEXT) | instid1(VALU_DEP_2)
	v_add3_u32 v14, v23, v22, v9
	v_lshl_add_u32 v15, v8, 5, v24
	s_delay_alu instid0(VALU_DEP_1) | instskip(NEXT) | instid1(VALU_DEP_1)
	v_ashrrev_i32_e32 v8, 31, v15
	v_lshrrev_b32_e32 v8, 27, v8
	s_delay_alu instid0(VALU_DEP_1) | instskip(NEXT) | instid1(VALU_DEP_1)
	v_add_nc_u32_e32 v8, v15, v8
	v_ashrrev_i32_e32 v8, 5, v8
.LBB6_2549:                             ;   in Loop: Header=BB6_1249 Depth=2
	s_or_b32 exec_lo, exec_lo, s15
	s_delay_alu instid0(SALU_CYCLE_1)
	s_and_b32 s13, s14, exec_lo
.LBB6_2550:                             ;   in Loop: Header=BB6_1249 Depth=2
	s_or_b32 exec_lo, exec_lo, s31
.LBB6_2551:                             ;   in Loop: Header=BB6_1249 Depth=2
	s_and_saveexec_b32 s16, s13
	s_cbranch_execz .LBB6_2767
; %bb.2552:                             ;   in Loop: Header=BB6_1249 Depth=2
	v_ashrrev_i32_e32 v9, 31, v2
	s_mov_b32 s31, exec_lo
	s_delay_alu instid0(VALU_DEP_1) | instskip(NEXT) | instid1(VALU_DEP_1)
	v_lshrrev_b32_e32 v9, 22, v9
	v_add_nc_u32_e32 v9, v2, v9
	s_delay_alu instid0(VALU_DEP_1) | instskip(NEXT) | instid1(VALU_DEP_1)
	v_ashrrev_i32_e32 v17, 10, v9
	v_sub_nc_u32_e32 v16, v17, v8
	s_delay_alu instid0(VALU_DEP_1)
	v_cmpx_lt_i32_e32 0, v16
	s_cbranch_execz .LBB6_2749
; %bb.2553:                             ;   in Loop: Header=BB6_1249 Depth=2
	s_cbranch_execnz .LBB6_3823
; %bb.2554:                             ;   in Loop: Header=BB6_1249 Depth=2
	v_ashrrev_i32_e32 v9, 31, v15
	ds_load_b64 v[18:19], v0
	v_lshlrev_b32_e32 v8, 10, v8
	s_bitcmp1_b32 s30, 0
	s_mov_b32 s35, 0
	v_lshrrev_b32_e32 v9, 27, v9
	s_cselect_b32 s34, -1, 0
	s_delay_alu instid0(VALU_DEP_1) | instskip(NEXT) | instid1(VALU_DEP_1)
	v_add_nc_u32_e32 v9, v15, v9
	v_and_b32_e32 v9, 0x7fffffe0, v9
	s_delay_alu instid0(VALU_DEP_1)
	v_sub_nc_u32_e32 v13, v15, v9
	ds_load_b128 v[9:12], v0
	s_waitcnt lgkmcnt(1)
	v_add_co_u32 v18, vcc_lo, 0x3c0, v18
	v_add_co_ci_u32_e32 v19, vcc_lo, 0, v19, vcc_lo
	v_lshlrev_b32_e32 v13, 1, v13
	s_delay_alu instid0(VALU_DEP_1) | instskip(NEXT) | instid1(VALU_DEP_1)
	v_add3_u32 v13, v13, v14, v8
	v_ashrrev_i32_e32 v20, 31, v13
	s_waitcnt lgkmcnt(0)
	v_add_co_u32 v8, vcc_lo, v9, v13
	s_delay_alu instid0(VALU_DEP_2)
	v_add_co_ci_u32_e32 v9, vcc_lo, v10, v20, vcc_lo
	v_add_co_u32 v10, vcc_lo, v11, v13
	v_add_co_ci_u32_e32 v11, vcc_lo, v12, v20, vcc_lo
	v_add_co_u32 v12, vcc_lo, v18, v13
	v_add_co_ci_u32_e32 v13, vcc_lo, v19, v20, vcc_lo
	s_branch .LBB6_2558
.LBB6_2555:                             ;   in Loop: Header=BB6_2558 Depth=3
	s_or_b32 exec_lo, exec_lo, s36
	s_delay_alu instid0(VALU_DEP_1)
	v_mov_b32_e32 v19, v18
.LBB6_2556:                             ;   in Loop: Header=BB6_2558 Depth=3
	s_or_b32 exec_lo, exec_lo, s15
	s_delay_alu instid0(VALU_DEP_1)
	v_mov_b32_e32 v21, v19
.LBB6_2557:                             ;   in Loop: Header=BB6_2558 Depth=3
	v_add_co_u32 v18, vcc_lo, 0xfffffc40, v12
	v_add_co_ci_u32_e32 v19, vcc_lo, -1, v13, vcc_lo
	v_add_co_u32 v118, vcc_lo, 0xfffffc80, v12
	v_add_co_ci_u32_e32 v119, vcc_lo, -1, v13, vcc_lo
	;; [unrolled: 2-line block ×5, first 2 shown]
	flat_store_b16 v[18:19], v20 glc slc dlc
	flat_store_b16 v[118:119], v23 glc slc dlc
	;; [unrolled: 1-line block ×5, first 2 shown]
	v_add_co_u32 v18, vcc_lo, 0xfffffd80, v12
	v_add_co_ci_u32_e32 v19, vcc_lo, -1, v13, vcc_lo
	v_add_co_u32 v22, vcc_lo, 0xfffffdc0, v12
	v_add_co_ci_u32_e32 v23, vcc_lo, -1, v13, vcc_lo
	;; [unrolled: 2-line block ×5, first 2 shown]
	flat_store_b16 v[18:19], v38 glc slc dlc
	flat_store_b16 v[22:23], v49 glc slc dlc
	;; [unrolled: 1-line block ×5, first 2 shown]
	v_add_co_u32 v18, vcc_lo, 0xfffffec0, v12
	v_add_co_ci_u32_e32 v19, vcc_lo, -1, v13, vcc_lo
	v_add_co_u32 v22, vcc_lo, 0xffffff00, v12
	v_add_co_ci_u32_e32 v23, vcc_lo, -1, v13, vcc_lo
	;; [unrolled: 2-line block ×5, first 2 shown]
	v_add_co_u32 v8, vcc_lo, v8, v165
	v_sub_nc_u32_e32 v16, v16, v145
	v_add_co_ci_u32_e32 v9, vcc_lo, v9, v166, vcc_lo
	v_add_co_u32 v10, vcc_lo, v10, v165
	v_add_co_ci_u32_e32 v11, vcc_lo, v11, v166, vcc_lo
	flat_store_b16 v[18:19], v48 glc slc dlc
	flat_store_b16 v[22:23], v37 glc slc dlc
	;; [unrolled: 1-line block ×6, first 2 shown]
	v_cmp_gt_i32_e32 vcc_lo, 1, v16
	v_add_co_u32 v12, s13, v12, v165
	s_delay_alu instid0(VALU_DEP_1) | instskip(SKIP_1) | instid1(SALU_CYCLE_1)
	v_add_co_ci_u32_e64 v13, s13, v13, v166, s13
	s_or_b32 s35, vcc_lo, s35
	s_and_not1_b32 exec_lo, exec_lo, s35
	s_cbranch_execz .LBB6_2748
.LBB6_2558:                             ;   Parent Loop BB6_51 Depth=1
                                        ;     Parent Loop BB6_1249 Depth=2
                                        ; =>    This Inner Loop Header: Depth=3
	s_clause 0x7
	flat_load_u16 v23, v[8:9] slc dlc
	flat_load_u16 v26, v[8:9] offset:64 slc dlc
	flat_load_u16 v33, v[8:9] offset:128 slc dlc
	;; [unrolled: 1-line block ×7, first 2 shown]
	flat_load_u16 v41, v[10:11] slc dlc
	s_clause 0x7
	flat_load_u16 v51, v[8:9] offset:512 slc dlc
	flat_load_u16 v48, v[8:9] offset:576 slc dlc
	;; [unrolled: 1-line block ×8, first 2 shown]
	s_clause 0xe
	flat_load_u16 v40, v[10:11] offset:64 slc dlc
	flat_load_u16 v131, v[10:11] offset:128 slc dlc
	flat_load_u16 v130, v[10:11] offset:192 slc dlc
	flat_load_u16 v129, v[10:11] offset:256 slc dlc
	flat_load_u16 v128, v[10:11] offset:320 slc dlc
	flat_load_u16 v119, v[10:11] offset:384 slc dlc
	flat_load_u16 v118, v[10:11] offset:448 slc dlc
	flat_load_u16 v116, v[10:11] offset:512 slc dlc
	flat_load_u16 v50, v[10:11] offset:576 slc dlc
	flat_load_u16 v39, v[10:11] offset:640 slc dlc
	flat_load_u16 v35, v[10:11] offset:704 slc dlc
	flat_load_u16 v32, v[10:11] offset:768 slc dlc
	flat_load_u16 v25, v[10:11] offset:832 slc dlc
	flat_load_u16 v22, v[10:11] offset:896 slc dlc
	flat_load_u16 v19, v[10:11] offset:960 slc dlc
	s_mov_b32 s15, -1
	s_and_b32 vcc_lo, exec_lo, s34
	s_waitcnt vmcnt(31) lgkmcnt(31)
	v_and_b32_e32 v20, 0x7fff, v23
	s_delay_alu instid0(VALU_DEP_1) | instskip(SKIP_2) | instid1(VALU_DEP_1)
	v_cmp_lt_u16_e64 s13, 0x7c00, v20
                                        ; implicit-def: $vgpr20
	s_waitcnt vmcnt(23) lgkmcnt(23)
	v_and_b32_e32 v42, 0x7fff, v41
	v_cmp_gt_u16_e64 s14, 0x7c01, v42
	s_delay_alu instid0(VALU_DEP_1) | instskip(NEXT) | instid1(SALU_CYCLE_1)
	s_and_b32 s36, s13, s14
	s_xor_b32 s36, s36, -1
	s_cbranch_vccz .LBB6_2564
; %bb.2559:                             ;   in Loop: Header=BB6_2558 Depth=3
	v_mov_b32_e32 v20, v41
	s_and_saveexec_b32 s37, s36
	s_cbranch_execz .LBB6_2563
; %bb.2560:                             ;   in Loop: Header=BB6_2558 Depth=3
	v_mov_b32_e32 v20, v23
	s_or_b32 s15, s13, s14
	s_delay_alu instid0(SALU_CYCLE_1)
	s_and_saveexec_b32 s38, s15
; %bb.2561:                             ;   in Loop: Header=BB6_2558 Depth=3
	v_cmp_gt_f16_e64 s15, v23, v41
	v_cmp_lt_u16_e32 vcc_lo, 0x7c00, v42
	s_delay_alu instid0(VALU_DEP_2)
	v_cndmask_b32_e64 v20, v41, v23, s15
	s_and_b32 s15, s13, vcc_lo
	s_delay_alu instid0(VALU_DEP_1) | instid1(SALU_CYCLE_1)
	v_cndmask_b32_e64 v20, v20, 0x7fff, s15
; %bb.2562:                             ;   in Loop: Header=BB6_2558 Depth=3
	s_or_b32 exec_lo, exec_lo, s38
.LBB6_2563:                             ;   in Loop: Header=BB6_2558 Depth=3
	s_delay_alu instid0(SALU_CYCLE_1)
	s_or_b32 exec_lo, exec_lo, s37
	s_mov_b32 s15, 0
.LBB6_2564:                             ;   in Loop: Header=BB6_2558 Depth=3
	s_delay_alu instid0(SALU_CYCLE_1)
	s_and_not1_b32 vcc_lo, exec_lo, s15
	s_cbranch_vccnz .LBB6_2570
; %bb.2565:                             ;   in Loop: Header=BB6_2558 Depth=3
	s_and_saveexec_b32 s15, s36
	s_cbranch_execz .LBB6_2569
; %bb.2566:                             ;   in Loop: Header=BB6_2558 Depth=3
	s_or_b32 s14, s13, s14
	s_delay_alu instid0(SALU_CYCLE_1)
	s_and_saveexec_b32 s36, s14
; %bb.2567:                             ;   in Loop: Header=BB6_2558 Depth=3
	v_cmp_gt_f16_e64 s14, v23, v41
	v_cmp_lt_u16_e32 vcc_lo, 0x7c00, v42
	s_delay_alu instid0(VALU_DEP_2)
	v_cndmask_b32_e64 v20, v23, v41, s14
	s_and_b32 s13, s13, vcc_lo
	s_delay_alu instid0(VALU_DEP_1) | instid1(SALU_CYCLE_1)
	v_cndmask_b32_e64 v23, v20, 0x7fff, s13
; %bb.2568:                             ;   in Loop: Header=BB6_2558 Depth=3
	s_or_b32 exec_lo, exec_lo, s36
	s_delay_alu instid0(VALU_DEP_1)
	v_mov_b32_e32 v41, v23
.LBB6_2569:                             ;   in Loop: Header=BB6_2558 Depth=3
	s_or_b32 exec_lo, exec_lo, s15
	s_delay_alu instid0(VALU_DEP_1)
	v_mov_b32_e32 v20, v41
.LBB6_2570:                             ;   in Loop: Header=BB6_2558 Depth=3
	v_and_b32_e32 v23, 0x7fff, v26
	s_waitcnt vmcnt(14) lgkmcnt(14)
	v_and_b32_e32 v41, 0x7fff, v40
	s_mov_b32 s15, -1
	s_and_not1_b32 vcc_lo, exec_lo, s34
	v_cmp_lt_u16_e64 s13, 0x7c00, v23
	s_delay_alu instid0(VALU_DEP_2) | instskip(NEXT) | instid1(VALU_DEP_1)
	v_cmp_gt_u16_e64 s14, 0x7c01, v41
                                        ; implicit-def: $vgpr23
	s_and_b32 s36, s13, s14
	s_delay_alu instid0(SALU_CYCLE_1)
	s_xor_b32 s36, s36, -1
	s_cbranch_vccnz .LBB6_2576
; %bb.2571:                             ;   in Loop: Header=BB6_2558 Depth=3
	v_mov_b32_e32 v23, v40
	s_and_saveexec_b32 s37, s36
	s_cbranch_execz .LBB6_2575
; %bb.2572:                             ;   in Loop: Header=BB6_2558 Depth=3
	v_mov_b32_e32 v23, v26
	s_or_b32 s15, s13, s14
	s_delay_alu instid0(SALU_CYCLE_1)
	s_and_saveexec_b32 s38, s15
; %bb.2573:                             ;   in Loop: Header=BB6_2558 Depth=3
	v_cmp_gt_f16_e64 s15, v26, v40
	v_cmp_lt_u16_e32 vcc_lo, 0x7c00, v41
	s_delay_alu instid0(VALU_DEP_2)
	v_cndmask_b32_e64 v23, v40, v26, s15
	s_and_b32 s15, s13, vcc_lo
	s_delay_alu instid0(VALU_DEP_1) | instid1(SALU_CYCLE_1)
	v_cndmask_b32_e64 v23, v23, 0x7fff, s15
; %bb.2574:                             ;   in Loop: Header=BB6_2558 Depth=3
	s_or_b32 exec_lo, exec_lo, s38
.LBB6_2575:                             ;   in Loop: Header=BB6_2558 Depth=3
	s_delay_alu instid0(SALU_CYCLE_1)
	s_or_b32 exec_lo, exec_lo, s37
	s_mov_b32 s15, 0
.LBB6_2576:                             ;   in Loop: Header=BB6_2558 Depth=3
	s_delay_alu instid0(SALU_CYCLE_1)
	s_and_not1_b32 vcc_lo, exec_lo, s15
	s_cbranch_vccnz .LBB6_2582
; %bb.2577:                             ;   in Loop: Header=BB6_2558 Depth=3
	s_and_saveexec_b32 s15, s36
	s_cbranch_execz .LBB6_2581
; %bb.2578:                             ;   in Loop: Header=BB6_2558 Depth=3
	s_or_b32 s14, s13, s14
	s_delay_alu instid0(SALU_CYCLE_1)
	s_and_saveexec_b32 s36, s14
; %bb.2579:                             ;   in Loop: Header=BB6_2558 Depth=3
	v_cmp_gt_f16_e64 s14, v26, v40
	v_cmp_lt_u16_e32 vcc_lo, 0x7c00, v41
	s_delay_alu instid0(VALU_DEP_2)
	v_cndmask_b32_e64 v23, v26, v40, s14
	s_and_b32 s13, s13, vcc_lo
	s_delay_alu instid0(VALU_DEP_1) | instid1(SALU_CYCLE_1)
	v_cndmask_b32_e64 v26, v23, 0x7fff, s13
; %bb.2580:                             ;   in Loop: Header=BB6_2558 Depth=3
	s_or_b32 exec_lo, exec_lo, s36
	s_delay_alu instid0(VALU_DEP_1)
	v_mov_b32_e32 v40, v26
.LBB6_2581:                             ;   in Loop: Header=BB6_2558 Depth=3
	s_or_b32 exec_lo, exec_lo, s15
	s_delay_alu instid0(VALU_DEP_1)
	v_mov_b32_e32 v23, v40
.LBB6_2582:                             ;   in Loop: Header=BB6_2558 Depth=3
	v_and_b32_e32 v26, 0x7fff, v33
	s_waitcnt vmcnt(13) lgkmcnt(13)
	v_and_b32_e32 v40, 0x7fff, v131
	s_mov_b32 s15, -1
	s_and_not1_b32 vcc_lo, exec_lo, s34
	v_cmp_lt_u16_e64 s13, 0x7c00, v26
	s_delay_alu instid0(VALU_DEP_2) | instskip(NEXT) | instid1(VALU_DEP_1)
	v_cmp_gt_u16_e64 s14, 0x7c01, v40
                                        ; implicit-def: $vgpr26
	s_and_b32 s36, s13, s14
	s_delay_alu instid0(SALU_CYCLE_1)
	s_xor_b32 s36, s36, -1
	s_cbranch_vccnz .LBB6_2588
; %bb.2583:                             ;   in Loop: Header=BB6_2558 Depth=3
	v_mov_b32_e32 v26, v131
	s_and_saveexec_b32 s37, s36
	s_cbranch_execz .LBB6_2587
; %bb.2584:                             ;   in Loop: Header=BB6_2558 Depth=3
	v_mov_b32_e32 v26, v33
	s_or_b32 s15, s13, s14
	s_delay_alu instid0(SALU_CYCLE_1)
	s_and_saveexec_b32 s38, s15
; %bb.2585:                             ;   in Loop: Header=BB6_2558 Depth=3
	v_cmp_gt_f16_e64 s15, v33, v131
	v_cmp_lt_u16_e32 vcc_lo, 0x7c00, v40
	s_delay_alu instid0(VALU_DEP_2)
	v_cndmask_b32_e64 v26, v131, v33, s15
	s_and_b32 s15, s13, vcc_lo
	s_delay_alu instid0(VALU_DEP_1) | instid1(SALU_CYCLE_1)
	v_cndmask_b32_e64 v26, v26, 0x7fff, s15
; %bb.2586:                             ;   in Loop: Header=BB6_2558 Depth=3
	s_or_b32 exec_lo, exec_lo, s38
.LBB6_2587:                             ;   in Loop: Header=BB6_2558 Depth=3
	s_delay_alu instid0(SALU_CYCLE_1)
	s_or_b32 exec_lo, exec_lo, s37
	s_mov_b32 s15, 0
.LBB6_2588:                             ;   in Loop: Header=BB6_2558 Depth=3
	s_delay_alu instid0(SALU_CYCLE_1)
	s_and_not1_b32 vcc_lo, exec_lo, s15
	s_cbranch_vccnz .LBB6_2594
; %bb.2589:                             ;   in Loop: Header=BB6_2558 Depth=3
	s_and_saveexec_b32 s15, s36
	s_cbranch_execz .LBB6_2593
; %bb.2590:                             ;   in Loop: Header=BB6_2558 Depth=3
	s_or_b32 s14, s13, s14
	s_delay_alu instid0(SALU_CYCLE_1)
	s_and_saveexec_b32 s36, s14
; %bb.2591:                             ;   in Loop: Header=BB6_2558 Depth=3
	v_cmp_gt_f16_e64 s14, v33, v131
	v_cmp_lt_u16_e32 vcc_lo, 0x7c00, v40
	s_delay_alu instid0(VALU_DEP_2)
	v_cndmask_b32_e64 v26, v33, v131, s14
	s_and_b32 s13, s13, vcc_lo
	s_delay_alu instid0(VALU_DEP_1) | instid1(SALU_CYCLE_1)
	v_cndmask_b32_e64 v33, v26, 0x7fff, s13
; %bb.2592:                             ;   in Loop: Header=BB6_2558 Depth=3
	s_or_b32 exec_lo, exec_lo, s36
	s_delay_alu instid0(VALU_DEP_1)
	v_mov_b32_e32 v131, v33
.LBB6_2593:                             ;   in Loop: Header=BB6_2558 Depth=3
	s_or_b32 exec_lo, exec_lo, s15
	s_delay_alu instid0(VALU_DEP_1)
	v_mov_b32_e32 v26, v131
.LBB6_2594:                             ;   in Loop: Header=BB6_2558 Depth=3
	v_and_b32_e32 v33, 0x7fff, v36
	s_waitcnt vmcnt(12) lgkmcnt(12)
	v_and_b32_e32 v131, 0x7fff, v130
	s_mov_b32 s15, -1
	s_and_not1_b32 vcc_lo, exec_lo, s34
	v_cmp_lt_u16_e64 s13, 0x7c00, v33
	s_delay_alu instid0(VALU_DEP_2) | instskip(NEXT) | instid1(VALU_DEP_1)
	v_cmp_gt_u16_e64 s14, 0x7c01, v131
                                        ; implicit-def: $vgpr33
	s_and_b32 s36, s13, s14
	s_delay_alu instid0(SALU_CYCLE_1)
	s_xor_b32 s36, s36, -1
	s_cbranch_vccnz .LBB6_2600
; %bb.2595:                             ;   in Loop: Header=BB6_2558 Depth=3
	v_mov_b32_e32 v33, v130
	s_and_saveexec_b32 s37, s36
	s_cbranch_execz .LBB6_2599
; %bb.2596:                             ;   in Loop: Header=BB6_2558 Depth=3
	v_mov_b32_e32 v33, v36
	s_or_b32 s15, s13, s14
	s_delay_alu instid0(SALU_CYCLE_1)
	s_and_saveexec_b32 s38, s15
; %bb.2597:                             ;   in Loop: Header=BB6_2558 Depth=3
	v_cmp_gt_f16_e64 s15, v36, v130
	v_cmp_lt_u16_e64 vcc_lo, 0x7c00, v131
	s_delay_alu instid0(VALU_DEP_2) | instskip(NEXT) | instid1(VALU_DEP_2)
	v_cndmask_b32_e64 v33, v130, v36, s15
	s_and_b32 s15, s13, vcc_lo
	s_delay_alu instid0(VALU_DEP_1) | instid1(SALU_CYCLE_1)
	v_cndmask_b32_e64 v33, v33, 0x7fff, s15
; %bb.2598:                             ;   in Loop: Header=BB6_2558 Depth=3
	s_or_b32 exec_lo, exec_lo, s38
.LBB6_2599:                             ;   in Loop: Header=BB6_2558 Depth=3
	s_delay_alu instid0(SALU_CYCLE_1)
	s_or_b32 exec_lo, exec_lo, s37
	s_mov_b32 s15, 0
.LBB6_2600:                             ;   in Loop: Header=BB6_2558 Depth=3
	s_delay_alu instid0(SALU_CYCLE_1)
	s_and_not1_b32 vcc_lo, exec_lo, s15
	s_cbranch_vccnz .LBB6_2606
; %bb.2601:                             ;   in Loop: Header=BB6_2558 Depth=3
	s_and_saveexec_b32 s15, s36
	s_cbranch_execz .LBB6_2605
; %bb.2602:                             ;   in Loop: Header=BB6_2558 Depth=3
	s_or_b32 s14, s13, s14
	s_delay_alu instid0(SALU_CYCLE_1)
	s_and_saveexec_b32 s36, s14
; %bb.2603:                             ;   in Loop: Header=BB6_2558 Depth=3
	v_cmp_gt_f16_e64 s14, v36, v130
	v_cmp_lt_u16_e64 vcc_lo, 0x7c00, v131
	s_delay_alu instid0(VALU_DEP_2) | instskip(NEXT) | instid1(VALU_DEP_2)
	v_cndmask_b32_e64 v33, v36, v130, s14
	s_and_b32 s13, s13, vcc_lo
	s_delay_alu instid0(VALU_DEP_1) | instid1(SALU_CYCLE_1)
	v_cndmask_b32_e64 v36, v33, 0x7fff, s13
; %bb.2604:                             ;   in Loop: Header=BB6_2558 Depth=3
	s_or_b32 exec_lo, exec_lo, s36
	s_delay_alu instid0(VALU_DEP_1)
	v_mov_b32_e32 v130, v36
.LBB6_2605:                             ;   in Loop: Header=BB6_2558 Depth=3
	s_or_b32 exec_lo, exec_lo, s15
	s_delay_alu instid0(VALU_DEP_1)
	v_mov_b32_e32 v33, v130
.LBB6_2606:                             ;   in Loop: Header=BB6_2558 Depth=3
	v_and_b32_e32 v36, 0x7fff, v38
	s_waitcnt vmcnt(11) lgkmcnt(11)
	v_and_b32_e32 v130, 0x7fff, v129
	s_mov_b32 s15, -1
	s_and_not1_b32 vcc_lo, exec_lo, s34
	v_cmp_lt_u16_e64 s13, 0x7c00, v36
	s_delay_alu instid0(VALU_DEP_2) | instskip(NEXT) | instid1(VALU_DEP_1)
	v_cmp_gt_u16_e64 s14, 0x7c01, v130
                                        ; implicit-def: $vgpr36
	s_and_b32 s36, s13, s14
	s_delay_alu instid0(SALU_CYCLE_1)
	s_xor_b32 s36, s36, -1
	s_cbranch_vccnz .LBB6_2612
; %bb.2607:                             ;   in Loop: Header=BB6_2558 Depth=3
	v_mov_b32_e32 v36, v129
	s_and_saveexec_b32 s37, s36
	s_cbranch_execz .LBB6_2611
; %bb.2608:                             ;   in Loop: Header=BB6_2558 Depth=3
	v_mov_b32_e32 v36, v38
	s_or_b32 s15, s13, s14
	s_delay_alu instid0(SALU_CYCLE_1)
	s_and_saveexec_b32 s38, s15
; %bb.2609:                             ;   in Loop: Header=BB6_2558 Depth=3
	v_cmp_gt_f16_e64 s15, v38, v129
	v_cmp_lt_u16_e64 vcc_lo, 0x7c00, v130
	s_delay_alu instid0(VALU_DEP_2) | instskip(NEXT) | instid1(VALU_DEP_2)
	v_cndmask_b32_e64 v36, v129, v38, s15
	s_and_b32 s15, s13, vcc_lo
	s_delay_alu instid0(VALU_DEP_1) | instid1(SALU_CYCLE_1)
	v_cndmask_b32_e64 v36, v36, 0x7fff, s15
; %bb.2610:                             ;   in Loop: Header=BB6_2558 Depth=3
	s_or_b32 exec_lo, exec_lo, s38
.LBB6_2611:                             ;   in Loop: Header=BB6_2558 Depth=3
	s_delay_alu instid0(SALU_CYCLE_1)
	s_or_b32 exec_lo, exec_lo, s37
	s_mov_b32 s15, 0
.LBB6_2612:                             ;   in Loop: Header=BB6_2558 Depth=3
	s_delay_alu instid0(SALU_CYCLE_1)
	s_and_not1_b32 vcc_lo, exec_lo, s15
	s_cbranch_vccnz .LBB6_2618
; %bb.2613:                             ;   in Loop: Header=BB6_2558 Depth=3
	s_and_saveexec_b32 s15, s36
	s_cbranch_execz .LBB6_2617
; %bb.2614:                             ;   in Loop: Header=BB6_2558 Depth=3
	s_or_b32 s14, s13, s14
	s_delay_alu instid0(SALU_CYCLE_1)
	s_and_saveexec_b32 s36, s14
; %bb.2615:                             ;   in Loop: Header=BB6_2558 Depth=3
	v_cmp_gt_f16_e64 s14, v38, v129
	v_cmp_lt_u16_e64 vcc_lo, 0x7c00, v130
	s_delay_alu instid0(VALU_DEP_2) | instskip(NEXT) | instid1(VALU_DEP_2)
	v_cndmask_b32_e64 v36, v38, v129, s14
	s_and_b32 s13, s13, vcc_lo
	s_delay_alu instid0(VALU_DEP_1) | instid1(SALU_CYCLE_1)
	v_cndmask_b32_e64 v38, v36, 0x7fff, s13
; %bb.2616:                             ;   in Loop: Header=BB6_2558 Depth=3
	s_or_b32 exec_lo, exec_lo, s36
	s_delay_alu instid0(VALU_DEP_1)
	v_mov_b32_e32 v129, v38
.LBB6_2617:                             ;   in Loop: Header=BB6_2558 Depth=3
	s_or_b32 exec_lo, exec_lo, s15
	s_delay_alu instid0(VALU_DEP_1)
	v_mov_b32_e32 v36, v129
.LBB6_2618:                             ;   in Loop: Header=BB6_2558 Depth=3
	v_and_b32_e32 v38, 0x7fff, v49
	s_waitcnt vmcnt(10) lgkmcnt(10)
	v_and_b32_e32 v129, 0x7fff, v128
	s_mov_b32 s15, -1
	s_and_not1_b32 vcc_lo, exec_lo, s34
	v_cmp_lt_u16_e64 s13, 0x7c00, v38
	s_delay_alu instid0(VALU_DEP_2) | instskip(NEXT) | instid1(VALU_DEP_1)
	v_cmp_gt_u16_e64 s14, 0x7c01, v129
                                        ; implicit-def: $vgpr38
	s_and_b32 s36, s13, s14
	s_delay_alu instid0(SALU_CYCLE_1)
	s_xor_b32 s36, s36, -1
	s_cbranch_vccnz .LBB6_2624
; %bb.2619:                             ;   in Loop: Header=BB6_2558 Depth=3
	v_mov_b32_e32 v38, v128
	s_and_saveexec_b32 s37, s36
	s_cbranch_execz .LBB6_2623
; %bb.2620:                             ;   in Loop: Header=BB6_2558 Depth=3
	v_mov_b32_e32 v38, v49
	s_or_b32 s15, s13, s14
	s_delay_alu instid0(SALU_CYCLE_1)
	s_and_saveexec_b32 s38, s15
; %bb.2621:                             ;   in Loop: Header=BB6_2558 Depth=3
	v_cmp_gt_f16_e64 s15, v49, v128
	v_cmp_lt_u16_e64 vcc_lo, 0x7c00, v129
	s_delay_alu instid0(VALU_DEP_2) | instskip(NEXT) | instid1(VALU_DEP_2)
	v_cndmask_b32_e64 v38, v128, v49, s15
	s_and_b32 s15, s13, vcc_lo
	s_delay_alu instid0(VALU_DEP_1) | instid1(SALU_CYCLE_1)
	v_cndmask_b32_e64 v38, v38, 0x7fff, s15
; %bb.2622:                             ;   in Loop: Header=BB6_2558 Depth=3
	s_or_b32 exec_lo, exec_lo, s38
.LBB6_2623:                             ;   in Loop: Header=BB6_2558 Depth=3
	s_delay_alu instid0(SALU_CYCLE_1)
	s_or_b32 exec_lo, exec_lo, s37
	s_mov_b32 s15, 0
.LBB6_2624:                             ;   in Loop: Header=BB6_2558 Depth=3
	s_delay_alu instid0(SALU_CYCLE_1)
	s_and_not1_b32 vcc_lo, exec_lo, s15
	s_cbranch_vccnz .LBB6_2630
; %bb.2625:                             ;   in Loop: Header=BB6_2558 Depth=3
	s_and_saveexec_b32 s15, s36
	s_cbranch_execz .LBB6_2629
; %bb.2626:                             ;   in Loop: Header=BB6_2558 Depth=3
	s_or_b32 s14, s13, s14
	s_delay_alu instid0(SALU_CYCLE_1)
	s_and_saveexec_b32 s36, s14
; %bb.2627:                             ;   in Loop: Header=BB6_2558 Depth=3
	v_cmp_gt_f16_e64 s14, v49, v128
	v_cmp_lt_u16_e64 vcc_lo, 0x7c00, v129
	s_delay_alu instid0(VALU_DEP_2) | instskip(NEXT) | instid1(VALU_DEP_2)
	v_cndmask_b32_e64 v38, v49, v128, s14
	s_and_b32 s13, s13, vcc_lo
	s_delay_alu instid0(VALU_DEP_1) | instid1(SALU_CYCLE_1)
	v_cndmask_b32_e64 v49, v38, 0x7fff, s13
; %bb.2628:                             ;   in Loop: Header=BB6_2558 Depth=3
	s_or_b32 exec_lo, exec_lo, s36
	s_delay_alu instid0(VALU_DEP_1)
	v_mov_b32_e32 v128, v49
.LBB6_2629:                             ;   in Loop: Header=BB6_2558 Depth=3
	s_or_b32 exec_lo, exec_lo, s15
	s_delay_alu instid0(VALU_DEP_1)
	v_mov_b32_e32 v38, v128
.LBB6_2630:                             ;   in Loop: Header=BB6_2558 Depth=3
	v_and_b32_e32 v49, 0x7fff, v113
	s_waitcnt vmcnt(9) lgkmcnt(9)
	v_and_b32_e32 v128, 0x7fff, v119
	s_mov_b32 s15, -1
	s_and_not1_b32 vcc_lo, exec_lo, s34
	v_cmp_lt_u16_e64 s13, 0x7c00, v49
	s_delay_alu instid0(VALU_DEP_2) | instskip(NEXT) | instid1(VALU_DEP_1)
	v_cmp_gt_u16_e64 s14, 0x7c01, v128
                                        ; implicit-def: $vgpr49
	s_and_b32 s36, s13, s14
	s_delay_alu instid0(SALU_CYCLE_1)
	s_xor_b32 s36, s36, -1
	s_cbranch_vccnz .LBB6_2636
; %bb.2631:                             ;   in Loop: Header=BB6_2558 Depth=3
	v_mov_b32_e32 v49, v119
	s_and_saveexec_b32 s37, s36
	s_cbranch_execz .LBB6_2635
; %bb.2632:                             ;   in Loop: Header=BB6_2558 Depth=3
	v_mov_b32_e32 v49, v113
	s_or_b32 s15, s13, s14
	s_delay_alu instid0(SALU_CYCLE_1)
	s_and_saveexec_b32 s38, s15
; %bb.2633:                             ;   in Loop: Header=BB6_2558 Depth=3
	v_cmp_gt_f16_e64 s15, v113, v119
	v_cmp_lt_u16_e64 vcc_lo, 0x7c00, v128
	s_delay_alu instid0(VALU_DEP_2) | instskip(NEXT) | instid1(VALU_DEP_2)
	v_cndmask_b32_e64 v49, v119, v113, s15
	s_and_b32 s15, s13, vcc_lo
	s_delay_alu instid0(VALU_DEP_1) | instid1(SALU_CYCLE_1)
	v_cndmask_b32_e64 v49, v49, 0x7fff, s15
; %bb.2634:                             ;   in Loop: Header=BB6_2558 Depth=3
	s_or_b32 exec_lo, exec_lo, s38
.LBB6_2635:                             ;   in Loop: Header=BB6_2558 Depth=3
	s_delay_alu instid0(SALU_CYCLE_1)
	s_or_b32 exec_lo, exec_lo, s37
	s_mov_b32 s15, 0
.LBB6_2636:                             ;   in Loop: Header=BB6_2558 Depth=3
	s_delay_alu instid0(SALU_CYCLE_1)
	s_and_not1_b32 vcc_lo, exec_lo, s15
	s_cbranch_vccnz .LBB6_2642
; %bb.2637:                             ;   in Loop: Header=BB6_2558 Depth=3
	s_and_saveexec_b32 s15, s36
	s_cbranch_execz .LBB6_2641
; %bb.2638:                             ;   in Loop: Header=BB6_2558 Depth=3
	s_or_b32 s14, s13, s14
	s_delay_alu instid0(SALU_CYCLE_1)
	s_and_saveexec_b32 s36, s14
; %bb.2639:                             ;   in Loop: Header=BB6_2558 Depth=3
	v_cmp_gt_f16_e64 s14, v113, v119
	v_cmp_lt_u16_e64 vcc_lo, 0x7c00, v128
	s_delay_alu instid0(VALU_DEP_2) | instskip(NEXT) | instid1(VALU_DEP_2)
	v_cndmask_b32_e64 v49, v113, v119, s14
	s_and_b32 s13, s13, vcc_lo
	s_delay_alu instid0(VALU_DEP_1) | instid1(SALU_CYCLE_1)
	v_cndmask_b32_e64 v113, v49, 0x7fff, s13
; %bb.2640:                             ;   in Loop: Header=BB6_2558 Depth=3
	s_or_b32 exec_lo, exec_lo, s36
	s_delay_alu instid0(VALU_DEP_1)
	v_mov_b32_e32 v119, v113
.LBB6_2641:                             ;   in Loop: Header=BB6_2558 Depth=3
	s_or_b32 exec_lo, exec_lo, s15
	s_delay_alu instid0(VALU_DEP_1)
	v_mov_b32_e32 v49, v119
.LBB6_2642:                             ;   in Loop: Header=BB6_2558 Depth=3
	v_and_b32_e32 v113, 0x7fff, v117
	s_waitcnt vmcnt(8) lgkmcnt(8)
	v_and_b32_e32 v119, 0x7fff, v118
	s_mov_b32 s15, -1
	s_and_not1_b32 vcc_lo, exec_lo, s34
	v_cmp_lt_u16_e64 s13, 0x7c00, v113
	s_delay_alu instid0(VALU_DEP_2) | instskip(NEXT) | instid1(VALU_DEP_1)
	v_cmp_gt_u16_e64 s14, 0x7c01, v119
                                        ; implicit-def: $vgpr113
	s_and_b32 s36, s13, s14
	s_delay_alu instid0(SALU_CYCLE_1)
	s_xor_b32 s36, s36, -1
	s_cbranch_vccnz .LBB6_2648
; %bb.2643:                             ;   in Loop: Header=BB6_2558 Depth=3
	v_mov_b32_e32 v113, v118
	s_and_saveexec_b32 s37, s36
	s_cbranch_execz .LBB6_2647
; %bb.2644:                             ;   in Loop: Header=BB6_2558 Depth=3
	v_mov_b32_e32 v113, v117
	s_or_b32 s15, s13, s14
	s_delay_alu instid0(SALU_CYCLE_1)
	s_and_saveexec_b32 s38, s15
; %bb.2645:                             ;   in Loop: Header=BB6_2558 Depth=3
	v_cmp_gt_f16_e64 s15, v117, v118
	v_cmp_lt_u16_e32 vcc_lo, 0x7c00, v119
	s_delay_alu instid0(VALU_DEP_2)
	v_cndmask_b32_e64 v113, v118, v117, s15
	s_and_b32 s15, s13, vcc_lo
	s_delay_alu instid0(VALU_DEP_1) | instid1(SALU_CYCLE_1)
	v_cndmask_b32_e64 v113, v113, 0x7fff, s15
; %bb.2646:                             ;   in Loop: Header=BB6_2558 Depth=3
	s_or_b32 exec_lo, exec_lo, s38
.LBB6_2647:                             ;   in Loop: Header=BB6_2558 Depth=3
	s_delay_alu instid0(SALU_CYCLE_1)
	s_or_b32 exec_lo, exec_lo, s37
	s_mov_b32 s15, 0
.LBB6_2648:                             ;   in Loop: Header=BB6_2558 Depth=3
	s_delay_alu instid0(SALU_CYCLE_1)
	s_and_not1_b32 vcc_lo, exec_lo, s15
	s_cbranch_vccnz .LBB6_2654
; %bb.2649:                             ;   in Loop: Header=BB6_2558 Depth=3
	s_and_saveexec_b32 s15, s36
	s_cbranch_execz .LBB6_2653
; %bb.2650:                             ;   in Loop: Header=BB6_2558 Depth=3
	s_or_b32 s14, s13, s14
	s_delay_alu instid0(SALU_CYCLE_1)
	s_and_saveexec_b32 s36, s14
; %bb.2651:                             ;   in Loop: Header=BB6_2558 Depth=3
	v_cmp_gt_f16_e64 s14, v117, v118
	v_cmp_lt_u16_e32 vcc_lo, 0x7c00, v119
	s_delay_alu instid0(VALU_DEP_2)
	v_cndmask_b32_e64 v113, v117, v118, s14
	s_and_b32 s13, s13, vcc_lo
	s_delay_alu instid0(VALU_DEP_1) | instid1(SALU_CYCLE_1)
	v_cndmask_b32_e64 v117, v113, 0x7fff, s13
; %bb.2652:                             ;   in Loop: Header=BB6_2558 Depth=3
	s_or_b32 exec_lo, exec_lo, s36
	s_delay_alu instid0(VALU_DEP_1)
	v_mov_b32_e32 v118, v117
.LBB6_2653:                             ;   in Loop: Header=BB6_2558 Depth=3
	s_or_b32 exec_lo, exec_lo, s15
	s_delay_alu instid0(VALU_DEP_1)
	v_mov_b32_e32 v113, v118
.LBB6_2654:                             ;   in Loop: Header=BB6_2558 Depth=3
	v_and_b32_e32 v117, 0x7fff, v51
	s_waitcnt vmcnt(7) lgkmcnt(7)
	v_and_b32_e32 v118, 0x7fff, v116
	s_mov_b32 s15, -1
	s_and_not1_b32 vcc_lo, exec_lo, s34
	v_cmp_lt_u16_e64 s13, 0x7c00, v117
	s_delay_alu instid0(VALU_DEP_2) | instskip(NEXT) | instid1(VALU_DEP_1)
	v_cmp_gt_u16_e64 s14, 0x7c01, v118
                                        ; implicit-def: $vgpr117
	s_and_b32 s36, s13, s14
	s_delay_alu instid0(SALU_CYCLE_1)
	s_xor_b32 s36, s36, -1
	s_cbranch_vccnz .LBB6_2660
; %bb.2655:                             ;   in Loop: Header=BB6_2558 Depth=3
	v_mov_b32_e32 v117, v116
	s_and_saveexec_b32 s37, s36
	s_cbranch_execz .LBB6_2659
; %bb.2656:                             ;   in Loop: Header=BB6_2558 Depth=3
	v_mov_b32_e32 v117, v51
	s_or_b32 s15, s13, s14
	s_delay_alu instid0(SALU_CYCLE_1)
	s_and_saveexec_b32 s38, s15
; %bb.2657:                             ;   in Loop: Header=BB6_2558 Depth=3
	v_cmp_gt_f16_e64 s15, v51, v116
	v_cmp_lt_u16_e32 vcc_lo, 0x7c00, v118
	s_delay_alu instid0(VALU_DEP_2)
	v_cndmask_b32_e64 v117, v116, v51, s15
	s_and_b32 s15, s13, vcc_lo
	s_delay_alu instid0(VALU_DEP_1) | instid1(SALU_CYCLE_1)
	v_cndmask_b32_e64 v117, v117, 0x7fff, s15
; %bb.2658:                             ;   in Loop: Header=BB6_2558 Depth=3
	s_or_b32 exec_lo, exec_lo, s38
.LBB6_2659:                             ;   in Loop: Header=BB6_2558 Depth=3
	s_delay_alu instid0(SALU_CYCLE_1)
	s_or_b32 exec_lo, exec_lo, s37
	s_mov_b32 s15, 0
.LBB6_2660:                             ;   in Loop: Header=BB6_2558 Depth=3
	s_delay_alu instid0(SALU_CYCLE_1)
	s_and_not1_b32 vcc_lo, exec_lo, s15
	s_cbranch_vccnz .LBB6_2666
; %bb.2661:                             ;   in Loop: Header=BB6_2558 Depth=3
	s_and_saveexec_b32 s15, s36
	s_cbranch_execz .LBB6_2665
; %bb.2662:                             ;   in Loop: Header=BB6_2558 Depth=3
	s_or_b32 s14, s13, s14
	s_delay_alu instid0(SALU_CYCLE_1)
	s_and_saveexec_b32 s36, s14
; %bb.2663:                             ;   in Loop: Header=BB6_2558 Depth=3
	v_cmp_gt_f16_e64 s14, v51, v116
	v_cmp_lt_u16_e32 vcc_lo, 0x7c00, v118
	s_delay_alu instid0(VALU_DEP_2)
	v_cndmask_b32_e64 v51, v51, v116, s14
	s_and_b32 s13, s13, vcc_lo
	s_delay_alu instid0(VALU_DEP_1) | instid1(SALU_CYCLE_1)
	v_cndmask_b32_e64 v51, v51, 0x7fff, s13
; %bb.2664:                             ;   in Loop: Header=BB6_2558 Depth=3
	s_or_b32 exec_lo, exec_lo, s36
	s_delay_alu instid0(VALU_DEP_1)
	v_mov_b32_e32 v116, v51
.LBB6_2665:                             ;   in Loop: Header=BB6_2558 Depth=3
	s_or_b32 exec_lo, exec_lo, s15
	s_delay_alu instid0(VALU_DEP_1)
	v_mov_b32_e32 v117, v116
.LBB6_2666:                             ;   in Loop: Header=BB6_2558 Depth=3
	v_and_b32_e32 v51, 0x7fff, v48
	s_waitcnt vmcnt(6) lgkmcnt(6)
	v_and_b32_e32 v116, 0x7fff, v50
	s_mov_b32 s15, -1
	s_and_not1_b32 vcc_lo, exec_lo, s34
	v_cmp_lt_u16_e64 s13, 0x7c00, v51
	s_delay_alu instid0(VALU_DEP_2) | instskip(NEXT) | instid1(VALU_DEP_1)
	v_cmp_gt_u16_e64 s14, 0x7c01, v116
                                        ; implicit-def: $vgpr51
	s_and_b32 s36, s13, s14
	s_delay_alu instid0(SALU_CYCLE_1)
	s_xor_b32 s36, s36, -1
	s_cbranch_vccnz .LBB6_2672
; %bb.2667:                             ;   in Loop: Header=BB6_2558 Depth=3
	v_mov_b32_e32 v51, v50
	s_and_saveexec_b32 s37, s36
	s_cbranch_execz .LBB6_2671
; %bb.2668:                             ;   in Loop: Header=BB6_2558 Depth=3
	v_mov_b32_e32 v51, v48
	s_or_b32 s15, s13, s14
	s_delay_alu instid0(SALU_CYCLE_1)
	s_and_saveexec_b32 s38, s15
; %bb.2669:                             ;   in Loop: Header=BB6_2558 Depth=3
	v_cmp_gt_f16_e64 s15, v48, v50
	v_cmp_lt_u16_e32 vcc_lo, 0x7c00, v116
	s_delay_alu instid0(VALU_DEP_2)
	v_cndmask_b32_e64 v51, v50, v48, s15
	s_and_b32 s15, s13, vcc_lo
	s_delay_alu instid0(VALU_DEP_1) | instid1(SALU_CYCLE_1)
	v_cndmask_b32_e64 v51, v51, 0x7fff, s15
; %bb.2670:                             ;   in Loop: Header=BB6_2558 Depth=3
	s_or_b32 exec_lo, exec_lo, s38
.LBB6_2671:                             ;   in Loop: Header=BB6_2558 Depth=3
	s_delay_alu instid0(SALU_CYCLE_1)
	s_or_b32 exec_lo, exec_lo, s37
	s_mov_b32 s15, 0
.LBB6_2672:                             ;   in Loop: Header=BB6_2558 Depth=3
	s_delay_alu instid0(SALU_CYCLE_1)
	s_and_not1_b32 vcc_lo, exec_lo, s15
	s_cbranch_vccnz .LBB6_2678
; %bb.2673:                             ;   in Loop: Header=BB6_2558 Depth=3
	s_and_saveexec_b32 s15, s36
	s_cbranch_execz .LBB6_2677
; %bb.2674:                             ;   in Loop: Header=BB6_2558 Depth=3
	s_or_b32 s14, s13, s14
	s_delay_alu instid0(SALU_CYCLE_1)
	s_and_saveexec_b32 s36, s14
; %bb.2675:                             ;   in Loop: Header=BB6_2558 Depth=3
	v_cmp_gt_f16_e64 s14, v48, v50
	v_cmp_lt_u16_e32 vcc_lo, 0x7c00, v116
	s_delay_alu instid0(VALU_DEP_2)
	v_cndmask_b32_e64 v48, v48, v50, s14
	s_and_b32 s13, s13, vcc_lo
	s_delay_alu instid0(VALU_DEP_1) | instid1(SALU_CYCLE_1)
	v_cndmask_b32_e64 v48, v48, 0x7fff, s13
; %bb.2676:                             ;   in Loop: Header=BB6_2558 Depth=3
	s_or_b32 exec_lo, exec_lo, s36
	s_delay_alu instid0(VALU_DEP_1)
	v_mov_b32_e32 v50, v48
.LBB6_2677:                             ;   in Loop: Header=BB6_2558 Depth=3
	s_or_b32 exec_lo, exec_lo, s15
	s_delay_alu instid0(VALU_DEP_1)
	v_mov_b32_e32 v51, v50
.LBB6_2678:                             ;   in Loop: Header=BB6_2558 Depth=3
	v_and_b32_e32 v48, 0x7fff, v37
	s_waitcnt vmcnt(5) lgkmcnt(5)
	v_and_b32_e32 v50, 0x7fff, v39
	s_mov_b32 s15, -1
	s_and_not1_b32 vcc_lo, exec_lo, s34
	v_cmp_lt_u16_e64 s13, 0x7c00, v48
	s_delay_alu instid0(VALU_DEP_2) | instskip(NEXT) | instid1(VALU_DEP_1)
	v_cmp_gt_u16_e64 s14, 0x7c01, v50
                                        ; implicit-def: $vgpr48
	s_and_b32 s36, s13, s14
	s_delay_alu instid0(SALU_CYCLE_1)
	s_xor_b32 s36, s36, -1
	s_cbranch_vccnz .LBB6_2684
; %bb.2679:                             ;   in Loop: Header=BB6_2558 Depth=3
	v_mov_b32_e32 v48, v39
	s_and_saveexec_b32 s37, s36
	s_cbranch_execz .LBB6_2683
; %bb.2680:                             ;   in Loop: Header=BB6_2558 Depth=3
	v_mov_b32_e32 v48, v37
	s_or_b32 s15, s13, s14
	s_delay_alu instid0(SALU_CYCLE_1)
	s_and_saveexec_b32 s38, s15
; %bb.2681:                             ;   in Loop: Header=BB6_2558 Depth=3
	v_cmp_gt_f16_e64 s15, v37, v39
	v_cmp_lt_u16_e32 vcc_lo, 0x7c00, v50
	s_delay_alu instid0(VALU_DEP_2)
	v_cndmask_b32_e64 v48, v39, v37, s15
	s_and_b32 s15, s13, vcc_lo
	s_delay_alu instid0(VALU_DEP_1) | instid1(SALU_CYCLE_1)
	v_cndmask_b32_e64 v48, v48, 0x7fff, s15
; %bb.2682:                             ;   in Loop: Header=BB6_2558 Depth=3
	s_or_b32 exec_lo, exec_lo, s38
.LBB6_2683:                             ;   in Loop: Header=BB6_2558 Depth=3
	s_delay_alu instid0(SALU_CYCLE_1)
	s_or_b32 exec_lo, exec_lo, s37
	s_mov_b32 s15, 0
.LBB6_2684:                             ;   in Loop: Header=BB6_2558 Depth=3
	s_delay_alu instid0(SALU_CYCLE_1)
	s_and_not1_b32 vcc_lo, exec_lo, s15
	s_cbranch_vccnz .LBB6_2690
; %bb.2685:                             ;   in Loop: Header=BB6_2558 Depth=3
	s_and_saveexec_b32 s15, s36
	s_cbranch_execz .LBB6_2689
; %bb.2686:                             ;   in Loop: Header=BB6_2558 Depth=3
	s_or_b32 s14, s13, s14
	s_delay_alu instid0(SALU_CYCLE_1)
	s_and_saveexec_b32 s36, s14
; %bb.2687:                             ;   in Loop: Header=BB6_2558 Depth=3
	v_cmp_gt_f16_e64 s14, v37, v39
	v_cmp_lt_u16_e32 vcc_lo, 0x7c00, v50
	s_delay_alu instid0(VALU_DEP_2)
	v_cndmask_b32_e64 v37, v37, v39, s14
	s_and_b32 s13, s13, vcc_lo
	s_delay_alu instid0(VALU_DEP_1) | instid1(SALU_CYCLE_1)
	v_cndmask_b32_e64 v37, v37, 0x7fff, s13
; %bb.2688:                             ;   in Loop: Header=BB6_2558 Depth=3
	s_or_b32 exec_lo, exec_lo, s36
	s_delay_alu instid0(VALU_DEP_1)
	v_mov_b32_e32 v39, v37
.LBB6_2689:                             ;   in Loop: Header=BB6_2558 Depth=3
	s_or_b32 exec_lo, exec_lo, s15
	s_delay_alu instid0(VALU_DEP_1)
	v_mov_b32_e32 v48, v39
.LBB6_2690:                             ;   in Loop: Header=BB6_2558 Depth=3
	v_and_b32_e32 v37, 0x7fff, v34
	s_waitcnt vmcnt(4) lgkmcnt(4)
	v_and_b32_e32 v39, 0x7fff, v35
	s_mov_b32 s15, -1
	s_and_not1_b32 vcc_lo, exec_lo, s34
	v_cmp_lt_u16_e64 s13, 0x7c00, v37
	s_delay_alu instid0(VALU_DEP_2) | instskip(NEXT) | instid1(VALU_DEP_1)
	v_cmp_gt_u16_e64 s14, 0x7c01, v39
                                        ; implicit-def: $vgpr37
	s_and_b32 s36, s13, s14
	s_delay_alu instid0(SALU_CYCLE_1)
	s_xor_b32 s36, s36, -1
	s_cbranch_vccnz .LBB6_2696
; %bb.2691:                             ;   in Loop: Header=BB6_2558 Depth=3
	v_mov_b32_e32 v37, v35
	s_and_saveexec_b32 s37, s36
	s_cbranch_execz .LBB6_2695
; %bb.2692:                             ;   in Loop: Header=BB6_2558 Depth=3
	v_mov_b32_e32 v37, v34
	s_or_b32 s15, s13, s14
	s_delay_alu instid0(SALU_CYCLE_1)
	s_and_saveexec_b32 s38, s15
; %bb.2693:                             ;   in Loop: Header=BB6_2558 Depth=3
	v_cmp_gt_f16_e64 s15, v34, v35
	v_cmp_lt_u16_e32 vcc_lo, 0x7c00, v39
	s_delay_alu instid0(VALU_DEP_2)
	v_cndmask_b32_e64 v37, v35, v34, s15
	s_and_b32 s15, s13, vcc_lo
	s_delay_alu instid0(VALU_DEP_1) | instid1(SALU_CYCLE_1)
	v_cndmask_b32_e64 v37, v37, 0x7fff, s15
; %bb.2694:                             ;   in Loop: Header=BB6_2558 Depth=3
	s_or_b32 exec_lo, exec_lo, s38
.LBB6_2695:                             ;   in Loop: Header=BB6_2558 Depth=3
	s_delay_alu instid0(SALU_CYCLE_1)
	s_or_b32 exec_lo, exec_lo, s37
	s_mov_b32 s15, 0
.LBB6_2696:                             ;   in Loop: Header=BB6_2558 Depth=3
	s_delay_alu instid0(SALU_CYCLE_1)
	s_and_not1_b32 vcc_lo, exec_lo, s15
	s_cbranch_vccnz .LBB6_2702
; %bb.2697:                             ;   in Loop: Header=BB6_2558 Depth=3
	s_and_saveexec_b32 s15, s36
	s_cbranch_execz .LBB6_2701
; %bb.2698:                             ;   in Loop: Header=BB6_2558 Depth=3
	s_or_b32 s14, s13, s14
	s_delay_alu instid0(SALU_CYCLE_1)
	s_and_saveexec_b32 s36, s14
; %bb.2699:                             ;   in Loop: Header=BB6_2558 Depth=3
	v_cmp_gt_f16_e64 s14, v34, v35
	v_cmp_lt_u16_e32 vcc_lo, 0x7c00, v39
	s_delay_alu instid0(VALU_DEP_2)
	v_cndmask_b32_e64 v34, v34, v35, s14
	s_and_b32 s13, s13, vcc_lo
	s_delay_alu instid0(VALU_DEP_1) | instid1(SALU_CYCLE_1)
	v_cndmask_b32_e64 v34, v34, 0x7fff, s13
; %bb.2700:                             ;   in Loop: Header=BB6_2558 Depth=3
	s_or_b32 exec_lo, exec_lo, s36
	s_delay_alu instid0(VALU_DEP_1)
	v_mov_b32_e32 v35, v34
.LBB6_2701:                             ;   in Loop: Header=BB6_2558 Depth=3
	s_or_b32 exec_lo, exec_lo, s15
	s_delay_alu instid0(VALU_DEP_1)
	v_mov_b32_e32 v37, v35
.LBB6_2702:                             ;   in Loop: Header=BB6_2558 Depth=3
	v_and_b32_e32 v34, 0x7fff, v27
	s_waitcnt vmcnt(3) lgkmcnt(3)
	v_and_b32_e32 v35, 0x7fff, v32
	s_mov_b32 s15, -1
	s_and_not1_b32 vcc_lo, exec_lo, s34
	v_cmp_lt_u16_e64 s13, 0x7c00, v34
	s_delay_alu instid0(VALU_DEP_2) | instskip(NEXT) | instid1(VALU_DEP_1)
	v_cmp_gt_u16_e64 s14, 0x7c01, v35
                                        ; implicit-def: $vgpr34
	s_and_b32 s36, s13, s14
	s_delay_alu instid0(SALU_CYCLE_1)
	s_xor_b32 s36, s36, -1
	s_cbranch_vccnz .LBB6_2708
; %bb.2703:                             ;   in Loop: Header=BB6_2558 Depth=3
	v_mov_b32_e32 v34, v32
	s_and_saveexec_b32 s37, s36
	s_cbranch_execz .LBB6_2707
; %bb.2704:                             ;   in Loop: Header=BB6_2558 Depth=3
	v_mov_b32_e32 v34, v27
	s_or_b32 s15, s13, s14
	s_delay_alu instid0(SALU_CYCLE_1)
	s_and_saveexec_b32 s38, s15
; %bb.2705:                             ;   in Loop: Header=BB6_2558 Depth=3
	v_cmp_gt_f16_e64 s15, v27, v32
	v_cmp_lt_u16_e32 vcc_lo, 0x7c00, v35
	s_delay_alu instid0(VALU_DEP_2)
	v_cndmask_b32_e64 v34, v32, v27, s15
	s_and_b32 s15, s13, vcc_lo
	s_delay_alu instid0(VALU_DEP_1) | instid1(SALU_CYCLE_1)
	v_cndmask_b32_e64 v34, v34, 0x7fff, s15
; %bb.2706:                             ;   in Loop: Header=BB6_2558 Depth=3
	s_or_b32 exec_lo, exec_lo, s38
.LBB6_2707:                             ;   in Loop: Header=BB6_2558 Depth=3
	s_delay_alu instid0(SALU_CYCLE_1)
	s_or_b32 exec_lo, exec_lo, s37
	s_mov_b32 s15, 0
.LBB6_2708:                             ;   in Loop: Header=BB6_2558 Depth=3
	s_delay_alu instid0(SALU_CYCLE_1)
	s_and_not1_b32 vcc_lo, exec_lo, s15
	s_cbranch_vccnz .LBB6_2714
; %bb.2709:                             ;   in Loop: Header=BB6_2558 Depth=3
	s_and_saveexec_b32 s15, s36
	s_cbranch_execz .LBB6_2713
; %bb.2710:                             ;   in Loop: Header=BB6_2558 Depth=3
	s_or_b32 s14, s13, s14
	s_delay_alu instid0(SALU_CYCLE_1)
	s_and_saveexec_b32 s36, s14
; %bb.2711:                             ;   in Loop: Header=BB6_2558 Depth=3
	v_cmp_gt_f16_e64 s14, v27, v32
	v_cmp_lt_u16_e32 vcc_lo, 0x7c00, v35
	s_delay_alu instid0(VALU_DEP_2)
	v_cndmask_b32_e64 v27, v27, v32, s14
	s_and_b32 s13, s13, vcc_lo
	s_delay_alu instid0(VALU_DEP_1) | instid1(SALU_CYCLE_1)
	v_cndmask_b32_e64 v27, v27, 0x7fff, s13
; %bb.2712:                             ;   in Loop: Header=BB6_2558 Depth=3
	s_or_b32 exec_lo, exec_lo, s36
	s_delay_alu instid0(VALU_DEP_1)
	v_mov_b32_e32 v32, v27
.LBB6_2713:                             ;   in Loop: Header=BB6_2558 Depth=3
	s_or_b32 exec_lo, exec_lo, s15
	s_delay_alu instid0(VALU_DEP_1)
	v_mov_b32_e32 v34, v32
.LBB6_2714:                             ;   in Loop: Header=BB6_2558 Depth=3
	v_and_b32_e32 v27, 0x7fff, v24
	s_waitcnt vmcnt(2) lgkmcnt(2)
	v_and_b32_e32 v32, 0x7fff, v25
	s_mov_b32 s15, -1
	s_and_not1_b32 vcc_lo, exec_lo, s34
	v_cmp_lt_u16_e64 s13, 0x7c00, v27
	s_delay_alu instid0(VALU_DEP_2) | instskip(NEXT) | instid1(VALU_DEP_1)
	v_cmp_gt_u16_e64 s14, 0x7c01, v32
                                        ; implicit-def: $vgpr27
	s_and_b32 s36, s13, s14
	s_delay_alu instid0(SALU_CYCLE_1)
	s_xor_b32 s36, s36, -1
	s_cbranch_vccnz .LBB6_2720
; %bb.2715:                             ;   in Loop: Header=BB6_2558 Depth=3
	v_mov_b32_e32 v27, v25
	s_and_saveexec_b32 s37, s36
	s_cbranch_execz .LBB6_2719
; %bb.2716:                             ;   in Loop: Header=BB6_2558 Depth=3
	v_mov_b32_e32 v27, v24
	s_or_b32 s15, s13, s14
	s_delay_alu instid0(SALU_CYCLE_1)
	s_and_saveexec_b32 s38, s15
; %bb.2717:                             ;   in Loop: Header=BB6_2558 Depth=3
	v_cmp_gt_f16_e64 s15, v24, v25
	v_cmp_lt_u16_e32 vcc_lo, 0x7c00, v32
	s_delay_alu instid0(VALU_DEP_2)
	v_cndmask_b32_e64 v27, v25, v24, s15
	s_and_b32 s15, s13, vcc_lo
	s_delay_alu instid0(VALU_DEP_1) | instid1(SALU_CYCLE_1)
	v_cndmask_b32_e64 v27, v27, 0x7fff, s15
; %bb.2718:                             ;   in Loop: Header=BB6_2558 Depth=3
	s_or_b32 exec_lo, exec_lo, s38
.LBB6_2719:                             ;   in Loop: Header=BB6_2558 Depth=3
	s_delay_alu instid0(SALU_CYCLE_1)
	s_or_b32 exec_lo, exec_lo, s37
	s_mov_b32 s15, 0
.LBB6_2720:                             ;   in Loop: Header=BB6_2558 Depth=3
	s_delay_alu instid0(SALU_CYCLE_1)
	s_and_not1_b32 vcc_lo, exec_lo, s15
	s_cbranch_vccnz .LBB6_2726
; %bb.2721:                             ;   in Loop: Header=BB6_2558 Depth=3
	s_and_saveexec_b32 s15, s36
	s_cbranch_execz .LBB6_2725
; %bb.2722:                             ;   in Loop: Header=BB6_2558 Depth=3
	s_or_b32 s14, s13, s14
	s_delay_alu instid0(SALU_CYCLE_1)
	s_and_saveexec_b32 s36, s14
; %bb.2723:                             ;   in Loop: Header=BB6_2558 Depth=3
	v_cmp_gt_f16_e64 s14, v24, v25
	v_cmp_lt_u16_e32 vcc_lo, 0x7c00, v32
	s_delay_alu instid0(VALU_DEP_2)
	v_cndmask_b32_e64 v24, v24, v25, s14
	s_and_b32 s13, s13, vcc_lo
	s_delay_alu instid0(VALU_DEP_1) | instid1(SALU_CYCLE_1)
	v_cndmask_b32_e64 v24, v24, 0x7fff, s13
; %bb.2724:                             ;   in Loop: Header=BB6_2558 Depth=3
	s_or_b32 exec_lo, exec_lo, s36
	s_delay_alu instid0(VALU_DEP_1)
	v_mov_b32_e32 v25, v24
.LBB6_2725:                             ;   in Loop: Header=BB6_2558 Depth=3
	s_or_b32 exec_lo, exec_lo, s15
	s_delay_alu instid0(VALU_DEP_1)
	v_mov_b32_e32 v27, v25
.LBB6_2726:                             ;   in Loop: Header=BB6_2558 Depth=3
	v_and_b32_e32 v24, 0x7fff, v21
	s_waitcnt vmcnt(1) lgkmcnt(1)
	v_and_b32_e32 v25, 0x7fff, v22
	s_mov_b32 s15, -1
	s_and_not1_b32 vcc_lo, exec_lo, s34
	v_cmp_lt_u16_e64 s13, 0x7c00, v24
	s_delay_alu instid0(VALU_DEP_2) | instskip(NEXT) | instid1(VALU_DEP_1)
	v_cmp_gt_u16_e64 s14, 0x7c01, v25
                                        ; implicit-def: $vgpr24
	s_and_b32 s36, s13, s14
	s_delay_alu instid0(SALU_CYCLE_1)
	s_xor_b32 s36, s36, -1
	s_cbranch_vccnz .LBB6_2732
; %bb.2727:                             ;   in Loop: Header=BB6_2558 Depth=3
	v_mov_b32_e32 v24, v22
	s_and_saveexec_b32 s37, s36
	s_cbranch_execz .LBB6_2731
; %bb.2728:                             ;   in Loop: Header=BB6_2558 Depth=3
	v_mov_b32_e32 v24, v21
	s_or_b32 s15, s13, s14
	s_delay_alu instid0(SALU_CYCLE_1)
	s_and_saveexec_b32 s38, s15
; %bb.2729:                             ;   in Loop: Header=BB6_2558 Depth=3
	v_cmp_gt_f16_e64 s15, v21, v22
	v_cmp_lt_u16_e32 vcc_lo, 0x7c00, v25
	s_delay_alu instid0(VALU_DEP_2)
	v_cndmask_b32_e64 v24, v22, v21, s15
	s_and_b32 s15, s13, vcc_lo
	s_delay_alu instid0(VALU_DEP_1) | instid1(SALU_CYCLE_1)
	v_cndmask_b32_e64 v24, v24, 0x7fff, s15
; %bb.2730:                             ;   in Loop: Header=BB6_2558 Depth=3
	s_or_b32 exec_lo, exec_lo, s38
.LBB6_2731:                             ;   in Loop: Header=BB6_2558 Depth=3
	s_delay_alu instid0(SALU_CYCLE_1)
	s_or_b32 exec_lo, exec_lo, s37
	s_mov_b32 s15, 0
.LBB6_2732:                             ;   in Loop: Header=BB6_2558 Depth=3
	s_delay_alu instid0(SALU_CYCLE_1)
	s_and_not1_b32 vcc_lo, exec_lo, s15
	s_cbranch_vccnz .LBB6_2738
; %bb.2733:                             ;   in Loop: Header=BB6_2558 Depth=3
	s_and_saveexec_b32 s15, s36
	s_cbranch_execz .LBB6_2737
; %bb.2734:                             ;   in Loop: Header=BB6_2558 Depth=3
	s_or_b32 s14, s13, s14
	s_delay_alu instid0(SALU_CYCLE_1)
	s_and_saveexec_b32 s36, s14
; %bb.2735:                             ;   in Loop: Header=BB6_2558 Depth=3
	v_cmp_gt_f16_e64 s14, v21, v22
	v_cmp_lt_u16_e32 vcc_lo, 0x7c00, v25
	s_delay_alu instid0(VALU_DEP_2)
	v_cndmask_b32_e64 v21, v21, v22, s14
	s_and_b32 s13, s13, vcc_lo
	s_delay_alu instid0(VALU_DEP_1) | instid1(SALU_CYCLE_1)
	v_cndmask_b32_e64 v21, v21, 0x7fff, s13
; %bb.2736:                             ;   in Loop: Header=BB6_2558 Depth=3
	s_or_b32 exec_lo, exec_lo, s36
	s_delay_alu instid0(VALU_DEP_1)
	v_mov_b32_e32 v22, v21
.LBB6_2737:                             ;   in Loop: Header=BB6_2558 Depth=3
	s_or_b32 exec_lo, exec_lo, s15
	s_delay_alu instid0(VALU_DEP_1)
	v_mov_b32_e32 v24, v22
.LBB6_2738:                             ;   in Loop: Header=BB6_2558 Depth=3
	v_and_b32_e32 v21, 0x7fff, v18
	s_waitcnt vmcnt(0) lgkmcnt(0)
	v_and_b32_e32 v22, 0x7fff, v19
	s_mov_b32 s15, -1
	s_and_not1_b32 vcc_lo, exec_lo, s34
	v_cmp_lt_u16_e64 s13, 0x7c00, v21
	s_delay_alu instid0(VALU_DEP_2) | instskip(NEXT) | instid1(VALU_DEP_1)
	v_cmp_gt_u16_e64 s14, 0x7c01, v22
                                        ; implicit-def: $vgpr21
	s_and_b32 s36, s13, s14
	s_delay_alu instid0(SALU_CYCLE_1)
	s_xor_b32 s36, s36, -1
	s_cbranch_vccnz .LBB6_2744
; %bb.2739:                             ;   in Loop: Header=BB6_2558 Depth=3
	v_mov_b32_e32 v21, v19
	s_and_saveexec_b32 s37, s36
	s_cbranch_execz .LBB6_2743
; %bb.2740:                             ;   in Loop: Header=BB6_2558 Depth=3
	v_mov_b32_e32 v21, v18
	s_or_b32 s15, s13, s14
	s_delay_alu instid0(SALU_CYCLE_1)
	s_and_saveexec_b32 s38, s15
; %bb.2741:                             ;   in Loop: Header=BB6_2558 Depth=3
	v_cmp_gt_f16_e64 s15, v18, v19
	v_cmp_lt_u16_e32 vcc_lo, 0x7c00, v22
	s_delay_alu instid0(VALU_DEP_2)
	v_cndmask_b32_e64 v21, v19, v18, s15
	s_and_b32 s15, s13, vcc_lo
	s_delay_alu instid0(VALU_DEP_1) | instid1(SALU_CYCLE_1)
	v_cndmask_b32_e64 v21, v21, 0x7fff, s15
; %bb.2742:                             ;   in Loop: Header=BB6_2558 Depth=3
	s_or_b32 exec_lo, exec_lo, s38
.LBB6_2743:                             ;   in Loop: Header=BB6_2558 Depth=3
	s_delay_alu instid0(SALU_CYCLE_1)
	s_or_b32 exec_lo, exec_lo, s37
	s_mov_b32 s15, 0
.LBB6_2744:                             ;   in Loop: Header=BB6_2558 Depth=3
	s_delay_alu instid0(SALU_CYCLE_1)
	s_and_not1_b32 vcc_lo, exec_lo, s15
	s_cbranch_vccnz .LBB6_2557
; %bb.2745:                             ;   in Loop: Header=BB6_2558 Depth=3
	s_and_saveexec_b32 s15, s36
	s_cbranch_execz .LBB6_2556
; %bb.2746:                             ;   in Loop: Header=BB6_2558 Depth=3
	s_or_b32 s14, s13, s14
	s_delay_alu instid0(SALU_CYCLE_1)
	s_and_saveexec_b32 s36, s14
	s_cbranch_execz .LBB6_2555
; %bb.2747:                             ;   in Loop: Header=BB6_2558 Depth=3
	v_cmp_gt_f16_e64 s14, v18, v19
	v_cmp_lt_u16_e32 vcc_lo, 0x7c00, v22
	s_delay_alu instid0(VALU_DEP_2)
	v_cndmask_b32_e64 v18, v18, v19, s14
	s_and_b32 s13, s13, vcc_lo
	s_delay_alu instid0(VALU_DEP_1) | instid1(SALU_CYCLE_1)
	v_cndmask_b32_e64 v18, v18, 0x7fff, s13
	s_branch .LBB6_2555
.LBB6_2748:                             ;   in Loop: Header=BB6_1249 Depth=2
	s_or_b32 exec_lo, exec_lo, s35
.LBB6_2749:                             ;   in Loop: Header=BB6_1249 Depth=2
	s_delay_alu instid0(SALU_CYCLE_1) | instskip(SKIP_2) | instid1(VALU_DEP_1)
	s_or_b32 exec_lo, exec_lo, s31
	v_lshlrev_b32_e32 v8, 10, v17
	s_mov_b32 s31, exec_lo
	v_cmpx_ne_u32_e64 v2, v8
	s_cbranch_execz .LBB6_2766
; %bb.2750:                             ;   in Loop: Header=BB6_1249 Depth=2
	v_ashrrev_i32_e32 v9, 31, v15
	v_lshlrev_b32_e32 v10, 5, v16
	s_delay_alu instid0(VALU_DEP_2) | instskip(NEXT) | instid1(VALU_DEP_1)
	v_lshrrev_b32_e32 v9, 27, v9
	v_add_nc_u32_e32 v9, v15, v9
	s_delay_alu instid0(VALU_DEP_1) | instskip(NEXT) | instid1(VALU_DEP_1)
	v_and_b32_e32 v9, 0xffffffe0, v9
	v_sub_nc_u32_e32 v9, v15, v9
	s_delay_alu instid0(VALU_DEP_1) | instskip(NEXT) | instid1(VALU_DEP_1)
	v_sub_nc_u32_e32 v9, v9, v10
	v_ashrrev_i32_e32 v10, 31, v9
	s_delay_alu instid0(VALU_DEP_1) | instskip(NEXT) | instid1(VALU_DEP_1)
	v_lshrrev_b32_e32 v10, 27, v10
	v_add_nc_u32_e32 v10, v9, v10
	s_delay_alu instid0(VALU_DEP_1) | instskip(SKIP_1) | instid1(VALU_DEP_2)
	v_and_b32_e32 v11, 0x7fffffe0, v10
	v_lshlrev_b32_e32 v10, 1, v10
	v_sub_nc_u32_e32 v9, v9, v11
	s_delay_alu instid0(VALU_DEP_2) | instskip(NEXT) | instid1(VALU_DEP_2)
	v_and_b32_e32 v10, 0xffffffc0, v10
	v_lshlrev_b32_e32 v9, 1, v9
	s_delay_alu instid0(VALU_DEP_1) | instskip(NEXT) | instid1(VALU_DEP_1)
	v_add3_u32 v8, v10, v9, v8
	v_sub_nc_u32_e32 v2, v2, v8
	s_delay_alu instid0(VALU_DEP_1)
	v_cmp_lt_i32_e32 vcc_lo, 1, v2
	s_and_b32 exec_lo, exec_lo, vcc_lo
	s_cbranch_execz .LBB6_2766
; %bb.2751:                             ;   in Loop: Header=BB6_1249 Depth=2
	s_cbranch_execnz .LBB6_3891
; %bb.2752:                             ;   in Loop: Header=BB6_1249 Depth=2
	ds_load_b128 v[9:12], v0
	ds_load_b64 v[15:16], v0
	v_add_nc_u32_e32 v13, v8, v14
	s_bitcmp1_b32 s30, 0
	s_mov_b32 s30, 0
	s_cselect_b32 s34, -1, 0
	s_delay_alu instid0(VALU_DEP_1) | instskip(SKIP_2) | instid1(VALU_DEP_2)
	v_ashrrev_i32_e32 v14, 31, v13
	s_waitcnt lgkmcnt(1)
	v_add_co_u32 v8, vcc_lo, v9, v13
	v_add_co_ci_u32_e32 v9, vcc_lo, v10, v14, vcc_lo
	v_add_co_u32 v10, vcc_lo, v11, v13
	v_add_co_ci_u32_e32 v11, vcc_lo, v12, v14, vcc_lo
	s_waitcnt lgkmcnt(0)
	v_add_co_u32 v12, vcc_lo, v15, v13
	v_add_co_ci_u32_e32 v13, vcc_lo, v16, v14, vcc_lo
	s_branch .LBB6_2756
.LBB6_2753:                             ;   in Loop: Header=BB6_2756 Depth=3
	s_or_b32 exec_lo, exec_lo, s35
	s_delay_alu instid0(VALU_DEP_1)
	v_mov_b32_e32 v15, v14
.LBB6_2754:                             ;   in Loop: Header=BB6_2756 Depth=3
	s_or_b32 exec_lo, exec_lo, s15
	s_delay_alu instid0(VALU_DEP_1)
	v_mov_b32_e32 v17, v15
.LBB6_2755:                             ;   in Loop: Header=BB6_2756 Depth=3
	v_add_co_u32 v8, vcc_lo, v8, v176
	v_sub_nc_u32_e32 v2, v2, v161
	v_add_co_ci_u32_e32 v9, vcc_lo, v9, v177, vcc_lo
	v_add_co_u32 v10, vcc_lo, v10, v176
	v_add_co_ci_u32_e32 v11, vcc_lo, v11, v177, vcc_lo
	flat_store_b16 v[12:13], v17 glc slc dlc
	v_cmp_gt_i32_e32 vcc_lo, 2, v2
	v_add_co_u32 v12, s13, v12, v176
	s_delay_alu instid0(VALU_DEP_1) | instskip(SKIP_1) | instid1(SALU_CYCLE_1)
	v_add_co_ci_u32_e64 v13, s13, v13, v177, s13
	s_or_b32 s30, vcc_lo, s30
	s_and_not1_b32 exec_lo, exec_lo, s30
	s_cbranch_execz .LBB6_2766
.LBB6_2756:                             ;   Parent Loop BB6_51 Depth=1
                                        ;     Parent Loop BB6_1249 Depth=2
                                        ; =>    This Inner Loop Header: Depth=3
	flat_load_u16 v14, v[8:9] slc dlc
	flat_load_u16 v15, v[10:11] slc dlc
	s_mov_b32 s15, -1
	s_and_b32 vcc_lo, exec_lo, s34
	s_waitcnt vmcnt(1) lgkmcnt(1)
	v_and_b32_e32 v17, 0x7fff, v14
	s_waitcnt vmcnt(0) lgkmcnt(0)
	v_and_b32_e32 v16, 0x7fff, v15
	s_delay_alu instid0(VALU_DEP_2) | instskip(NEXT) | instid1(VALU_DEP_2)
	v_cmp_lt_u16_e64 s13, 0x7c00, v17
	v_cmp_gt_u16_e64 s14, 0x7c01, v16
                                        ; implicit-def: $vgpr17
	s_delay_alu instid0(VALU_DEP_1) | instskip(NEXT) | instid1(SALU_CYCLE_1)
	s_and_b32 s35, s13, s14
	s_xor_b32 s35, s35, -1
	s_cbranch_vccz .LBB6_2762
; %bb.2757:                             ;   in Loop: Header=BB6_2756 Depth=3
	v_mov_b32_e32 v17, v15
	s_and_saveexec_b32 s36, s35
	s_cbranch_execz .LBB6_2761
; %bb.2758:                             ;   in Loop: Header=BB6_2756 Depth=3
	v_mov_b32_e32 v17, v14
	s_or_b32 s15, s13, s14
	s_delay_alu instid0(SALU_CYCLE_1)
	s_and_saveexec_b32 s37, s15
; %bb.2759:                             ;   in Loop: Header=BB6_2756 Depth=3
	v_cmp_gt_f16_e64 s15, v14, v15
	v_cmp_lt_u16_e32 vcc_lo, 0x7c00, v16
	s_delay_alu instid0(VALU_DEP_2)
	v_cndmask_b32_e64 v17, v15, v14, s15
	s_and_b32 s15, s13, vcc_lo
	s_delay_alu instid0(VALU_DEP_1) | instid1(SALU_CYCLE_1)
	v_cndmask_b32_e64 v17, v17, 0x7fff, s15
; %bb.2760:                             ;   in Loop: Header=BB6_2756 Depth=3
	s_or_b32 exec_lo, exec_lo, s37
.LBB6_2761:                             ;   in Loop: Header=BB6_2756 Depth=3
	s_delay_alu instid0(SALU_CYCLE_1)
	s_or_b32 exec_lo, exec_lo, s36
	s_mov_b32 s15, 0
.LBB6_2762:                             ;   in Loop: Header=BB6_2756 Depth=3
	s_delay_alu instid0(SALU_CYCLE_1)
	s_and_not1_b32 vcc_lo, exec_lo, s15
	s_cbranch_vccnz .LBB6_2755
; %bb.2763:                             ;   in Loop: Header=BB6_2756 Depth=3
	s_and_saveexec_b32 s15, s35
	s_cbranch_execz .LBB6_2754
; %bb.2764:                             ;   in Loop: Header=BB6_2756 Depth=3
	s_or_b32 s14, s13, s14
	s_delay_alu instid0(SALU_CYCLE_1)
	s_and_saveexec_b32 s35, s14
	s_cbranch_execz .LBB6_2753
; %bb.2765:                             ;   in Loop: Header=BB6_2756 Depth=3
	v_cmp_gt_f16_e64 s14, v14, v15
	v_cmp_lt_u16_e32 vcc_lo, 0x7c00, v16
	s_delay_alu instid0(VALU_DEP_2)
	v_cndmask_b32_e64 v14, v14, v15, s14
	s_and_b32 s13, s13, vcc_lo
	s_delay_alu instid0(VALU_DEP_1) | instid1(SALU_CYCLE_1)
	v_cndmask_b32_e64 v14, v14, 0x7fff, s13
	s_branch .LBB6_2753
.LBB6_2766:                             ;   in Loop: Header=BB6_1249 Depth=2
	s_or_b32 exec_lo, exec_lo, s31
.LBB6_2767:                             ;   in Loop: Header=BB6_1249 Depth=2
	s_delay_alu instid0(SALU_CYCLE_1)
	s_or_b32 exec_lo, exec_lo, s16
.LBB6_2768:                             ;   in Loop: Header=BB6_1249 Depth=2
	s_and_saveexec_b32 s13, s3
	s_cbranch_execz .LBB6_2790
; %bb.2769:                             ;   in Loop: Header=BB6_1249 Depth=2
	s_and_saveexec_b32 s14, s4
	s_delay_alu instid0(SALU_CYCLE_1)
	s_xor_b32 s14, exec_lo, s14
	s_cbranch_execz .LBB6_2787
; %bb.2770:                             ;   in Loop: Header=BB6_1249 Depth=2
	s_and_saveexec_b32 s15, s1
	s_cbranch_execz .LBB6_2786
; %bb.2771:                             ;   in Loop: Header=BB6_1249 Depth=2
	s_mov_b32 s30, exec_lo
	s_mov_b32 s16, exec_lo
	v_mbcnt_lo_u32_b32 v2, s30, 0
	s_waitcnt lgkmcnt(0)
	s_waitcnt_vscnt null, 0x0
	buffer_gl1_inv
	buffer_gl0_inv
	v_cmpx_eq_u32_e32 0, v2
	s_cbranch_execz .LBB6_2773
; %bb.2772:                             ;   in Loop: Header=BB6_1249 Depth=2
	s_bcnt1_i32_b32 vcc_lo, s30
	s_delay_alu instid0(SALU_CYCLE_1)
	v_mov_b32_e32 v2, vcc_lo
	ds_add_u64 v0, v[2:3]
	s_cbranch_execnz .LBB6_3791
.LBB6_2773:                             ;   in Loop: Header=BB6_1249 Depth=2
	s_or_b32 exec_lo, exec_lo, s16
	s_cbranch_execnz .LBB6_3761
; %bb.2774:                             ;   in Loop: Header=BB6_1249 Depth=2
	ds_load_b64 v[8:9], v0
	v_add_co_u32 v80, vcc_lo, v80, v145
	v_add_co_ci_u32_e32 v81, vcc_lo, 0, v81, vcc_lo
	s_mov_b32 s16, exec_lo
	s_waitcnt lgkmcnt(0)
	s_delay_alu instid0(VALU_DEP_1)
	v_cmpx_lt_u64_e64 v[8:9], v[80:81]
	s_cbranch_execz .LBB6_2785
; %bb.2775:                             ;   in Loop: Header=BB6_1249 Depth=2
	s_mov_b32 s30, 0
	s_mov_b32 s35, 0
                                        ; implicit-def: $sgpr31
                                        ; implicit-def: $sgpr34
	s_branch .LBB6_2777
.LBB6_2776:                             ;   in Loop: Header=BB6_2777 Depth=3
	s_or_b32 exec_lo, exec_lo, s37
	s_delay_alu instid0(SALU_CYCLE_1) | instskip(NEXT) | instid1(SALU_CYCLE_1)
	s_and_b32 vcc_lo, exec_lo, vcc_lo
	s_or_b32 s30, vcc_lo, s30
	s_and_not1_b32 vcc_lo, s31, exec_lo
	s_and_b32 s31, s34, exec_lo
	s_delay_alu instid0(SALU_CYCLE_1)
	s_or_b32 s31, vcc_lo, s31
	s_and_not1_b32 exec_lo, exec_lo, s30
	s_cbranch_execz .LBB6_2783
.LBB6_2777:                             ;   Parent Loop BB6_51 Depth=1
                                        ;     Parent Loop BB6_1249 Depth=2
                                        ; =>    This Inner Loop Header: Depth=3
	s_add_i32 s35, s35, 1
                                        ; implicit-def: $sgpr37
	s_delay_alu instid0(SALU_CYCLE_1) | instskip(SKIP_1) | instid1(SALU_CYCLE_1)
	s_cmpk_lg_i32 s35, 0x2710
	s_cselect_b32 s36, -1, 0
	s_and_b32 vcc_lo, exec_lo, s36
	s_cbranch_vccz .LBB6_2781
.LBB6_2778:                             ;   in Loop: Header=BB6_2777 Depth=3
	s_and_not1_b32 s34, s34, exec_lo
	s_and_b32 s37, s37, exec_lo
	s_mov_b32 vcc_lo, -1
	s_or_b32 s34, s34, s37
	s_and_saveexec_b32 s37, s36
	s_cbranch_execz .LBB6_2776
; %bb.2779:                             ;   in Loop: Header=BB6_2777 Depth=3
	s_sleep 1
	s_cbranch_execnz .LBB6_3845
; %bb.2780:                             ;   in Loop: Header=BB6_2777 Depth=3
	ds_load_b64 v[8:9], v0
	s_and_not1_b32 s34, s34, exec_lo
	s_waitcnt lgkmcnt(0)
	v_cmp_ge_u64_e32 vcc_lo, v[8:9], v[80:81]
	s_or_not1_b32 vcc_lo, vcc_lo, exec_lo
	s_branch .LBB6_2776
.LBB6_2781:                             ;   in Loop: Header=BB6_2777 Depth=3
	s_cbranch_execnz .LBB6_3865
; %bb.2782:                             ;   in Loop: Header=BB6_2777 Depth=3
	ds_load_b64 v[8:9], v0
	s_and_not1_b32 s36, s36, exec_lo
	s_mov_b32 s35, 0
	s_mov_b32 s37, -1
	s_waitcnt lgkmcnt(0)
	flat_load_b32 v2, v[8:9] glc
	s_waitcnt vmcnt(0) lgkmcnt(0)
	buffer_gl1_inv
	buffer_gl0_inv
	v_cmp_eq_u32_e32 vcc_lo, 0, v2
	s_and_b32 vcc_lo, vcc_lo, exec_lo
	s_delay_alu instid0(SALU_CYCLE_1)
	s_or_b32 s36, s36, vcc_lo
	s_branch .LBB6_2778
.LBB6_2783:                             ;   in Loop: Header=BB6_1249 Depth=2
	s_or_b32 exec_lo, exec_lo, s30
	s_and_saveexec_b32 vcc_lo, s31
	s_delay_alu instid0(SALU_CYCLE_1)
	s_xor_b32 vcc_lo, exec_lo, vcc_lo
	s_cbranch_execz .LBB6_2785
; %bb.2784:                             ;   in Loop: Header=BB6_1249 Depth=2
	ds_store_b32 v0, v182
	s_cbranch_execnz .LBB6_3971
.LBB6_2785:                             ;   in Loop: Header=BB6_1249 Depth=2
	s_or_b32 exec_lo, exec_lo, s16
	;;#ASMSTART
	s_wakeup
	;;#ASMEND
.LBB6_2786:                             ;   in Loop: Header=BB6_1249 Depth=2
	s_or_b32 exec_lo, exec_lo, s15
.LBB6_2787:                             ;   in Loop: Header=BB6_1249 Depth=2
	s_and_not1_saveexec_b32 s14, s14
	s_cbranch_execz .LBB6_2789
; %bb.2788:                             ;   in Loop: Header=BB6_1249 Depth=2
	s_waitcnt lgkmcnt(0)
	s_waitcnt_vscnt null, 0x0
	buffer_gl1_inv
	buffer_gl0_inv
	s_barrier
.LBB6_2789:                             ;   in Loop: Header=BB6_1249 Depth=2
	s_or_b32 exec_lo, exec_lo, s14
.LBB6_2790:                             ;   in Loop: Header=BB6_1249 Depth=2
	s_delay_alu instid0(SALU_CYCLE_1) | instskip(SKIP_1) | instid1(SALU_CYCLE_1)
	s_or_b32 exec_lo, exec_lo, s13
                                        ; implicit-def: $vgpr2
	s_and_saveexec_b32 s13, s7
	s_xor_b32 s14, exec_lo, s13
	s_cbranch_execz .LBB6_2794
; %bb.2791:                             ;   in Loop: Header=BB6_1249 Depth=2
	v_and_b32_e32 v2, 16, v30
	v_cmp_lt_i32_e32 vcc_lo, 0, v103
	s_delay_alu instid0(VALU_DEP_2) | instskip(SKIP_1) | instid1(VALU_DEP_2)
	v_cmp_ne_u32_e64 s13, 0, v2
	v_and_b32_e32 v2, 16, v30
	s_and_b32 s15, s13, vcc_lo
	s_delay_alu instid0(SALU_CYCLE_1)
	s_and_saveexec_b32 s13, s15
	s_cbranch_execz .LBB6_2793
; %bb.2792:                             ;   in Loop: Header=BB6_1249 Depth=2
	v_mov_b32_e32 v2, 1
	s_waitcnt lgkmcnt(0)
	s_waitcnt_vscnt null, 0x0
	buffer_gl1_inv
	buffer_gl0_inv
.LBB6_2793:                             ;   in Loop: Header=BB6_1249 Depth=2
	s_or_b32 exec_lo, exec_lo, s13
.LBB6_2794:                             ;   in Loop: Header=BB6_1249 Depth=2
	s_and_not1_saveexec_b32 s13, s14
	s_cbranch_execz .LBB6_2816
; %bb.2795:                             ;   in Loop: Header=BB6_1249 Depth=2
	s_and_saveexec_b32 s14, s4
	s_delay_alu instid0(SALU_CYCLE_1)
	s_xor_b32 s14, exec_lo, s14
	s_cbranch_execz .LBB6_2813
; %bb.2796:                             ;   in Loop: Header=BB6_1249 Depth=2
	s_and_saveexec_b32 s15, s1
	s_cbranch_execz .LBB6_2812
; %bb.2797:                             ;   in Loop: Header=BB6_1249 Depth=2
	s_mov_b32 s30, exec_lo
	s_mov_b32 s16, exec_lo
	v_mbcnt_lo_u32_b32 v2, s30, 0
	;;#ASMSTART
	s_waitcnt lgkmcnt(0) vmcnt(0)
	;;#ASMEND
	s_delay_alu instid0(VALU_DEP_1)
	v_cmpx_eq_u32_e32 0, v2
	s_cbranch_execz .LBB6_2799
; %bb.2798:                             ;   in Loop: Header=BB6_1249 Depth=2
	s_bcnt1_i32_b32 vcc_lo, s30
	s_delay_alu instid0(SALU_CYCLE_1)
	v_mov_b32_e32 v2, vcc_lo
	ds_add_u64 v0, v[2:3]
	s_cbranch_execnz .LBB6_3795
.LBB6_2799:                             ;   in Loop: Header=BB6_1249 Depth=2
	s_or_b32 exec_lo, exec_lo, s16
	s_cbranch_execnz .LBB6_3771
; %bb.2800:                             ;   in Loop: Header=BB6_1249 Depth=2
	ds_load_b64 v[8:9], v0
	v_add_co_u32 v80, vcc_lo, v80, v145
	v_add_co_ci_u32_e32 v81, vcc_lo, 0, v81, vcc_lo
	s_mov_b32 s16, exec_lo
	s_waitcnt lgkmcnt(0)
	s_delay_alu instid0(VALU_DEP_1)
	v_cmpx_lt_u64_e64 v[8:9], v[80:81]
	s_cbranch_execz .LBB6_2811
; %bb.2801:                             ;   in Loop: Header=BB6_1249 Depth=2
	s_mov_b32 s30, 0
	s_mov_b32 s35, 0
                                        ; implicit-def: $sgpr31
                                        ; implicit-def: $sgpr34
	s_branch .LBB6_2803
.LBB6_2802:                             ;   in Loop: Header=BB6_2803 Depth=3
	s_or_b32 exec_lo, exec_lo, s37
	s_delay_alu instid0(SALU_CYCLE_1) | instskip(NEXT) | instid1(SALU_CYCLE_1)
	s_and_b32 vcc_lo, exec_lo, vcc_lo
	s_or_b32 s30, vcc_lo, s30
	s_and_not1_b32 vcc_lo, s31, exec_lo
	s_and_b32 s31, s34, exec_lo
	s_delay_alu instid0(SALU_CYCLE_1)
	s_or_b32 s31, vcc_lo, s31
	s_and_not1_b32 exec_lo, exec_lo, s30
	s_cbranch_execz .LBB6_2809
.LBB6_2803:                             ;   Parent Loop BB6_51 Depth=1
                                        ;     Parent Loop BB6_1249 Depth=2
                                        ; =>    This Inner Loop Header: Depth=3
	s_add_i32 s35, s35, 1
                                        ; implicit-def: $sgpr37
	s_delay_alu instid0(SALU_CYCLE_1) | instskip(SKIP_1) | instid1(SALU_CYCLE_1)
	s_cmpk_lg_i32 s35, 0x2710
	s_cselect_b32 s36, -1, 0
	s_and_b32 vcc_lo, exec_lo, s36
	s_cbranch_vccz .LBB6_2807
.LBB6_2804:                             ;   in Loop: Header=BB6_2803 Depth=3
	s_and_not1_b32 s34, s34, exec_lo
	s_and_b32 s37, s37, exec_lo
	s_mov_b32 vcc_lo, -1
	s_or_b32 s34, s34, s37
	s_and_saveexec_b32 s37, s36
	s_cbranch_execz .LBB6_2802
; %bb.2805:                             ;   in Loop: Header=BB6_2803 Depth=3
	s_sleep 1
	s_cbranch_execnz .LBB6_3857
; %bb.2806:                             ;   in Loop: Header=BB6_2803 Depth=3
	ds_load_b64 v[8:9], v0
	s_and_not1_b32 s34, s34, exec_lo
	s_waitcnt lgkmcnt(0)
	v_cmp_ge_u64_e32 vcc_lo, v[8:9], v[80:81]
	s_or_not1_b32 vcc_lo, vcc_lo, exec_lo
	s_branch .LBB6_2802
.LBB6_2807:                             ;   in Loop: Header=BB6_2803 Depth=3
	s_cbranch_execnz .LBB6_3873
; %bb.2808:                             ;   in Loop: Header=BB6_2803 Depth=3
	ds_load_b64 v[8:9], v0
	s_and_not1_b32 s36, s36, exec_lo
	s_mov_b32 s35, 0
	s_mov_b32 s37, -1
	s_waitcnt lgkmcnt(0)
	s_waitcnt_vscnt null, 0x0
	flat_load_b32 v2, v[8:9] glc
	s_waitcnt vmcnt(0) lgkmcnt(0)
	buffer_gl1_inv
	buffer_gl0_inv
	v_cmp_eq_u32_e32 vcc_lo, 0, v2
	s_and_b32 vcc_lo, vcc_lo, exec_lo
	s_delay_alu instid0(SALU_CYCLE_1)
	s_or_b32 s36, s36, vcc_lo
	s_branch .LBB6_2804
.LBB6_2809:                             ;   in Loop: Header=BB6_1249 Depth=2
	s_or_b32 exec_lo, exec_lo, s30
	s_and_saveexec_b32 vcc_lo, s31
	s_delay_alu instid0(SALU_CYCLE_1)
	s_xor_b32 vcc_lo, exec_lo, vcc_lo
	s_cbranch_execz .LBB6_2811
; %bb.2810:                             ;   in Loop: Header=BB6_1249 Depth=2
	ds_store_b32 v0, v182
	s_cbranch_execnz .LBB6_3975
.LBB6_2811:                             ;   in Loop: Header=BB6_1249 Depth=2
	s_or_b32 exec_lo, exec_lo, s16
	;;#ASMSTART
	s_wakeup
	;;#ASMEND
.LBB6_2812:                             ;   in Loop: Header=BB6_1249 Depth=2
	s_or_b32 exec_lo, exec_lo, s15
.LBB6_2813:                             ;   in Loop: Header=BB6_1249 Depth=2
	s_and_not1_saveexec_b32 s14, s14
	s_cbranch_execz .LBB6_2815
; %bb.2814:                             ;   in Loop: Header=BB6_1249 Depth=2
	;;#ASMSTART
	s_waitcnt lgkmcnt(0) vmcnt(0)
	;;#ASMEND
	s_waitcnt lgkmcnt(0)
	s_waitcnt_vscnt null, 0x0
	s_barrier
.LBB6_2815:                             ;   in Loop: Header=BB6_1249 Depth=2
	s_or_b32 exec_lo, exec_lo, s14
	v_and_b32_e32 v2, 16, v30
.LBB6_2816:                             ;   in Loop: Header=BB6_1249 Depth=2
	s_or_b32 exec_lo, exec_lo, s13
	s_delay_alu instid0(VALU_DEP_1) | instskip(SKIP_1) | instid1(SALU_CYCLE_1)
	v_cmp_ne_u32_e32 vcc_lo, 0, v2
	s_xor_b32 s13, s10, -1
	s_and_b32 s14, vcc_lo, s13
	s_delay_alu instid0(SALU_CYCLE_1)
	s_and_saveexec_b32 s13, s14
	s_cbranch_execz .LBB6_2818
; %bb.2817:                             ;   in Loop: Header=BB6_1249 Depth=2
	s_waitcnt lgkmcnt(0)
	s_waitcnt_vscnt null, 0x0
	flat_store_b32 v[70:71], v182
.LBB6_2818:                             ;   in Loop: Header=BB6_1249 Depth=2
	s_or_b32 exec_lo, exec_lo, s13
	v_and_b32_e32 v2, 48, v30
	s_mov_b32 s13, exec_lo
	s_delay_alu instid0(VALU_DEP_1)
	v_cmpx_ne_u32_e32 0, v2
	s_cbranch_execz .LBB6_2820
; %bb.2819:                             ;   in Loop: Header=BB6_1249 Depth=2
	v_add_co_u32 v66, vcc_lo, v66, 2
	v_add_co_ci_u32_e32 v67, vcc_lo, 0, v67, vcc_lo
	s_waitcnt lgkmcnt(0)
	s_waitcnt_vscnt null, 0x0
	flat_store_b64 v[64:65], v[66:67]
.LBB6_2820:                             ;   in Loop: Header=BB6_1249 Depth=2
	s_or_b32 exec_lo, exec_lo, s13
	v_add_nc_u32_e32 v112, v102, v112
	v_readlane_b32 s13, v56, 0
	v_readlane_b32 s36, v56, 2
	;; [unrolled: 1-line block ×4, first 2 shown]
	v_cmp_ge_i32_e32 vcc_lo, v112, v183
	s_xor_b32 s13, s13, -1
	v_readlane_b32 s16, v56, 7
	v_readlane_b32 s35, v56, 6
	s_mov_b32 s37, 0
	s_or_b32 s13, s13, vcc_lo
	s_mov_b32 s30, 2
	s_and_b32 s14, exec_lo, s13
	v_readlane_b32 s13, v56, 1
	s_or_b32 s36, s14, s36
	v_readlane_b32 s14, v56, 4
	s_delay_alu instid0(VALU_DEP_2)
	v_mov_b32_e32 v2, s13
	s_and_not1_b32 exec_lo, exec_lo, s36
	s_cbranch_execnz .LBB6_1249
; %bb.2821:                             ;   in Loop: Header=BB6_51 Depth=1
	s_or_b32 exec_lo, exec_lo, s36
.LBB6_2822:                             ;   in Loop: Header=BB6_51 Depth=1
	s_delay_alu instid0(SALU_CYCLE_1) | instskip(NEXT) | instid1(SALU_CYCLE_1)
	s_or_b32 exec_lo, exec_lo, s17
	s_mov_b32 s15, exec_lo
	v_cmpx_gt_i32_e32 2, v2
	s_cbranch_execz .LBB6_2906
; %bb.2823:                             ;   in Loop: Header=BB6_51 Depth=1
	v_cmp_eq_u32_e64 s13, 0, v2
	s_mov_b32 s17, 0
.LBB6_2824:                             ;   Parent Loop BB6_51 Depth=1
                                        ; =>  This Loop Header: Depth=2
                                        ;       Child Loop BB6_2830 Depth 3
                                        ;       Child Loop BB6_2860 Depth 3
	;; [unrolled: 1-line block ×3, first 2 shown]
	v_and_b32_e32 v2, 12, v30
	s_mov_b32 s36, -1
	s_mov_b32 s30, exec_lo
	s_delay_alu instid0(VALU_DEP_1)
	v_cmpx_ne_u32_e32 0, v2
	s_cbranch_execz .LBB6_2838
; %bb.2825:                             ;   in Loop: Header=BB6_2824 Depth=2
	v_and_b32_e32 v2, 8, v30
	s_delay_alu instid0(VALU_DEP_1) | instskip(SKIP_3) | instid1(VALU_DEP_1)
	v_add_co_u32 v10, vcc_lo, v82, v2
	v_add_co_ci_u32_e32 v11, vcc_lo, 0, v83, vcc_lo
	v_add_co_u32 v8, vcc_lo, v66, 2
	v_add_co_ci_u32_e32 v9, vcc_lo, 0, v67, vcc_lo
	v_cmp_lt_u64_e32 vcc_lo, v[10:11], v[8:9]
	v_mov_b32_e32 v10, 1
	s_and_saveexec_b32 s36, vcc_lo
	s_cbranch_execz .LBB6_2837
; %bb.2826:                             ;   in Loop: Header=BB6_2824 Depth=2
	v_mov_b32_e32 v10, 0
	s_mov_b32 s37, 0
                                        ; implicit-def: $sgpr38
	s_branch .LBB6_2830
.LBB6_2827:                             ;   in Loop: Header=BB6_2830 Depth=3
	s_or_b32 exec_lo, exec_lo, s42
	v_mov_b32_e32 v11, 0
	s_or_not1_b32 s41, s41, exec_lo
.LBB6_2828:                             ;   in Loop: Header=BB6_2830 Depth=3
	s_or_b32 exec_lo, exec_lo, s40
	s_delay_alu instid0(VALU_DEP_1) | instskip(SKIP_2) | instid1(SALU_CYCLE_1)
	v_mov_b32_e32 v10, v11
	s_and_not1_b32 vcc_lo, s38, exec_lo
	s_and_b32 s38, s41, exec_lo
	s_or_b32 s38, vcc_lo, s38
.LBB6_2829:                             ;   in Loop: Header=BB6_2830 Depth=3
	s_or_b32 exec_lo, exec_lo, s39
	s_waitcnt vmcnt(0) lgkmcnt(0)
	v_add_co_u32 v11, vcc_lo, v82, v2
	v_add_co_ci_u32_e32 v12, vcc_lo, 0, v83, vcc_lo
	s_xor_b32 s39, s38, -1
	s_delay_alu instid0(VALU_DEP_1) | instskip(SKIP_1) | instid1(SALU_CYCLE_1)
	v_cmp_ge_u64_e32 vcc_lo, v[11:12], v[8:9]
	s_or_b32 vcc_lo, s39, vcc_lo
	s_and_b32 vcc_lo, exec_lo, vcc_lo
	s_delay_alu instid0(SALU_CYCLE_1) | instskip(NEXT) | instid1(SALU_CYCLE_1)
	s_or_b32 s37, vcc_lo, s37
	s_and_not1_b32 exec_lo, exec_lo, s37
	s_cbranch_execz .LBB6_2836
.LBB6_2830:                             ;   Parent Loop BB6_51 Depth=1
                                        ;     Parent Loop BB6_2824 Depth=2
                                        ; =>    This Inner Loop Header: Depth=3
	s_sleep 1
	flat_load_b64 v[82:83], v[64:65] glc
	v_and_b32_e32 v11, 64, v30
	s_and_not1_b32 s38, s38, exec_lo
	s_mov_b32 s39, exec_lo
	s_delay_alu instid0(VALU_DEP_1)
	v_cmpx_eq_u32_e32 0, v11
	s_cbranch_execz .LBB6_2829
; %bb.2831:                             ;   in Loop: Header=BB6_2830 Depth=3
	v_add_nc_u32_e32 v11, 1, v10
	s_mov_b32 s41, -1
	s_mov_b32 s40, exec_lo
	v_cmpx_lt_i32_e32 0x270e, v10
	s_cbranch_execz .LBB6_2828
; %bb.2832:                             ;   in Loop: Header=BB6_2830 Depth=3
	s_cbranch_execnz .LBB6_3569
; %bb.2833:                             ;   in Loop: Header=BB6_2830 Depth=3
	ds_load_b64 v[10:11], v0
	s_mov_b32 s42, exec_lo
	s_waitcnt vmcnt(0) lgkmcnt(0)
	s_waitcnt_vscnt null, 0x0
	flat_load_b32 v10, v[10:11] glc
	s_waitcnt vmcnt(0) lgkmcnt(0)
	buffer_gl1_inv
	buffer_gl0_inv
	v_cmpx_ne_u32_e32 0, v10
	s_cbranch_execz .LBB6_2827
; %bb.2834:                             ;   in Loop: Header=BB6_2830 Depth=3
	ds_store_b32 v0, v10
	s_cbranch_execnz .LBB6_3623
; %bb.2835:                             ;   in Loop: Header=BB6_2830 Depth=3
	v_or_b32_e32 v30, 64, v30
	s_xor_b32 s41, exec_lo, -1
	s_branch .LBB6_2827
.LBB6_2836:                             ;   in Loop: Header=BB6_2824 Depth=2
	s_or_b32 exec_lo, exec_lo, s37
	v_and_b32_e32 v10, 12, v30
.LBB6_2837:                             ;   in Loop: Header=BB6_2824 Depth=2
	s_or_b32 exec_lo, exec_lo, s36
	s_delay_alu instid0(VALU_DEP_1)
	v_cmp_eq_u32_e32 vcc_lo, 0, v10
	;;#ASMSTART
	s_wakeup
	;;#ASMEND
	s_or_not1_b32 s36, vcc_lo, exec_lo
.LBB6_2838:                             ;   in Loop: Header=BB6_2824 Depth=2
	s_or_b32 exec_lo, exec_lo, s30
	v_sub_nc_u32_e32 v2, v183, v112
	s_xor_b32 s13, s13, -1
	s_delay_alu instid0(SALU_CYCLE_1) | instskip(NEXT) | instid1(SALU_CYCLE_1)
	s_and_b32 s13, exec_lo, s13
	s_or_b32 s17, s13, s17
	s_delay_alu instid0(VALU_DEP_1) | instskip(SKIP_1) | instid1(SALU_CYCLE_1)
	v_min_i32_e32 v102, v102, v2
	s_xor_b32 s13, s36, -1
	s_and_saveexec_b32 s30, s13
	s_cbranch_execz .LBB6_2851
; %bb.2839:                             ;   in Loop: Header=BB6_2824 Depth=2
	v_and_b32_e32 v2, 0x108, v30
	s_delay_alu instid0(VALU_DEP_1) | instskip(SKIP_2) | instid1(SALU_CYCLE_1)
	v_cmp_ne_u32_e32 vcc_lo, 0x108, v2
	v_and_b32_e32 v2, 7, v66
	s_and_saveexec_b32 s13, vcc_lo
	s_xor_b32 s13, exec_lo, s13
	s_delay_alu instid0(SALU_CYCLE_1)
	s_and_not1_saveexec_b32 s13, s13
	s_cbranch_execz .LBB6_2841
; %bb.2840:                             ;   in Loop: Header=BB6_2824 Depth=2
	v_ashrrev_i32_e32 v103, 31, v102
	v_mad_u64_u32 v[8:9], null, v2, 24, v[6:7]
	s_delay_alu instid0(VALU_DEP_2)
	v_lshlrev_b64 v[10:11], 1, v[102:103]
	flat_store_b64 v[8:9], v[10:11] offset:8
.LBB6_2841:                             ;   in Loop: Header=BB6_2824 Depth=2
	s_or_b32 exec_lo, exec_lo, s13
	v_and_b32_e32 v8, 0x100, v30
	s_mov_b32 s13, -1
	s_delay_alu instid0(VALU_DEP_1)
	v_cmp_ne_u32_e32 vcc_lo, 0, v8
                                        ; implicit-def: $vgpr8_vgpr9
	s_and_saveexec_b32 s36, vcc_lo
	s_cbranch_execnz .LBB6_2844
; %bb.2842:                             ;   in Loop: Header=BB6_2824 Depth=2
	s_or_b32 exec_lo, exec_lo, s36
	s_and_saveexec_b32 vcc_lo, s13
	s_cbranch_execnz .LBB6_2847
.LBB6_2843:                             ;   in Loop: Header=BB6_2824 Depth=2
	s_or_b32 exec_lo, exec_lo, vcc_lo
	s_cbranch_execnz .LBB6_3565
	s_branch .LBB6_2848
.LBB6_2844:                             ;   in Loop: Header=BB6_2824 Depth=2
	v_mad_u64_u32 v[10:11], null, v2, 24, v[6:7]
	s_delay_alu instid0(VALU_DEP_1) | instskip(NEXT) | instid1(VALU_DEP_1)
	v_mov_b32_e32 v8, v11
	v_mad_u64_u32 v[11:12], null, v3, 24, v[8:9]
	flat_load_b32 v8, v[10:11]
	s_waitcnt vmcnt(0) lgkmcnt(0)
	v_cmp_ne_u32_e32 vcc_lo, 1, v8
	v_cmp_eq_u32_e64 s13, 1, v8
                                        ; implicit-def: $vgpr8_vgpr9
	s_delay_alu instid0(VALU_DEP_1)
	s_and_saveexec_b32 s37, s13
	s_cbranch_execz .LBB6_2846
; %bb.2845:                             ;   in Loop: Header=BB6_2824 Depth=2
	flat_load_b32 v8, v[10:11] offset:4 glc
	s_waitcnt vmcnt(0) lgkmcnt(0)
	v_ashrrev_i32_e32 v9, 31, v8
	s_delay_alu instid0(VALU_DEP_1)
	v_lshrrev_b64 v[8:9], 1, v[8:9]
.LBB6_2846:                             ;   in Loop: Header=BB6_2824 Depth=2
	s_or_b32 exec_lo, exec_lo, s37
	s_delay_alu instid0(SALU_CYCLE_1)
	s_or_not1_b32 s13, vcc_lo, exec_lo
	s_or_b32 exec_lo, exec_lo, s36
	s_and_saveexec_b32 vcc_lo, s13
	s_cbranch_execz .LBB6_2843
.LBB6_2847:                             ;   in Loop: Header=BB6_2824 Depth=2
	v_mul_lo_u32 v10, v3, v133
	v_mul_lo_u32 v11, v2, v134
	v_mad_u64_u32 v[8:9], null, v2, v133, 0
	s_delay_alu instid0(VALU_DEP_1)
	v_add3_u32 v9, v9, v11, v10
	s_or_b32 exec_lo, exec_lo, vcc_lo
	s_cbranch_execnz .LBB6_3565
.LBB6_2848:                             ;   in Loop: Header=BB6_2824 Depth=2
	s_delay_alu instid0(VALU_DEP_1) | instskip(SKIP_2) | instid1(VALU_DEP_2)
	v_lshlrev_b64 v[8:9], 1, v[8:9]
	v_and_b32_e32 v2, 0x2000, v30
	s_mov_b32 s13, exec_lo
	v_add_co_u32 v8, vcc_lo, v68, v8
	s_delay_alu instid0(VALU_DEP_3)
	v_add_co_ci_u32_e32 v9, vcc_lo, v69, v9, vcc_lo
	ds_store_b64 v0, v[8:9]
	v_cmpx_ne_u32_e32 0, v2
	s_cbranch_execz .LBB6_2850
; %bb.2849:                             ;   in Loop: Header=BB6_2824 Depth=2
	ds_load_b64 v[8:9], v0 offset:584
	s_waitcnt lgkmcnt(0)
	v_add_co_u32 v8, vcc_lo, v8, 1
	v_add_co_ci_u32_e32 v9, vcc_lo, 0, v9, vcc_lo
	ds_store_b64 v0, v[8:9] offset:584
.LBB6_2850:                             ;   in Loop: Header=BB6_2824 Depth=2
	s_or_b32 exec_lo, exec_lo, s13
	v_add_co_u32 v66, vcc_lo, v66, 2
	v_add_co_ci_u32_e32 v67, vcc_lo, 0, v67, vcc_lo
.LBB6_2851:                             ;   in Loop: Header=BB6_2824 Depth=2
	s_or_b32 exec_lo, exec_lo, s30
	s_and_saveexec_b32 s13, s3
	s_cbranch_execz .LBB6_2873
; %bb.2852:                             ;   in Loop: Header=BB6_2824 Depth=2
	s_and_saveexec_b32 vcc_lo, s4
	s_delay_alu instid0(SALU_CYCLE_1)
	s_xor_b32 s30, exec_lo, vcc_lo
	s_cbranch_execz .LBB6_2870
; %bb.2853:                             ;   in Loop: Header=BB6_2824 Depth=2
	s_and_saveexec_b32 s36, s1
	s_cbranch_execz .LBB6_2869
; %bb.2854:                             ;   in Loop: Header=BB6_2824 Depth=2
	s_mov_b32 s38, exec_lo
	s_mov_b32 s37, exec_lo
	v_mbcnt_lo_u32_b32 v2, s38, 0
	s_waitcnt lgkmcnt(0)
	s_waitcnt_vscnt null, 0x0
	buffer_gl1_inv
	buffer_gl0_inv
	v_cmpx_eq_u32_e32 0, v2
	s_cbranch_execz .LBB6_2856
; %bb.2855:                             ;   in Loop: Header=BB6_2824 Depth=2
	s_bcnt1_i32_b32 vcc_lo, s38
	s_delay_alu instid0(SALU_CYCLE_1)
	v_mov_b32_e32 v2, vcc_lo
	ds_add_u64 v0, v[2:3]
	s_cbranch_execnz .LBB6_3681
.LBB6_2856:                             ;   in Loop: Header=BB6_2824 Depth=2
	s_or_b32 exec_lo, exec_lo, s37
	s_cbranch_execnz .LBB6_3655
; %bb.2857:                             ;   in Loop: Header=BB6_2824 Depth=2
	ds_load_b64 v[8:9], v0
	v_add_co_u32 v80, vcc_lo, v80, v145
	v_add_co_ci_u32_e32 v81, vcc_lo, 0, v81, vcc_lo
	s_mov_b32 s37, exec_lo
	s_waitcnt lgkmcnt(0)
	s_delay_alu instid0(VALU_DEP_1)
	v_cmpx_lt_u64_e64 v[8:9], v[80:81]
	s_cbranch_execz .LBB6_2868
; %bb.2858:                             ;   in Loop: Header=BB6_2824 Depth=2
	s_mov_b32 s38, 0
	s_mov_b32 s41, 0
                                        ; implicit-def: $sgpr39
                                        ; implicit-def: $sgpr40
	s_branch .LBB6_2860
.LBB6_2859:                             ;   in Loop: Header=BB6_2860 Depth=3
	s_or_b32 exec_lo, exec_lo, s43
	s_delay_alu instid0(SALU_CYCLE_1) | instskip(NEXT) | instid1(SALU_CYCLE_1)
	s_and_b32 vcc_lo, exec_lo, vcc_lo
	s_or_b32 s38, vcc_lo, s38
	s_and_not1_b32 vcc_lo, s39, exec_lo
	s_and_b32 s39, s40, exec_lo
	s_delay_alu instid0(SALU_CYCLE_1)
	s_or_b32 s39, vcc_lo, s39
	s_and_not1_b32 exec_lo, exec_lo, s38
	s_cbranch_execz .LBB6_2866
.LBB6_2860:                             ;   Parent Loop BB6_51 Depth=1
                                        ;     Parent Loop BB6_2824 Depth=2
                                        ; =>    This Inner Loop Header: Depth=3
	s_add_i32 s41, s41, 1
                                        ; implicit-def: $sgpr43
	s_delay_alu instid0(SALU_CYCLE_1) | instskip(SKIP_1) | instid1(SALU_CYCLE_1)
	s_cmpk_lg_i32 s41, 0x2710
	s_cselect_b32 s42, -1, 0
	s_and_b32 vcc_lo, exec_lo, s42
	s_cbranch_vccz .LBB6_2864
.LBB6_2861:                             ;   in Loop: Header=BB6_2860 Depth=3
	s_and_not1_b32 s40, s40, exec_lo
	s_and_b32 s43, s43, exec_lo
	s_mov_b32 vcc_lo, -1
	s_or_b32 s40, s40, s43
	s_and_saveexec_b32 s43, s42
	s_cbranch_execz .LBB6_2859
; %bb.2862:                             ;   in Loop: Header=BB6_2860 Depth=3
	s_sleep 1
	s_cbranch_execnz .LBB6_3725
; %bb.2863:                             ;   in Loop: Header=BB6_2860 Depth=3
	ds_load_b64 v[8:9], v0
	s_and_not1_b32 s40, s40, exec_lo
	s_waitcnt lgkmcnt(0)
	v_cmp_ge_u64_e32 vcc_lo, v[8:9], v[80:81]
	s_or_not1_b32 vcc_lo, vcc_lo, exec_lo
	s_branch .LBB6_2859
.LBB6_2864:                             ;   in Loop: Header=BB6_2860 Depth=3
	s_cbranch_execnz .LBB6_3737
; %bb.2865:                             ;   in Loop: Header=BB6_2860 Depth=3
	ds_load_b64 v[8:9], v0
	s_and_not1_b32 s42, s42, exec_lo
	s_mov_b32 s41, 0
	s_mov_b32 s43, -1
	s_waitcnt lgkmcnt(0)
	flat_load_b32 v2, v[8:9] glc
	s_waitcnt vmcnt(0) lgkmcnt(0)
	buffer_gl1_inv
	buffer_gl0_inv
	v_cmp_eq_u32_e32 vcc_lo, 0, v2
	s_and_b32 vcc_lo, vcc_lo, exec_lo
	s_delay_alu instid0(SALU_CYCLE_1)
	s_or_b32 s42, s42, vcc_lo
	s_branch .LBB6_2861
.LBB6_2866:                             ;   in Loop: Header=BB6_2824 Depth=2
	s_or_b32 exec_lo, exec_lo, s38
	s_and_saveexec_b32 vcc_lo, s39
	s_delay_alu instid0(SALU_CYCLE_1)
	s_xor_b32 vcc_lo, exec_lo, vcc_lo
	s_cbranch_execz .LBB6_2868
; %bb.2867:                             ;   in Loop: Header=BB6_2824 Depth=2
	ds_store_b32 v0, v182
	s_cbranch_execnz .LBB6_3935
.LBB6_2868:                             ;   in Loop: Header=BB6_2824 Depth=2
	s_or_b32 exec_lo, exec_lo, s37
	;;#ASMSTART
	s_wakeup
	;;#ASMEND
.LBB6_2869:                             ;   in Loop: Header=BB6_2824 Depth=2
	s_or_b32 exec_lo, exec_lo, s36
.LBB6_2870:                             ;   in Loop: Header=BB6_2824 Depth=2
	s_and_not1_saveexec_b32 vcc_lo, s30
	s_cbranch_execz .LBB6_2872
; %bb.2871:                             ;   in Loop: Header=BB6_2824 Depth=2
	s_waitcnt lgkmcnt(0)
	s_waitcnt_vscnt null, 0x0
	buffer_gl1_inv
	buffer_gl0_inv
	s_barrier
.LBB6_2872:                             ;   in Loop: Header=BB6_2824 Depth=2
	s_or_b32 exec_lo, exec_lo, vcc_lo
.LBB6_2873:                             ;   in Loop: Header=BB6_2824 Depth=2
	s_delay_alu instid0(SALU_CYCLE_1) | instskip(SKIP_1) | instid1(SALU_CYCLE_1)
	s_or_b32 exec_lo, exec_lo, s13
                                        ; implicit-def: $vgpr2
	s_and_saveexec_b32 s13, s7
	s_xor_b32 s30, exec_lo, s13
	s_cbranch_execz .LBB6_2878
; %bb.2874:                             ;   in Loop: Header=BB6_2824 Depth=2
	s_cbranch_execnz .LBB6_3579
; %bb.2875:                             ;   in Loop: Header=BB6_2824 Depth=2
	ds_load_b32 v2, v0
	v_cmp_lt_i32_e32 vcc_lo, 0, v102
	s_waitcnt lgkmcnt(0)
	v_readfirstlane_b32 s13, v2
	v_and_b32_e32 v2, 16, v30
	s_delay_alu instid0(VALU_DEP_2) | instskip(NEXT) | instid1(VALU_DEP_1)
	s_cmp_eq_u32 s13, 0
	v_cmp_ne_u32_e64 s13, 0, v2
	s_cselect_b32 s36, -1, 0
	v_and_b32_e32 v2, 16, v30
	s_and_b32 vcc_lo, vcc_lo, s36
	s_delay_alu instid0(VALU_DEP_2) | instid1(SALU_CYCLE_1)
	s_and_b32 vcc_lo, s13, vcc_lo
	s_delay_alu instid0(SALU_CYCLE_1)
	s_and_saveexec_b32 s13, vcc_lo
	s_cbranch_execz .LBB6_2877
; %bb.2876:                             ;   in Loop: Header=BB6_2824 Depth=2
	v_mov_b32_e32 v2, 1
	s_waitcnt_vscnt null, 0x0
	buffer_gl1_inv
	buffer_gl0_inv
.LBB6_2877:                             ;   in Loop: Header=BB6_2824 Depth=2
	s_or_b32 exec_lo, exec_lo, s13
.LBB6_2878:                             ;   in Loop: Header=BB6_2824 Depth=2
	s_and_not1_saveexec_b32 s13, s30
	s_cbranch_execz .LBB6_2900
; %bb.2879:                             ;   in Loop: Header=BB6_2824 Depth=2
	s_and_saveexec_b32 vcc_lo, s4
	s_delay_alu instid0(SALU_CYCLE_1)
	s_xor_b32 s30, exec_lo, vcc_lo
	s_cbranch_execz .LBB6_2897
; %bb.2880:                             ;   in Loop: Header=BB6_2824 Depth=2
	s_and_saveexec_b32 s36, s1
	s_cbranch_execz .LBB6_2896
; %bb.2881:                             ;   in Loop: Header=BB6_2824 Depth=2
	s_mov_b32 s38, exec_lo
	s_mov_b32 s37, exec_lo
	v_mbcnt_lo_u32_b32 v2, s38, 0
	;;#ASMSTART
	s_waitcnt lgkmcnt(0) vmcnt(0)
	;;#ASMEND
	s_delay_alu instid0(VALU_DEP_1)
	v_cmpx_eq_u32_e32 0, v2
	s_cbranch_execz .LBB6_2883
; %bb.2882:                             ;   in Loop: Header=BB6_2824 Depth=2
	s_bcnt1_i32_b32 vcc_lo, s38
	s_delay_alu instid0(SALU_CYCLE_1)
	v_mov_b32_e32 v2, vcc_lo
	ds_add_u64 v0, v[2:3]
	s_cbranch_execnz .LBB6_3691
.LBB6_2883:                             ;   in Loop: Header=BB6_2824 Depth=2
	s_or_b32 exec_lo, exec_lo, s37
	s_cbranch_execnz .LBB6_3679
; %bb.2884:                             ;   in Loop: Header=BB6_2824 Depth=2
	ds_load_b64 v[8:9], v0
	v_add_co_u32 v80, vcc_lo, v80, v145
	v_add_co_ci_u32_e32 v81, vcc_lo, 0, v81, vcc_lo
	s_mov_b32 s37, exec_lo
	s_waitcnt lgkmcnt(0)
	s_delay_alu instid0(VALU_DEP_1)
	v_cmpx_lt_u64_e64 v[8:9], v[80:81]
	s_cbranch_execz .LBB6_2895
; %bb.2885:                             ;   in Loop: Header=BB6_2824 Depth=2
	s_mov_b32 s38, 0
	s_mov_b32 s41, 0
                                        ; implicit-def: $sgpr39
                                        ; implicit-def: $sgpr40
	s_branch .LBB6_2887
.LBB6_2886:                             ;   in Loop: Header=BB6_2887 Depth=3
	s_or_b32 exec_lo, exec_lo, s43
	s_delay_alu instid0(SALU_CYCLE_1) | instskip(NEXT) | instid1(SALU_CYCLE_1)
	s_and_b32 vcc_lo, exec_lo, vcc_lo
	s_or_b32 s38, vcc_lo, s38
	s_and_not1_b32 vcc_lo, s39, exec_lo
	s_and_b32 s39, s40, exec_lo
	s_delay_alu instid0(SALU_CYCLE_1)
	s_or_b32 s39, vcc_lo, s39
	s_and_not1_b32 exec_lo, exec_lo, s38
	s_cbranch_execz .LBB6_2893
.LBB6_2887:                             ;   Parent Loop BB6_51 Depth=1
                                        ;     Parent Loop BB6_2824 Depth=2
                                        ; =>    This Inner Loop Header: Depth=3
	s_add_i32 s41, s41, 1
                                        ; implicit-def: $sgpr43
	s_delay_alu instid0(SALU_CYCLE_1) | instskip(SKIP_1) | instid1(SALU_CYCLE_1)
	s_cmpk_lg_i32 s41, 0x2710
	s_cselect_b32 s42, -1, 0
	s_and_b32 vcc_lo, exec_lo, s42
	s_cbranch_vccz .LBB6_2891
.LBB6_2888:                             ;   in Loop: Header=BB6_2887 Depth=3
	s_and_not1_b32 s40, s40, exec_lo
	s_and_b32 s43, s43, exec_lo
	s_mov_b32 vcc_lo, -1
	s_or_b32 s40, s40, s43
	s_and_saveexec_b32 s43, s42
	s_cbranch_execz .LBB6_2886
; %bb.2889:                             ;   in Loop: Header=BB6_2887 Depth=3
	s_sleep 1
	s_cbranch_execnz .LBB6_3747
; %bb.2890:                             ;   in Loop: Header=BB6_2887 Depth=3
	ds_load_b64 v[8:9], v0
	s_and_not1_b32 s40, s40, exec_lo
	s_waitcnt lgkmcnt(0)
	v_cmp_ge_u64_e32 vcc_lo, v[8:9], v[80:81]
	s_or_not1_b32 vcc_lo, vcc_lo, exec_lo
	s_branch .LBB6_2886
.LBB6_2891:                             ;   in Loop: Header=BB6_2887 Depth=3
	s_cbranch_execnz .LBB6_3759
; %bb.2892:                             ;   in Loop: Header=BB6_2887 Depth=3
	ds_load_b64 v[8:9], v0
	s_and_not1_b32 s42, s42, exec_lo
	s_mov_b32 s41, 0
	s_mov_b32 s43, -1
	s_waitcnt lgkmcnt(0)
	s_waitcnt_vscnt null, 0x0
	flat_load_b32 v2, v[8:9] glc
	s_waitcnt vmcnt(0) lgkmcnt(0)
	buffer_gl1_inv
	buffer_gl0_inv
	v_cmp_eq_u32_e32 vcc_lo, 0, v2
	s_and_b32 vcc_lo, vcc_lo, exec_lo
	s_delay_alu instid0(SALU_CYCLE_1)
	s_or_b32 s42, s42, vcc_lo
	s_branch .LBB6_2888
.LBB6_2893:                             ;   in Loop: Header=BB6_2824 Depth=2
	s_or_b32 exec_lo, exec_lo, s38
	s_and_saveexec_b32 vcc_lo, s39
	s_delay_alu instid0(SALU_CYCLE_1)
	s_xor_b32 vcc_lo, exec_lo, vcc_lo
	s_cbranch_execz .LBB6_2895
; %bb.2894:                             ;   in Loop: Header=BB6_2824 Depth=2
	ds_store_b32 v0, v182
	s_cbranch_execnz .LBB6_3947
.LBB6_2895:                             ;   in Loop: Header=BB6_2824 Depth=2
	s_or_b32 exec_lo, exec_lo, s37
	;;#ASMSTART
	s_wakeup
	;;#ASMEND
.LBB6_2896:                             ;   in Loop: Header=BB6_2824 Depth=2
	s_or_b32 exec_lo, exec_lo, s36
.LBB6_2897:                             ;   in Loop: Header=BB6_2824 Depth=2
	s_and_not1_saveexec_b32 vcc_lo, s30
	s_cbranch_execz .LBB6_2899
; %bb.2898:                             ;   in Loop: Header=BB6_2824 Depth=2
	;;#ASMSTART
	s_waitcnt lgkmcnt(0) vmcnt(0)
	;;#ASMEND
	s_waitcnt lgkmcnt(0)
	s_waitcnt_vscnt null, 0x0
	s_barrier
.LBB6_2899:                             ;   in Loop: Header=BB6_2824 Depth=2
	s_or_b32 exec_lo, exec_lo, vcc_lo
	v_and_b32_e32 v2, 16, v30
.LBB6_2900:                             ;   in Loop: Header=BB6_2824 Depth=2
	s_or_b32 exec_lo, exec_lo, s13
	s_delay_alu instid0(VALU_DEP_1) | instskip(SKIP_1) | instid1(SALU_CYCLE_1)
	v_cmp_ne_u32_e32 vcc_lo, 0, v2
	s_xor_b32 s13, s10, -1
	s_and_b32 vcc_lo, vcc_lo, s13
	s_delay_alu instid0(SALU_CYCLE_1)
	s_and_saveexec_b32 s13, vcc_lo
	s_cbranch_execz .LBB6_2902
; %bb.2901:                             ;   in Loop: Header=BB6_2824 Depth=2
	s_waitcnt lgkmcnt(0)
	s_waitcnt_vscnt null, 0x0
	flat_store_b32 v[70:71], v182
.LBB6_2902:                             ;   in Loop: Header=BB6_2824 Depth=2
	s_or_b32 exec_lo, exec_lo, s13
	v_and_b32_e32 v2, 48, v30
	s_mov_b32 s13, exec_lo
	s_delay_alu instid0(VALU_DEP_1)
	v_cmpx_ne_u32_e32 0, v2
	s_cbranch_execz .LBB6_2904
; %bb.2903:                             ;   in Loop: Header=BB6_2824 Depth=2
	v_add_co_u32 v66, vcc_lo, v66, 2
	v_add_co_ci_u32_e32 v67, vcc_lo, 0, v67, vcc_lo
	s_waitcnt lgkmcnt(0)
	s_waitcnt_vscnt null, 0x0
	flat_store_b64 v[64:65], v[66:67]
.LBB6_2904:                             ;   in Loop: Header=BB6_2824 Depth=2
	s_or_b32 exec_lo, exec_lo, s13
	v_add_nc_u32_e32 v112, v102, v112
	s_mov_b32 s13, 0
	s_and_not1_b32 exec_lo, exec_lo, s17
	s_cbranch_execnz .LBB6_2824
; %bb.2905:                             ;   in Loop: Header=BB6_51 Depth=1
	s_or_b32 exec_lo, exec_lo, s17
.LBB6_2906:                             ;   in Loop: Header=BB6_51 Depth=1
	v_writelane_b32 v56, s34, 5
	v_writelane_b32 v56, s35, 6
	s_or_b32 exec_lo, exec_lo, s15
	s_mov_b32 s30, s14
	s_and_not1_b32 vcc_lo, exec_lo, s29
	s_cbranch_vccnz .LBB6_3202
; %bb.2907:                             ;   in Loop: Header=BB6_51 Depth=1
	s_mov_b32 s13, 1
.LBB6_2908:                             ;   Parent Loop BB6_51 Depth=1
                                        ; =>  This Loop Header: Depth=2
                                        ;       Child Loop BB6_2910 Depth 3
                                        ;         Child Loop BB6_2919 Depth 4
                                        ;         Child Loop BB6_2949 Depth 4
	;; [unrolled: 1-line block ×5, first 2 shown]
                                        ;           Child Loop BB6_3004 Depth 5
                                        ;         Child Loop BB6_3015 Depth 4
                                        ;         Child Loop BB6_3021 Depth 4
                                        ;           Child Loop BB6_3022 Depth 5
                                        ;         Child Loop BB6_3036 Depth 4
                                        ;         Child Loop BB6_3042 Depth 4
	;; [unrolled: 1-line block ×6, first 2 shown]
                                        ;       Child Loop BB6_3117 Depth 3
                                        ;         Child Loop BB6_3123 Depth 4
                                        ;         Child Loop BB6_3155 Depth 4
	;; [unrolled: 1-line block ×3, first 2 shown]
	s_delay_alu instid0(SALU_CYCLE_1)
	s_mov_b32 s17, s13
	s_sub_i32 s13, s25, s13
	v_mov_b32_e32 v14, 0
	s_cmp_le_i32 s19, s13
	s_mov_b32 s35, 0
	s_cselect_b32 s14, s19, 0
	s_delay_alu instid0(SALU_CYCLE_1) | instskip(NEXT) | instid1(SALU_CYCLE_1)
	s_sub_i32 s13, s13, s14
	s_ashr_i32 s14, s13, 31
	v_mul_lo_u32 v2, v97, s13
	v_mad_u64_u32 v[8:9], null, v96, s13, 0
	v_mul_lo_u32 v10, v96, s14
	s_delay_alu instid0(VALU_DEP_1) | instskip(NEXT) | instid1(VALU_DEP_3)
	v_add3_u32 v9, v9, v10, v2
	v_sub_co_u32 v10, vcc_lo, v98, v8
	s_delay_alu instid0(VALU_DEP_2) | instskip(NEXT) | instid1(VALU_DEP_1)
	v_sub_co_ci_u32_e32 v11, vcc_lo, v99, v9, vcc_lo
	v_cmp_lt_i64_e32 vcc_lo, v[96:97], v[10:11]
	v_cndmask_b32_e32 v10, v10, v96, vcc_lo
	s_delay_alu instid0(VALU_DEP_1) | instskip(NEXT) | instid1(VALU_DEP_1)
	v_max_i32_e32 v20, 0, v10
	v_add_nc_u32_e32 v2, 31, v20
	s_delay_alu instid0(VALU_DEP_1) | instskip(NEXT) | instid1(VALU_DEP_1)
	v_lshrrev_b32_e32 v2, 1, v2
	v_and_b32_e32 v11, 0x3ffffff0, v2
	v_cmp_lt_i32_e32 vcc_lo, 0, v10
	v_mov_b32_e32 v2, 0
	s_delay_alu instid0(VALU_DEP_3) | instskip(SKIP_1) | instid1(SALU_CYCLE_1)
	v_max_i32_e32 v12, s28, v11
	s_and_b32 s13, s16, vcc_lo
	s_and_saveexec_b32 s34, s13
	s_cbranch_execz .LBB6_3115
; %bb.2909:                             ;   in Loop: Header=BB6_2908 Depth=2
	v_add_co_u32 v8, vcc_lo, v8, v100
	v_add_co_ci_u32_e32 v9, vcc_lo, v9, v101, vcc_lo
	v_mov_b32_e32 v14, 0
	s_mov_b32 s37, 1
	s_mov_b32 s36, -1
	s_delay_alu instid0(VALU_DEP_2)
	v_lshlrev_b64 v[16:17], 1, v[8:9]
.LBB6_2910:                             ;   Parent Loop BB6_51 Depth=1
                                        ;     Parent Loop BB6_2908 Depth=2
                                        ; =>    This Loop Header: Depth=3
                                        ;         Child Loop BB6_2919 Depth 4
                                        ;         Child Loop BB6_2949 Depth 4
	;; [unrolled: 1-line block ×5, first 2 shown]
                                        ;           Child Loop BB6_3004 Depth 5
                                        ;         Child Loop BB6_3015 Depth 4
                                        ;         Child Loop BB6_3021 Depth 4
                                        ;           Child Loop BB6_3022 Depth 5
                                        ;         Child Loop BB6_3036 Depth 4
                                        ;         Child Loop BB6_3042 Depth 4
	;; [unrolled: 1-line block ×6, first 2 shown]
	s_and_saveexec_b32 s14, s0
	s_cbranch_execz .LBB6_2913
; %bb.2911:                             ;   in Loop: Header=BB6_2910 Depth=3
	s_cbranch_execnz .LBB6_3603
; %bb.2912:                             ;   in Loop: Header=BB6_2910 Depth=3
	ds_load_b128 v[8:11], v0
	v_ashrrev_i32_e32 v15, 31, v14
	s_delay_alu instid0(VALU_DEP_1)
	v_lshlrev_b64 v[18:19], 1, v[14:15]
	s_waitcnt lgkmcnt(0)
	v_add_co_u32 v2, vcc_lo, v10, v16
	v_add_co_ci_u32_e32 v13, vcc_lo, v11, v17, vcc_lo
	v_add_co_u32 v8, vcc_lo, v8, v16
	v_add_co_ci_u32_e32 v9, vcc_lo, v9, v17, vcc_lo
	s_delay_alu instid0(VALU_DEP_4) | instskip(NEXT) | instid1(VALU_DEP_4)
	v_add_co_u32 v2, vcc_lo, v2, v18
	v_add_co_ci_u32_e32 v13, vcc_lo, v13, v19, vcc_lo
	v_cmp_ne_u64_e32 vcc_lo, 0, v[10:11]
	v_add_co_u32 v8, s13, v8, v18
	s_delay_alu instid0(VALU_DEP_1) | instskip(NEXT) | instid1(VALU_DEP_4)
	v_add_co_ci_u32_e64 v9, s13, v9, v19, s13
	v_dual_cndmask_b32 v11, 0, v13 :: v_dual_cndmask_b32 v10, 0, v2
	ds_store_b64 v0, v[8:9]
	ds_store_b64 v0, v[10:11]
.LBB6_2913:                             ;   in Loop: Header=BB6_2910 Depth=3
	s_or_b32 exec_lo, exec_lo, s14
	v_and_b32_e32 v2, 12, v30
	s_mov_b32 s14, -1
	s_mov_b32 s13, exec_lo
	s_delay_alu instid0(VALU_DEP_1)
	v_cmpx_ne_u32_e32 0, v2
	s_cbranch_execz .LBB6_2927
; %bb.2914:                             ;   in Loop: Header=BB6_2910 Depth=3
	v_and_b32_e32 v2, 8, v30
	s_delay_alu instid0(VALU_DEP_1) | instskip(SKIP_3) | instid1(VALU_DEP_1)
	v_add_co_u32 v10, vcc_lo, v82, v2
	v_add_co_ci_u32_e32 v11, vcc_lo, 0, v83, vcc_lo
	v_add_co_u32 v8, vcc_lo, v66, 2
	v_add_co_ci_u32_e32 v9, vcc_lo, 0, v67, vcc_lo
	v_cmp_lt_u64_e32 vcc_lo, v[10:11], v[8:9]
	v_mov_b32_e32 v10, 1
	s_and_saveexec_b32 s14, vcc_lo
	s_cbranch_execz .LBB6_2926
; %bb.2915:                             ;   in Loop: Header=BB6_2910 Depth=3
	v_mov_b32_e32 v10, 0
	s_mov_b32 s15, 0
                                        ; implicit-def: $sgpr38
	s_branch .LBB6_2919
.LBB6_2916:                             ;   in Loop: Header=BB6_2919 Depth=4
	s_or_b32 exec_lo, exec_lo, s42
	v_mov_b32_e32 v11, 0
	s_or_not1_b32 s41, s41, exec_lo
.LBB6_2917:                             ;   in Loop: Header=BB6_2919 Depth=4
	s_or_b32 exec_lo, exec_lo, s40
	s_delay_alu instid0(VALU_DEP_1) | instskip(SKIP_2) | instid1(SALU_CYCLE_1)
	v_mov_b32_e32 v10, v11
	s_and_not1_b32 vcc_lo, s38, exec_lo
	s_and_b32 s38, s41, exec_lo
	s_or_b32 s38, vcc_lo, s38
.LBB6_2918:                             ;   in Loop: Header=BB6_2919 Depth=4
	s_or_b32 exec_lo, exec_lo, s39
	s_waitcnt vmcnt(0) lgkmcnt(0)
	v_add_co_u32 v18, vcc_lo, v82, v2
	v_add_co_ci_u32_e32 v19, vcc_lo, 0, v83, vcc_lo
	s_xor_b32 s39, s38, -1
	s_delay_alu instid0(VALU_DEP_1) | instskip(SKIP_1) | instid1(SALU_CYCLE_1)
	v_cmp_ge_u64_e32 vcc_lo, v[18:19], v[8:9]
	s_or_b32 vcc_lo, s39, vcc_lo
	s_and_b32 vcc_lo, exec_lo, vcc_lo
	s_delay_alu instid0(SALU_CYCLE_1) | instskip(NEXT) | instid1(SALU_CYCLE_1)
	s_or_b32 s15, vcc_lo, s15
	s_and_not1_b32 exec_lo, exec_lo, s15
	s_cbranch_execz .LBB6_2925
.LBB6_2919:                             ;   Parent Loop BB6_51 Depth=1
                                        ;     Parent Loop BB6_2908 Depth=2
                                        ;       Parent Loop BB6_2910 Depth=3
                                        ; =>      This Inner Loop Header: Depth=4
	s_sleep 1
	flat_load_b64 v[82:83], v[64:65] glc
	v_and_b32_e32 v11, 64, v30
	s_and_not1_b32 s38, s38, exec_lo
	s_mov_b32 s39, exec_lo
	s_delay_alu instid0(VALU_DEP_1)
	v_cmpx_eq_u32_e32 0, v11
	s_cbranch_execz .LBB6_2918
; %bb.2920:                             ;   in Loop: Header=BB6_2919 Depth=4
	v_add_nc_u32_e32 v11, 1, v10
	s_mov_b32 s41, -1
	s_mov_b32 s40, exec_lo
	v_cmpx_lt_i32_e32 0x270e, v10
	s_cbranch_execz .LBB6_2917
; %bb.2921:                             ;   in Loop: Header=BB6_2919 Depth=4
	s_cbranch_execnz .LBB6_3645
; %bb.2922:                             ;   in Loop: Header=BB6_2919 Depth=4
	ds_load_b64 v[10:11], v0
	s_mov_b32 s42, exec_lo
	s_waitcnt vmcnt(0) lgkmcnt(0)
	s_waitcnt_vscnt null, 0x0
	flat_load_b32 v10, v[10:11] glc
	s_waitcnt vmcnt(0) lgkmcnt(0)
	buffer_gl1_inv
	buffer_gl0_inv
	v_cmpx_ne_u32_e32 0, v10
	s_cbranch_execz .LBB6_2916
; %bb.2923:                             ;   in Loop: Header=BB6_2919 Depth=4
	ds_store_b32 v0, v10
	s_cbranch_execnz .LBB6_3723
; %bb.2924:                             ;   in Loop: Header=BB6_2919 Depth=4
	v_or_b32_e32 v30, 64, v30
	s_xor_b32 s41, exec_lo, -1
	s_branch .LBB6_2916
.LBB6_2925:                             ;   in Loop: Header=BB6_2910 Depth=3
	s_or_b32 exec_lo, exec_lo, s15
	v_and_b32_e32 v10, 12, v30
.LBB6_2926:                             ;   in Loop: Header=BB6_2910 Depth=3
	s_or_b32 exec_lo, exec_lo, s14
	s_delay_alu instid0(VALU_DEP_1)
	v_cmp_eq_u32_e32 vcc_lo, 0, v10
	;;#ASMSTART
	s_wakeup
	;;#ASMEND
	s_or_not1_b32 s14, vcc_lo, exec_lo
.LBB6_2927:                             ;   in Loop: Header=BB6_2910 Depth=3
	s_or_b32 exec_lo, exec_lo, s13
	v_sub_nc_u32_e32 v2, v20, v14
	s_xor_b32 s13, s14, -1
	s_delay_alu instid0(VALU_DEP_1)
	v_min_i32_e32 v12, v12, v2
	s_and_saveexec_b32 s14, s13
	s_cbranch_execz .LBB6_2940
; %bb.2928:                             ;   in Loop: Header=BB6_2910 Depth=3
	v_and_b32_e32 v2, 0x108, v30
	s_delay_alu instid0(VALU_DEP_1) | instskip(SKIP_2) | instid1(SALU_CYCLE_1)
	v_cmp_ne_u32_e32 vcc_lo, 0x108, v2
	v_and_b32_e32 v2, 7, v66
	s_and_saveexec_b32 s13, vcc_lo
	s_xor_b32 s13, exec_lo, s13
	s_delay_alu instid0(SALU_CYCLE_1)
	s_and_not1_saveexec_b32 s13, s13
	s_cbranch_execz .LBB6_2930
; %bb.2929:                             ;   in Loop: Header=BB6_2910 Depth=3
	v_ashrrev_i32_e32 v13, 31, v12
	v_mad_u64_u32 v[8:9], null, v2, 24, v[6:7]
	s_delay_alu instid0(VALU_DEP_2)
	v_lshlrev_b64 v[10:11], 1, v[12:13]
	flat_store_b64 v[8:9], v[10:11] offset:8
.LBB6_2930:                             ;   in Loop: Header=BB6_2910 Depth=3
	s_or_b32 exec_lo, exec_lo, s13
	v_and_b32_e32 v8, 0x100, v30
	s_mov_b32 s13, -1
	s_delay_alu instid0(VALU_DEP_1)
	v_cmp_ne_u32_e32 vcc_lo, 0, v8
                                        ; implicit-def: $vgpr8_vgpr9
	s_and_saveexec_b32 s15, vcc_lo
	s_cbranch_execnz .LBB6_2933
; %bb.2931:                             ;   in Loop: Header=BB6_2910 Depth=3
	s_or_b32 exec_lo, exec_lo, s15
	s_and_saveexec_b32 s15, s13
	s_cbranch_execnz .LBB6_2936
.LBB6_2932:                             ;   in Loop: Header=BB6_2910 Depth=3
	s_or_b32 exec_lo, exec_lo, s15
	s_cbranch_execnz .LBB6_3635
	s_branch .LBB6_2937
.LBB6_2933:                             ;   in Loop: Header=BB6_2910 Depth=3
	v_mad_u64_u32 v[10:11], null, v2, 24, v[6:7]
	s_delay_alu instid0(VALU_DEP_1) | instskip(NEXT) | instid1(VALU_DEP_1)
	v_mov_b32_e32 v8, v11
	v_mad_u64_u32 v[18:19], null, v3, 24, v[8:9]
	s_delay_alu instid0(VALU_DEP_1) | instskip(SKIP_4) | instid1(VALU_DEP_1)
	v_mov_b32_e32 v11, v18
	flat_load_b32 v8, v[10:11]
	s_waitcnt vmcnt(0) lgkmcnt(0)
	v_cmp_ne_u32_e32 vcc_lo, 1, v8
	v_cmp_eq_u32_e64 s13, 1, v8
                                        ; implicit-def: $vgpr8_vgpr9
	s_and_saveexec_b32 s38, s13
	s_cbranch_execz .LBB6_2935
; %bb.2934:                             ;   in Loop: Header=BB6_2910 Depth=3
	flat_load_b32 v8, v[10:11] offset:4 glc
	s_waitcnt vmcnt(0) lgkmcnt(0)
	v_ashrrev_i32_e32 v9, 31, v8
	s_delay_alu instid0(VALU_DEP_1)
	v_lshrrev_b64 v[8:9], 1, v[8:9]
.LBB6_2935:                             ;   in Loop: Header=BB6_2910 Depth=3
	s_or_b32 exec_lo, exec_lo, s38
	s_delay_alu instid0(SALU_CYCLE_1)
	s_or_not1_b32 s13, vcc_lo, exec_lo
	s_or_b32 exec_lo, exec_lo, s15
	s_and_saveexec_b32 s15, s13
	s_cbranch_execz .LBB6_2932
.LBB6_2936:                             ;   in Loop: Header=BB6_2910 Depth=3
	v_mul_lo_u32 v10, v3, v133
	v_mul_lo_u32 v11, v2, v134
	v_mad_u64_u32 v[8:9], null, v2, v133, 0
	s_delay_alu instid0(VALU_DEP_1)
	v_add3_u32 v9, v9, v11, v10
	s_or_b32 exec_lo, exec_lo, s15
	s_cbranch_execnz .LBB6_3635
.LBB6_2937:                             ;   in Loop: Header=BB6_2910 Depth=3
	s_delay_alu instid0(VALU_DEP_1) | instskip(SKIP_2) | instid1(VALU_DEP_2)
	v_lshlrev_b64 v[8:9], 1, v[8:9]
	v_and_b32_e32 v2, 0x2000, v30
	s_mov_b32 s13, exec_lo
	v_add_co_u32 v8, vcc_lo, v68, v8
	s_delay_alu instid0(VALU_DEP_3)
	v_add_co_ci_u32_e32 v9, vcc_lo, v69, v9, vcc_lo
	ds_store_b64 v0, v[8:9]
	v_cmpx_ne_u32_e32 0, v2
	s_cbranch_execz .LBB6_2939
; %bb.2938:                             ;   in Loop: Header=BB6_2910 Depth=3
	ds_load_b64 v[8:9], v0 offset:584
	s_waitcnt lgkmcnt(0)
	v_add_co_u32 v8, vcc_lo, v8, 1
	v_add_co_ci_u32_e32 v9, vcc_lo, 0, v9, vcc_lo
	ds_store_b64 v0, v[8:9] offset:584
.LBB6_2939:                             ;   in Loop: Header=BB6_2910 Depth=3
	s_or_b32 exec_lo, exec_lo, s13
	v_add_co_u32 v66, vcc_lo, v66, 2
	v_add_co_ci_u32_e32 v67, vcc_lo, 0, v67, vcc_lo
.LBB6_2940:                             ;   in Loop: Header=BB6_2910 Depth=3
	s_or_b32 exec_lo, exec_lo, s14
	s_and_saveexec_b32 s13, s3
	s_cbranch_execz .LBB6_2962
; %bb.2941:                             ;   in Loop: Header=BB6_2910 Depth=3
	s_and_saveexec_b32 s14, s4
	s_delay_alu instid0(SALU_CYCLE_1)
	s_xor_b32 s14, exec_lo, s14
	s_cbranch_execz .LBB6_2959
; %bb.2942:                             ;   in Loop: Header=BB6_2910 Depth=3
	s_and_saveexec_b32 s15, s1
	s_cbranch_execz .LBB6_2958
; %bb.2943:                             ;   in Loop: Header=BB6_2910 Depth=3
	s_mov_b32 s39, exec_lo
	s_mov_b32 s38, exec_lo
	v_mbcnt_lo_u32_b32 v2, s39, 0
	s_waitcnt lgkmcnt(0)
	s_waitcnt_vscnt null, 0x0
	buffer_gl1_inv
	buffer_gl0_inv
	v_cmpx_eq_u32_e32 0, v2
	s_cbranch_execz .LBB6_2945
; %bb.2944:                             ;   in Loop: Header=BB6_2910 Depth=3
	s_bcnt1_i32_b32 vcc_lo, s39
	s_delay_alu instid0(SALU_CYCLE_1)
	v_mov_b32_e32 v2, vcc_lo
	ds_add_u64 v0, v[2:3]
	s_cbranch_execnz .LBB6_3779
.LBB6_2945:                             ;   in Loop: Header=BB6_2910 Depth=3
	s_or_b32 exec_lo, exec_lo, s38
	s_cbranch_execnz .LBB6_3749
; %bb.2946:                             ;   in Loop: Header=BB6_2910 Depth=3
	ds_load_b64 v[8:9], v0
	v_add_co_u32 v80, vcc_lo, v80, v145
	v_add_co_ci_u32_e32 v81, vcc_lo, 0, v81, vcc_lo
	s_mov_b32 s38, exec_lo
	s_waitcnt lgkmcnt(0)
	s_delay_alu instid0(VALU_DEP_1)
	v_cmpx_lt_u64_e64 v[8:9], v[80:81]
	s_cbranch_execz .LBB6_2957
; %bb.2947:                             ;   in Loop: Header=BB6_2910 Depth=3
	s_mov_b32 s39, 0
	s_mov_b32 s42, 0
                                        ; implicit-def: $sgpr40
                                        ; implicit-def: $sgpr41
	s_branch .LBB6_2949
.LBB6_2948:                             ;   in Loop: Header=BB6_2949 Depth=4
	s_or_b32 exec_lo, exec_lo, s44
	s_delay_alu instid0(SALU_CYCLE_1) | instskip(NEXT) | instid1(SALU_CYCLE_1)
	s_and_b32 vcc_lo, exec_lo, vcc_lo
	s_or_b32 s39, vcc_lo, s39
	s_and_not1_b32 vcc_lo, s40, exec_lo
	s_and_b32 s40, s41, exec_lo
	s_delay_alu instid0(SALU_CYCLE_1)
	s_or_b32 s40, vcc_lo, s40
	s_and_not1_b32 exec_lo, exec_lo, s39
	s_cbranch_execz .LBB6_2955
.LBB6_2949:                             ;   Parent Loop BB6_51 Depth=1
                                        ;     Parent Loop BB6_2908 Depth=2
                                        ;       Parent Loop BB6_2910 Depth=3
                                        ; =>      This Inner Loop Header: Depth=4
	s_add_i32 s42, s42, 1
                                        ; implicit-def: $sgpr44
	s_delay_alu instid0(SALU_CYCLE_1) | instskip(SKIP_1) | instid1(SALU_CYCLE_1)
	s_cmpk_lg_i32 s42, 0x2710
	s_cselect_b32 s43, -1, 0
	s_and_b32 vcc_lo, exec_lo, s43
	s_cbranch_vccz .LBB6_2953
.LBB6_2950:                             ;   in Loop: Header=BB6_2949 Depth=4
	s_and_not1_b32 s41, s41, exec_lo
	s_and_b32 s44, s44, exec_lo
	s_mov_b32 vcc_lo, -1
	s_or_b32 s41, s41, s44
	s_and_saveexec_b32 s44, s43
	s_cbranch_execz .LBB6_2948
; %bb.2951:                             ;   in Loop: Header=BB6_2949 Depth=4
	s_sleep 1
	s_cbranch_execnz .LBB6_3829
; %bb.2952:                             ;   in Loop: Header=BB6_2949 Depth=4
	ds_load_b64 v[8:9], v0
	s_and_not1_b32 s41, s41, exec_lo
	s_waitcnt lgkmcnt(0)
	v_cmp_ge_u64_e32 vcc_lo, v[8:9], v[80:81]
	s_or_not1_b32 vcc_lo, vcc_lo, exec_lo
	s_branch .LBB6_2948
.LBB6_2953:                             ;   in Loop: Header=BB6_2949 Depth=4
	s_cbranch_execnz .LBB6_3851
; %bb.2954:                             ;   in Loop: Header=BB6_2949 Depth=4
	ds_load_b64 v[8:9], v0
	s_and_not1_b32 s43, s43, exec_lo
	s_mov_b32 s42, 0
	s_mov_b32 s44, -1
	s_waitcnt lgkmcnt(0)
	flat_load_b32 v2, v[8:9] glc
	s_waitcnt vmcnt(0) lgkmcnt(0)
	buffer_gl1_inv
	buffer_gl0_inv
	v_cmp_eq_u32_e32 vcc_lo, 0, v2
	s_and_b32 vcc_lo, vcc_lo, exec_lo
	s_delay_alu instid0(SALU_CYCLE_1)
	s_or_b32 s43, s43, vcc_lo
	s_branch .LBB6_2950
.LBB6_2955:                             ;   in Loop: Header=BB6_2910 Depth=3
	s_or_b32 exec_lo, exec_lo, s39
	s_and_saveexec_b32 vcc_lo, s40
	s_delay_alu instid0(SALU_CYCLE_1)
	s_xor_b32 vcc_lo, exec_lo, vcc_lo
	s_cbranch_execz .LBB6_2957
; %bb.2956:                             ;   in Loop: Header=BB6_2910 Depth=3
	ds_store_b32 v0, v182
	s_cbranch_execnz .LBB6_3965
.LBB6_2957:                             ;   in Loop: Header=BB6_2910 Depth=3
	s_or_b32 exec_lo, exec_lo, s38
	;;#ASMSTART
	s_wakeup
	;;#ASMEND
.LBB6_2958:                             ;   in Loop: Header=BB6_2910 Depth=3
	s_or_b32 exec_lo, exec_lo, s15
.LBB6_2959:                             ;   in Loop: Header=BB6_2910 Depth=3
	s_and_not1_saveexec_b32 s14, s14
	s_cbranch_execz .LBB6_2961
; %bb.2960:                             ;   in Loop: Header=BB6_2910 Depth=3
	s_waitcnt lgkmcnt(0)
	s_waitcnt_vscnt null, 0x0
	buffer_gl1_inv
	buffer_gl0_inv
	s_barrier
.LBB6_2961:                             ;   in Loop: Header=BB6_2910 Depth=3
	s_or_b32 exec_lo, exec_lo, s14
.LBB6_2962:                             ;   in Loop: Header=BB6_2910 Depth=3
	s_delay_alu instid0(SALU_CYCLE_1)
	s_or_b32 exec_lo, exec_lo, s13
	s_cbranch_execnz .LBB6_3617
; %bb.2963:                             ;   in Loop: Header=BB6_2910 Depth=3
	ds_load_b32 v8, v0
	v_and_b32_e32 v2, 0x4000, v30
	s_xor_b32 s13, s2, -1
	s_delay_alu instid0(VALU_DEP_1) | instskip(SKIP_1) | instid1(SALU_CYCLE_1)
	v_cmp_ne_u32_e32 vcc_lo, 0, v2
	s_and_b32 s14, s13, vcc_lo
	s_and_saveexec_b32 s13, s14
	s_cbranch_execz .LBB6_2985
; %bb.2964:                             ;   in Loop: Header=BB6_2910 Depth=3
	s_and_saveexec_b32 s14, s4
	s_delay_alu instid0(SALU_CYCLE_1)
	s_xor_b32 s14, exec_lo, s14
	s_cbranch_execz .LBB6_2982
; %bb.2965:                             ;   in Loop: Header=BB6_2910 Depth=3
	s_and_saveexec_b32 s15, s1
	s_cbranch_execz .LBB6_2981
; %bb.2966:                             ;   in Loop: Header=BB6_2910 Depth=3
	s_mov_b32 s39, exec_lo
	s_mov_b32 s38, exec_lo
	v_mbcnt_lo_u32_b32 v2, s39, 0
	s_waitcnt lgkmcnt(0)
	s_waitcnt_vscnt null, 0x0
	buffer_gl1_inv
	buffer_gl0_inv
	v_cmpx_eq_u32_e32 0, v2
	s_cbranch_execz .LBB6_2968
; %bb.2967:                             ;   in Loop: Header=BB6_2910 Depth=3
	s_bcnt1_i32_b32 vcc_lo, s39
	s_delay_alu instid0(SALU_CYCLE_1)
	v_mov_b32_e32 v2, vcc_lo
	ds_add_u64 v0, v[2:3]
	s_cbranch_execnz .LBB6_3817
.LBB6_2968:                             ;   in Loop: Header=BB6_2910 Depth=3
	s_or_b32 exec_lo, exec_lo, s38
	s_cbranch_execnz .LBB6_3799
; %bb.2969:                             ;   in Loop: Header=BB6_2910 Depth=3
	ds_load_b64 v[9:10], v0
	v_add_co_u32 v80, vcc_lo, v80, v145
	v_add_co_ci_u32_e32 v81, vcc_lo, 0, v81, vcc_lo
	s_mov_b32 s38, exec_lo
	s_waitcnt lgkmcnt(0)
	s_delay_alu instid0(VALU_DEP_1)
	v_cmpx_lt_u64_e64 v[9:10], v[80:81]
	s_cbranch_execz .LBB6_2980
; %bb.2970:                             ;   in Loop: Header=BB6_2910 Depth=3
	s_mov_b32 s39, 0
	s_mov_b32 s42, 0
                                        ; implicit-def: $sgpr40
                                        ; implicit-def: $sgpr41
	s_branch .LBB6_2972
.LBB6_2971:                             ;   in Loop: Header=BB6_2972 Depth=4
	s_or_b32 exec_lo, exec_lo, s44
	s_delay_alu instid0(SALU_CYCLE_1) | instskip(NEXT) | instid1(SALU_CYCLE_1)
	s_and_b32 vcc_lo, exec_lo, vcc_lo
	s_or_b32 s39, vcc_lo, s39
	s_and_not1_b32 vcc_lo, s40, exec_lo
	s_and_b32 s40, s41, exec_lo
	s_delay_alu instid0(SALU_CYCLE_1)
	s_or_b32 s40, vcc_lo, s40
	s_and_not1_b32 exec_lo, exec_lo, s39
	s_cbranch_execz .LBB6_2978
.LBB6_2972:                             ;   Parent Loop BB6_51 Depth=1
                                        ;     Parent Loop BB6_2908 Depth=2
                                        ;       Parent Loop BB6_2910 Depth=3
                                        ; =>      This Inner Loop Header: Depth=4
	s_add_i32 s42, s42, 1
                                        ; implicit-def: $sgpr44
	s_delay_alu instid0(SALU_CYCLE_1) | instskip(SKIP_1) | instid1(SALU_CYCLE_1)
	s_cmpk_lg_i32 s42, 0x2710
	s_cselect_b32 s43, -1, 0
	s_and_b32 vcc_lo, exec_lo, s43
	s_cbranch_vccz .LBB6_2976
.LBB6_2973:                             ;   in Loop: Header=BB6_2972 Depth=4
	s_and_not1_b32 s41, s41, exec_lo
	s_and_b32 s44, s44, exec_lo
	s_mov_b32 vcc_lo, -1
	s_or_b32 s41, s41, s44
	s_and_saveexec_b32 s44, s43
	s_cbranch_execz .LBB6_2971
; %bb.2974:                             ;   in Loop: Header=BB6_2972 Depth=4
	s_sleep 1
	s_cbranch_execnz .LBB6_3887
; %bb.2975:                             ;   in Loop: Header=BB6_2972 Depth=4
	ds_load_b64 v[9:10], v0
	s_and_not1_b32 s41, s41, exec_lo
	s_waitcnt lgkmcnt(0)
	v_cmp_ge_u64_e32 vcc_lo, v[9:10], v[80:81]
	s_or_not1_b32 vcc_lo, vcc_lo, exec_lo
	s_branch .LBB6_2971
.LBB6_2976:                             ;   in Loop: Header=BB6_2972 Depth=4
	s_cbranch_execnz .LBB6_3895
; %bb.2977:                             ;   in Loop: Header=BB6_2972 Depth=4
	ds_load_b64 v[9:10], v0
	s_and_not1_b32 s43, s43, exec_lo
	s_mov_b32 s42, 0
	s_mov_b32 s44, -1
	s_waitcnt lgkmcnt(0)
	flat_load_b32 v2, v[9:10] glc
	s_waitcnt vmcnt(0) lgkmcnt(0)
	buffer_gl1_inv
	buffer_gl0_inv
	v_cmp_eq_u32_e32 vcc_lo, 0, v2
	s_and_b32 vcc_lo, vcc_lo, exec_lo
	s_delay_alu instid0(SALU_CYCLE_1)
	s_or_b32 s43, s43, vcc_lo
	s_branch .LBB6_2973
.LBB6_2978:                             ;   in Loop: Header=BB6_2910 Depth=3
	s_or_b32 exec_lo, exec_lo, s39
	s_and_saveexec_b32 vcc_lo, s40
	s_delay_alu instid0(SALU_CYCLE_1)
	s_xor_b32 vcc_lo, exec_lo, vcc_lo
	s_cbranch_execz .LBB6_2980
; %bb.2979:                             ;   in Loop: Header=BB6_2910 Depth=3
	ds_store_b32 v0, v182
	s_cbranch_execnz .LBB6_3981
.LBB6_2980:                             ;   in Loop: Header=BB6_2910 Depth=3
	s_or_b32 exec_lo, exec_lo, s38
	;;#ASMSTART
	s_wakeup
	;;#ASMEND
.LBB6_2981:                             ;   in Loop: Header=BB6_2910 Depth=3
	s_or_b32 exec_lo, exec_lo, s15
.LBB6_2982:                             ;   in Loop: Header=BB6_2910 Depth=3
	s_and_not1_saveexec_b32 s14, s14
	s_cbranch_execz .LBB6_2984
; %bb.2983:                             ;   in Loop: Header=BB6_2910 Depth=3
	s_waitcnt lgkmcnt(0)
	s_waitcnt_vscnt null, 0x0
	buffer_gl1_inv
	buffer_gl0_inv
	s_barrier
.LBB6_2984:                             ;   in Loop: Header=BB6_2910 Depth=3
	s_or_b32 exec_lo, exec_lo, s14
.LBB6_2985:                             ;   in Loop: Header=BB6_2910 Depth=3
	s_delay_alu instid0(SALU_CYCLE_1)
	s_or_b32 exec_lo, exec_lo, s13
	s_cbranch_execnz .LBB6_3675
; %bb.2986:                             ;   in Loop: Header=BB6_2910 Depth=3
	ds_load_b64 v[9:10], v0
	v_mov_b32_e32 v13, 0
	s_waitcnt lgkmcnt(0)
	v_cmp_eq_u64_e32 vcc_lo, 0, v[9:10]
	s_or_b32 s13, vcc_lo, vcc_lo
	s_delay_alu instid0(SALU_CYCLE_1)
	s_and_b32 vcc_lo, exec_lo, s13
	s_cbranch_vccnz .LBB6_3061
; %bb.2987:                             ;   in Loop: Header=BB6_2910 Depth=3
	v_cmp_eq_u32_e32 vcc_lo, 0, v8
	s_cbranch_execnz .LBB6_3741
; %bb.2988:                             ;   in Loop: Header=BB6_2910 Depth=3
	ds_load_b64 v[8:9], v0
	v_cndmask_b32_e32 v13, 0, v12, vcc_lo
	s_mov_b32 s13, -1
	s_delay_alu instid0(VALU_DEP_1)
	v_lshlrev_b32_e32 v2, 1, v13
	s_waitcnt lgkmcnt(0)
	v_cmp_ne_u64_e32 vcc_lo, 0, v[8:9]
	s_cbranch_vccz .LBB6_3026
; %bb.2989:                             ;   in Loop: Header=BB6_2910 Depth=3
	s_and_saveexec_b32 s14, s6
	s_cbranch_execz .LBB6_2991
; %bb.2990:                             ;   in Loop: Header=BB6_2910 Depth=3
	ds_load_b32 v8, v0 offset:720
	s_waitcnt lgkmcnt(0)
	v_and_b32_e32 v8, 15, v8
	s_delay_alu instid0(VALU_DEP_1)
	v_cmp_eq_u32_e32 vcc_lo, 0, v8
	s_or_not1_b32 s13, vcc_lo, exec_lo
.LBB6_2991:                             ;   in Loop: Header=BB6_2910 Depth=3
	s_or_b32 exec_lo, exec_lo, s14
	s_and_saveexec_b32 s14, s12
	s_cbranch_execz .LBB6_2993
; %bb.2992:                             ;   in Loop: Header=BB6_2910 Depth=3
	ds_load_b32 v8, v0 offset:784
	s_waitcnt lgkmcnt(0)
	v_and_b32_e32 v8, 15, v8
	s_delay_alu instid0(VALU_DEP_1) | instskip(SKIP_3) | instid1(SALU_CYCLE_1)
	v_cmp_eq_u32_e32 vcc_lo, 0, v8
	s_and_b32 s15, s13, vcc_lo
	s_and_not1_b32 s13, s13, exec_lo
	s_and_b32 s15, s15, exec_lo
	s_or_b32 s13, s13, s15
.LBB6_2993:                             ;   in Loop: Header=BB6_2910 Depth=3
	s_or_b32 exec_lo, exec_lo, s14
	s_xor_b32 s13, s13, -1
	v_dual_mov_b32 v15, 0 :: v_dual_mov_b32 v22, v0
	v_cndmask_b32_e64 v8, 0, 1, s13
	;;#ASMSTART
	;;#ASMEND
	s_delay_alu instid0(VALU_DEP_1)
	v_cmp_ne_u32_e32 vcc_lo, 0, v8
	v_dual_mov_b32 v21, v2 :: v_dual_mov_b32 v8, v135
	s_mov_b32 s13, -1
	s_cbranch_vccnz .LBB6_3011
; %bb.2994:                             ;   in Loop: Header=BB6_2910 Depth=3
	v_ashrrev_i32_e32 v8, 31, v2
	s_mov_b32 s14, exec_lo
	s_delay_alu instid0(VALU_DEP_1) | instskip(NEXT) | instid1(VALU_DEP_1)
	v_lshrrev_b32_e32 v8, 21, v8
	v_add_nc_u32_e32 v8, v2, v8
	s_delay_alu instid0(VALU_DEP_1) | instskip(NEXT) | instid1(VALU_DEP_1)
	v_ashrrev_i32_e32 v15, 11, v8
	v_sub_nc_u32_e32 v24, v15, v135
	s_delay_alu instid0(VALU_DEP_1)
	v_cmpx_lt_i32_e32 0, v24
	s_cbranch_execz .LBB6_2999
; %bb.2995:                             ;   in Loop: Header=BB6_2910 Depth=3
	s_cbranch_execnz .LBB6_3911
; %bb.2996:                             ;   in Loop: Header=BB6_2910 Depth=3
	ds_load_b64 v[8:9], v0
	ds_load_b128 v[32:35], v0
	s_mov_b32 s15, 0
	s_waitcnt lgkmcnt(1)
	v_add_co_u32 v8, vcc_lo, v8, v178
	v_add_co_ci_u32_e32 v9, vcc_lo, v9, v179, vcc_lo
	s_waitcnt lgkmcnt(0)
	v_add_co_u32 v10, vcc_lo, v32, v178
	v_add_co_ci_u32_e32 v11, vcc_lo, v33, v179, vcc_lo
	v_add_co_u32 v18, vcc_lo, v34, v178
	v_add_co_ci_u32_e32 v19, vcc_lo, v35, v179, vcc_lo
	s_set_inst_prefetch_distance 0x1
.LBB6_2997:                             ;   Parent Loop BB6_51 Depth=1
                                        ;     Parent Loop BB6_2908 Depth=2
                                        ;       Parent Loop BB6_2910 Depth=3
                                        ; =>      This Inner Loop Header: Depth=4
	s_clause 0x3
	global_load_b128 v[32:35], v[8:9], off slc dlc
	global_load_b128 v[36:39], v[8:9], off offset:512 slc dlc
	global_load_b128 v[48:51], v[8:9], off offset:1024 slc dlc
	;; [unrolled: 1-line block ×3, first 2 shown]
	v_sub_nc_u32_e32 v24, v24, v145
	v_add_co_u32 v8, vcc_lo, v8, v180
	v_add_co_ci_u32_e32 v9, vcc_lo, v9, v181, vcc_lo
	s_delay_alu instid0(VALU_DEP_3)
	v_cmp_gt_i32_e32 vcc_lo, 1, v24
	s_waitcnt vmcnt(3)
	global_store_b128 v[10:11], v[32:35], off glc slc dlc
	s_waitcnt vmcnt(2)
	global_store_b128 v[10:11], v[36:39], off offset:512 glc slc dlc
	s_waitcnt vmcnt(1)
	global_store_b128 v[10:11], v[48:51], off offset:1024 glc slc dlc
	;; [unrolled: 2-line block ×3, first 2 shown]
	s_clause 0x3
	global_store_b128 v[18:19], v[32:35], off glc slc dlc
	global_store_b128 v[18:19], v[36:39], off offset:512 glc slc dlc
	global_store_b128 v[18:19], v[48:51], off offset:1024 glc slc dlc
	;; [unrolled: 1-line block ×3, first 2 shown]
	v_add_co_u32 v10, s13, v10, v180
	s_delay_alu instid0(VALU_DEP_1) | instskip(SKIP_1) | instid1(VALU_DEP_1)
	v_add_co_ci_u32_e64 v11, s13, v11, v181, s13
	v_add_co_u32 v18, s13, v18, v180
	v_add_co_ci_u32_e64 v19, s13, v19, v181, s13
	s_or_b32 s15, vcc_lo, s15
	s_delay_alu instid0(SALU_CYCLE_1)
	s_and_not1_b32 exec_lo, exec_lo, s15
	s_cbranch_execnz .LBB6_2997
; %bb.2998:                             ;   in Loop: Header=BB6_2910 Depth=3
	s_set_inst_prefetch_distance 0x2
	s_or_b32 exec_lo, exec_lo, s15
.LBB6_2999:                             ;   in Loop: Header=BB6_2910 Depth=3
	s_delay_alu instid0(SALU_CYCLE_1) | instskip(SKIP_4) | instid1(VALU_DEP_2)
	s_or_b32 exec_lo, exec_lo, s14
	v_lshlrev_b32_e32 v23, 11, v15
	v_mov_b32_e32 v15, 0
	s_mov_b32 s13, 0
	s_mov_b32 s38, exec_lo
                                        ; implicit-def: $vgpr21
                                        ; implicit-def: $vgpr22
                                        ; implicit-def: $vgpr8
	v_cmpx_ne_u32_e64 v2, v23
	s_cbranch_execz .LBB6_3010
; %bb.3000:                             ;   in Loop: Header=BB6_2910 Depth=3
	v_lshlrev_b32_e32 v8, 5, v24
	v_sub_nc_u32_e32 v10, v2, v23
	s_mov_b32 s39, exec_lo
	s_delay_alu instid0(VALU_DEP_2) | instskip(NEXT) | instid1(VALU_DEP_2)
	v_sub_nc_u32_e32 v8, v144, v8
	v_ashrrev_i32_e32 v11, 31, v10
	s_delay_alu instid0(VALU_DEP_2) | instskip(NEXT) | instid1(VALU_DEP_2)
	v_ashrrev_i32_e32 v9, 31, v8
	v_lshrrev_b32_e32 v11, 23, v11
	s_delay_alu instid0(VALU_DEP_2) | instskip(NEXT) | instid1(VALU_DEP_2)
	v_lshrrev_b32_e32 v9, 27, v9
	v_add_nc_u32_e32 v11, v10, v11
	s_delay_alu instid0(VALU_DEP_2) | instskip(NEXT) | instid1(VALU_DEP_2)
	v_add_nc_u32_e32 v9, v8, v9
	v_and_b32_e32 v24, 0xfffffe00, v11
	v_ashrrev_i32_e32 v11, 9, v11
	s_delay_alu instid0(VALU_DEP_3) | instskip(NEXT) | instid1(VALU_DEP_3)
	v_and_b32_e32 v15, 0xffffffe0, v9
	v_sub_nc_u32_e32 v26, v10, v24
	v_ashrrev_i32_e32 v9, 5, v9
	s_delay_alu instid0(VALU_DEP_3) | instskip(NEXT) | instid1(VALU_DEP_3)
	v_sub_nc_u32_e32 v25, v8, v15
	v_cmp_lt_i32_e64 s13, 15, v26
	s_delay_alu instid0(VALU_DEP_2) | instskip(NEXT) | instid1(VALU_DEP_2)
	v_lshlrev_b32_e32 v8, 4, v25
	v_add_co_ci_u32_e64 v11, vcc_lo, 0, v11, s13
	s_delay_alu instid0(VALU_DEP_2) | instskip(NEXT) | instid1(VALU_DEP_2)
	v_lshl_add_u32 v8, v9, 9, v8
	v_sub_nc_u32_e32 v27, v11, v9
	s_delay_alu instid0(VALU_DEP_2) | instskip(NEXT) | instid1(VALU_DEP_1)
	v_sub_nc_u32_e32 v15, v10, v8
	v_cmpx_lt_i32_e32 15, v15
	s_cbranch_execz .LBB6_3007
; %bb.3001:                             ;   in Loop: Header=BB6_2910 Depth=3
	s_cbranch_execnz .LBB6_3949
; %bb.3002:                             ;   in Loop: Header=BB6_2910 Depth=3
	ds_load_b64 v[9:10], v0
	ds_load_b128 v[32:35], v0
	v_add_nc_u32_e32 v8, v8, v23
	s_mov_b32 s40, 0
	s_delay_alu instid0(VALU_DEP_1) | instskip(SKIP_2) | instid1(VALU_DEP_2)
	v_ashrrev_i32_e32 v11, 31, v8
	s_waitcnt lgkmcnt(1)
	v_add_co_u32 v18, vcc_lo, v9, v8
	v_add_co_ci_u32_e32 v19, vcc_lo, v10, v11, vcc_lo
	s_waitcnt lgkmcnt(0)
	v_add_co_u32 v21, vcc_lo, v32, v8
	v_add_co_ci_u32_e32 v22, vcc_lo, v33, v11, vcc_lo
	v_add_co_u32 v32, vcc_lo, v34, v8
	v_add_co_ci_u32_e32 v33, vcc_lo, v35, v11, vcc_lo
.LBB6_3003:                             ;   Parent Loop BB6_51 Depth=1
                                        ;     Parent Loop BB6_2908 Depth=2
                                        ;       Parent Loop BB6_2910 Depth=3
                                        ; =>      This Loop Header: Depth=4
                                        ;           Child Loop BB6_3004 Depth 5
	global_load_b128 v[8:11], v[18:19], off slc dlc
	s_mov_b64 s[14:15], 0
	s_mov_b32 s41, -1
.LBB6_3004:                             ;   Parent Loop BB6_51 Depth=1
                                        ;     Parent Loop BB6_2908 Depth=2
                                        ;       Parent Loop BB6_2910 Depth=3
                                        ;         Parent Loop BB6_3003 Depth=4
                                        ; =>        This Inner Loop Header: Depth=5
	s_cmp_eq_u32 s14, 0
	v_cndmask_b32_e64 v36, 0, 1, s41
	s_cselect_b32 vcc_lo, -1, 0
	s_cmp_eq_u32 s14, 1
	s_mov_b32 s41, 0
	s_cselect_b32 s14, -1, 0
	s_delay_alu instid0(SALU_CYCLE_1) | instskip(SKIP_1) | instid1(VALU_DEP_2)
	v_cndmask_b32_e64 v34, v21, v32, s14
	v_cndmask_b32_e64 v35, v22, v33, s14
	v_add_co_u32 v37, s15, 0x200, v34
	s_delay_alu instid0(VALU_DEP_1) | instskip(SKIP_1) | instid1(VALU_DEP_3)
	v_add_co_ci_u32_e64 v38, s15, 0, v35, s15
	v_cmp_ne_u32_e64 s15, 1, v36
	v_cndmask_b32_e64 v32, v32, v37, s14
	v_cndmask_b32_e32 v21, v21, v37, vcc_lo
	s_delay_alu instid0(VALU_DEP_4)
	v_cndmask_b32_e64 v33, v33, v38, s14
	v_cndmask_b32_e32 v22, v22, v38, vcc_lo
	s_and_b32 vcc_lo, exec_lo, s15
	s_mov_b64 s[14:15], 1
	s_waitcnt vmcnt(0)
	global_store_b128 v[34:35], v[8:11], off glc slc dlc
	s_cbranch_vccz .LBB6_3004
; %bb.3005:                             ;   in Loop: Header=BB6_3003 Depth=4
	v_add_co_u32 v21, vcc_lo, v21, v149
	v_sub_nc_u32_e32 v15, v15, v147
	v_add_co_ci_u32_e32 v22, vcc_lo, v22, v160, vcc_lo
	v_add_co_u32 v32, vcc_lo, v32, v149
	v_add_co_ci_u32_e32 v33, vcc_lo, v33, v160, vcc_lo
	s_delay_alu instid0(VALU_DEP_4) | instskip(SKIP_1) | instid1(VALU_DEP_1)
	v_cmp_gt_i32_e32 vcc_lo, 16, v15
	v_add_co_u32 v18, s14, v162, v18
	v_add_co_ci_u32_e64 v19, s14, v163, v19, s14
	v_sub_nc_u32_e32 v27, v27, v145
	s_or_b32 s40, vcc_lo, s40
	s_delay_alu instid0(SALU_CYCLE_1)
	s_and_not1_b32 exec_lo, exec_lo, s40
	s_cbranch_execnz .LBB6_3003
; %bb.3006:                             ;   in Loop: Header=BB6_2910 Depth=3
	s_or_b32 exec_lo, exec_lo, s40
.LBB6_3007:                             ;   in Loop: Header=BB6_2910 Depth=3
	s_delay_alu instid0(SALU_CYCLE_1) | instskip(SKIP_4) | instid1(VALU_DEP_2)
	s_or_b32 exec_lo, exec_lo, s39
	v_and_b32_e32 v9, 14, v2
	v_mov_b32_e32 v15, 0
	s_mov_b32 s14, 0
	s_mov_b32 s15, exec_lo
                                        ; implicit-def: $vgpr22
                                        ; implicit-def: $vgpr8
	v_cndmask_b32_e64 v21, v26, v9, s13
	s_delay_alu instid0(VALU_DEP_1)
	v_cmpx_ne_u32_e32 0, v21
	s_cbranch_execz .LBB6_3009
; %bb.3008:                             ;   in Loop: Header=BB6_2910 Depth=3
	v_cmp_lt_i32_e32 vcc_lo, 0, v27
	v_sub_nc_u32_e32 v9, v26, v9
	s_mov_b32 s14, exec_lo
	v_cndmask_b32_e32 v8, 0, v145, vcc_lo
	s_delay_alu instid0(VALU_DEP_2) | instskip(NEXT) | instid1(VALU_DEP_2)
	v_cndmask_b32_e64 v9, 0, v9, s13
	v_sub_nc_u32_e32 v8, v8, v27
	s_delay_alu instid0(VALU_DEP_2) | instskip(NEXT) | instid1(VALU_DEP_2)
	v_add3_u32 v15, v24, v23, v9
	v_lshl_add_u32 v22, v8, 5, v25
	s_delay_alu instid0(VALU_DEP_1) | instskip(NEXT) | instid1(VALU_DEP_1)
	v_ashrrev_i32_e32 v8, 31, v22
	v_lshrrev_b32_e32 v8, 27, v8
	s_delay_alu instid0(VALU_DEP_1) | instskip(NEXT) | instid1(VALU_DEP_1)
	v_add_nc_u32_e32 v8, v22, v8
	v_ashrrev_i32_e32 v8, 5, v8
.LBB6_3009:                             ;   in Loop: Header=BB6_2910 Depth=3
	s_or_b32 exec_lo, exec_lo, s15
	s_delay_alu instid0(SALU_CYCLE_1)
	s_and_b32 s13, s14, exec_lo
.LBB6_3010:                             ;   in Loop: Header=BB6_2910 Depth=3
	s_or_b32 exec_lo, exec_lo, s38
.LBB6_3011:                             ;   in Loop: Header=BB6_2910 Depth=3
	s_and_saveexec_b32 s38, s13
	s_cbranch_execz .LBB6_3025
; %bb.3012:                             ;   in Loop: Header=BB6_2910 Depth=3
	v_ashrrev_i32_e32 v9, 31, v21
	s_mov_b32 s14, exec_lo
	s_delay_alu instid0(VALU_DEP_1) | instskip(NEXT) | instid1(VALU_DEP_1)
	v_lshrrev_b32_e32 v9, 22, v9
	v_add_nc_u32_e32 v9, v21, v9
	s_delay_alu instid0(VALU_DEP_1) | instskip(NEXT) | instid1(VALU_DEP_1)
	v_ashrrev_i32_e32 v24, 10, v9
	v_sub_nc_u32_e32 v23, v24, v8
	s_delay_alu instid0(VALU_DEP_1)
	v_cmpx_lt_i32_e32 0, v23
	s_cbranch_execz .LBB6_3017
; %bb.3013:                             ;   in Loop: Header=BB6_2910 Depth=3
	s_cbranch_execnz .LBB6_3907
; %bb.3014:                             ;   in Loop: Header=BB6_2910 Depth=3
	v_ashrrev_i32_e32 v9, 31, v22
	v_lshlrev_b32_e32 v8, 10, v8
	s_mov_b32 s15, 0
	ds_load_b128 v[32:35], v0
	v_lshrrev_b32_e32 v9, 27, v9
	s_delay_alu instid0(VALU_DEP_1) | instskip(NEXT) | instid1(VALU_DEP_1)
	v_add_nc_u32_e32 v9, v22, v9
	v_and_b32_e32 v11, 0x7fffffe0, v9
	ds_load_b64 v[9:10], v0
	v_sub_nc_u32_e32 v11, v22, v11
	s_delay_alu instid0(VALU_DEP_1) | instskip(NEXT) | instid1(VALU_DEP_1)
	v_lshlrev_b32_e32 v11, 1, v11
	v_add3_u32 v18, v11, v15, v8
	s_delay_alu instid0(VALU_DEP_1)
	v_ashrrev_i32_e32 v19, 31, v18
	s_waitcnt lgkmcnt(0)
	v_add_co_u32 v25, vcc_lo, 0x3c0, v9
	v_add_co_ci_u32_e32 v26, vcc_lo, 0, v10, vcc_lo
	v_add_co_u32 v8, vcc_lo, v32, v18
	v_add_co_ci_u32_e32 v9, vcc_lo, v33, v19, vcc_lo
	;; [unrolled: 2-line block ×4, first 2 shown]
.LBB6_3015:                             ;   Parent Loop BB6_51 Depth=1
                                        ;     Parent Loop BB6_2908 Depth=2
                                        ;       Parent Loop BB6_2910 Depth=3
                                        ; =>      This Inner Loop Header: Depth=4
	s_delay_alu instid0(VALU_DEP_2) | instskip(NEXT) | instid1(VALU_DEP_2)
	v_add_co_u32 v25, vcc_lo, 0xfffffc40, v18
	v_add_co_ci_u32_e32 v26, vcc_lo, -1, v19, vcc_lo
	v_add_co_u32 v32, vcc_lo, 0xfffffc80, v18
	v_add_co_ci_u32_e32 v33, vcc_lo, -1, v19, vcc_lo
	;; [unrolled: 2-line block ×15, first 2 shown]
	flat_load_u16 v27, v[18:19] slc dlc
	flat_load_u16 v25, v[25:26] slc dlc
	;; [unrolled: 1-line block ×16, first 2 shown]
	v_sub_nc_u32_e32 v23, v23, v145
	v_add_co_u32 v18, vcc_lo, v18, v165
	v_add_co_ci_u32_e32 v19, vcc_lo, v19, v166, vcc_lo
	s_delay_alu instid0(VALU_DEP_3)
	v_cmp_gt_i32_e32 vcc_lo, 1, v23
	s_waitcnt vmcnt(14) lgkmcnt(14)
	flat_store_b16 v[8:9], v25 glc slc dlc
	s_waitcnt vmcnt(13) lgkmcnt(14)
	flat_store_b16 v[8:9], v26 offset:64 glc slc dlc
	s_waitcnt vmcnt(12) lgkmcnt(14)
	flat_store_b16 v[8:9], v32 offset:128 glc slc dlc
	;; [unrolled: 2-line block ×13, first 2 shown]
	s_waitcnt vmcnt(0) lgkmcnt(14)
	s_clause 0x1
	flat_store_b16 v[8:9], v102 offset:896 glc slc dlc
	flat_store_b16 v[8:9], v27 offset:960 glc slc dlc
	s_clause 0xf
	flat_store_b16 v[10:11], v25 glc slc dlc
	flat_store_b16 v[10:11], v26 offset:64 glc slc dlc
	flat_store_b16 v[10:11], v32 offset:128 glc slc dlc
	;; [unrolled: 1-line block ×15, first 2 shown]
	v_add_co_u32 v8, s13, v8, v165
	s_delay_alu instid0(VALU_DEP_1) | instskip(SKIP_1) | instid1(VALU_DEP_1)
	v_add_co_ci_u32_e64 v9, s13, v9, v166, s13
	v_add_co_u32 v10, s13, v10, v165
	v_add_co_ci_u32_e64 v11, s13, v11, v166, s13
	s_or_b32 s15, vcc_lo, s15
	s_delay_alu instid0(SALU_CYCLE_1)
	s_and_not1_b32 exec_lo, exec_lo, s15
	s_cbranch_execnz .LBB6_3015
; %bb.3016:                             ;   in Loop: Header=BB6_2910 Depth=3
	s_or_b32 exec_lo, exec_lo, s15
.LBB6_3017:                             ;   in Loop: Header=BB6_2910 Depth=3
	s_delay_alu instid0(SALU_CYCLE_1) | instskip(SKIP_2) | instid1(VALU_DEP_1)
	s_or_b32 exec_lo, exec_lo, s14
	v_lshlrev_b32_e32 v8, 10, v24
	s_mov_b32 s39, exec_lo
	v_cmpx_ne_u32_e64 v21, v8
	s_cbranch_execz .LBB6_3024
; %bb.3018:                             ;   in Loop: Header=BB6_2910 Depth=3
	v_ashrrev_i32_e32 v9, 31, v22
	v_lshlrev_b32_e32 v10, 5, v23
	s_delay_alu instid0(VALU_DEP_2) | instskip(NEXT) | instid1(VALU_DEP_1)
	v_lshrrev_b32_e32 v9, 27, v9
	v_add_nc_u32_e32 v9, v22, v9
	s_delay_alu instid0(VALU_DEP_1) | instskip(NEXT) | instid1(VALU_DEP_1)
	v_and_b32_e32 v9, 0xffffffe0, v9
	v_sub_nc_u32_e32 v9, v22, v9
	s_delay_alu instid0(VALU_DEP_1) | instskip(NEXT) | instid1(VALU_DEP_1)
	v_sub_nc_u32_e32 v9, v9, v10
	v_ashrrev_i32_e32 v10, 31, v9
	s_delay_alu instid0(VALU_DEP_1) | instskip(NEXT) | instid1(VALU_DEP_1)
	v_lshrrev_b32_e32 v10, 27, v10
	v_add_nc_u32_e32 v10, v9, v10
	s_delay_alu instid0(VALU_DEP_1) | instskip(SKIP_1) | instid1(VALU_DEP_2)
	v_and_b32_e32 v11, 0x7fffffe0, v10
	v_lshlrev_b32_e32 v10, 1, v10
	v_sub_nc_u32_e32 v9, v9, v11
	s_delay_alu instid0(VALU_DEP_2) | instskip(NEXT) | instid1(VALU_DEP_2)
	v_and_b32_e32 v10, 0xffffffc0, v10
	v_lshlrev_b32_e32 v9, 1, v9
	s_delay_alu instid0(VALU_DEP_1) | instskip(NEXT) | instid1(VALU_DEP_1)
	v_add3_u32 v8, v10, v9, v8
	v_sub_nc_u32_e32 v10, v21, v8
	s_delay_alu instid0(VALU_DEP_1)
	v_cmp_lt_i32_e32 vcc_lo, 1, v10
	s_and_b32 exec_lo, exec_lo, vcc_lo
	s_cbranch_execz .LBB6_3024
; %bb.3019:                             ;   in Loop: Header=BB6_2910 Depth=3
	s_cbranch_execnz .LBB6_3943
; %bb.3020:                             ;   in Loop: Header=BB6_2910 Depth=3
	ds_load_b64 v[18:19], v0
	ds_load_b128 v[21:24], v0
	v_add_nc_u32_e32 v25, v8, v15
	s_mov_b32 s40, 0
	s_delay_alu instid0(VALU_DEP_1) | instskip(SKIP_2) | instid1(VALU_DEP_2)
	v_ashrrev_i32_e32 v26, 31, v25
	s_waitcnt lgkmcnt(1)
	v_add_co_u32 v8, vcc_lo, v18, v25
	v_add_co_ci_u32_e32 v9, vcc_lo, v19, v26, vcc_lo
	s_waitcnt lgkmcnt(0)
	v_add_co_u32 v11, vcc_lo, v21, v25
	v_add_co_ci_u32_e32 v15, vcc_lo, v22, v26, vcc_lo
	v_add_co_u32 v18, vcc_lo, v23, v25
	v_add_co_ci_u32_e32 v19, vcc_lo, v24, v26, vcc_lo
	s_set_inst_prefetch_distance 0x1
.LBB6_3021:                             ;   Parent Loop BB6_51 Depth=1
                                        ;     Parent Loop BB6_2908 Depth=2
                                        ;       Parent Loop BB6_2910 Depth=3
                                        ; =>      This Loop Header: Depth=4
                                        ;           Child Loop BB6_3022 Depth 5
	flat_load_u16 v21, v[8:9] slc dlc
	s_mov_b64 s[14:15], 0
	s_mov_b32 s13, -1
.LBB6_3022:                             ;   Parent Loop BB6_51 Depth=1
                                        ;     Parent Loop BB6_2908 Depth=2
                                        ;       Parent Loop BB6_2910 Depth=3
                                        ;         Parent Loop BB6_3021 Depth=4
                                        ; =>        This Inner Loop Header: Depth=5
	s_cmp_eq_u32 s14, 0
	v_cndmask_b32_e64 v24, 0, 1, s13
	s_cselect_b32 vcc_lo, -1, 0
	s_cmp_eq_u32 s14, 1
	s_cselect_b32 s13, -1, 0
	s_delay_alu instid0(SALU_CYCLE_1) | instskip(SKIP_1) | instid1(VALU_DEP_2)
	v_cndmask_b32_e64 v22, v11, v18, s13
	v_cndmask_b32_e64 v23, v15, v19, s13
	v_add_co_u32 v25, s14, v22, 64
	s_delay_alu instid0(VALU_DEP_1) | instskip(SKIP_1) | instid1(VALU_DEP_3)
	v_add_co_ci_u32_e64 v26, s14, 0, v23, s14
	v_cmp_ne_u32_e64 s14, 1, v24
	v_cndmask_b32_e64 v18, v18, v25, s13
	v_cndmask_b32_e32 v11, v11, v25, vcc_lo
	s_delay_alu instid0(VALU_DEP_4)
	v_cndmask_b32_e64 v19, v19, v26, s13
	v_cndmask_b32_e32 v15, v15, v26, vcc_lo
	s_mov_b32 s13, 0
	s_and_b32 vcc_lo, exec_lo, s14
	s_mov_b64 s[14:15], 1
	s_waitcnt vmcnt(0) lgkmcnt(0)
	flat_store_b16 v[22:23], v21 glc slc dlc
	s_cbranch_vccz .LBB6_3022
; %bb.3023:                             ;   in Loop: Header=BB6_3021 Depth=4
	v_add_co_u32 v11, vcc_lo, v11, v164
	v_sub_nc_u32_e32 v10, v10, v161
	v_add_co_ci_u32_e32 v15, vcc_lo, v15, v167, vcc_lo
	v_add_co_u32 v18, vcc_lo, v18, v164
	v_add_co_ci_u32_e32 v19, vcc_lo, v19, v167, vcc_lo
	s_delay_alu instid0(VALU_DEP_4) | instskip(SKIP_1) | instid1(VALU_DEP_1)
	v_cmp_gt_i32_e32 vcc_lo, 2, v10
	v_add_co_u32 v8, s13, v176, v8
	v_add_co_ci_u32_e64 v9, s13, v177, v9, s13
	s_or_b32 s40, vcc_lo, s40
	s_delay_alu instid0(SALU_CYCLE_1)
	s_and_not1_b32 exec_lo, exec_lo, s40
	s_cbranch_execnz .LBB6_3021
.LBB6_3024:                             ;   in Loop: Header=BB6_2910 Depth=3
	s_set_inst_prefetch_distance 0x2
	s_or_b32 exec_lo, exec_lo, s39
.LBB6_3025:                             ;   in Loop: Header=BB6_2910 Depth=3
	s_delay_alu instid0(SALU_CYCLE_1)
	s_or_b32 exec_lo, exec_lo, s38
	s_mov_b32 s13, 0
.LBB6_3026:                             ;   in Loop: Header=BB6_2910 Depth=3
	s_delay_alu instid0(SALU_CYCLE_1)
	s_and_b32 vcc_lo, exec_lo, s13
	s_cbranch_vccz .LBB6_3061
; %bb.3027:                             ;   in Loop: Header=BB6_2910 Depth=3
	s_mov_b32 s13, -1
	s_and_saveexec_b32 s14, s6
	s_cbranch_execz .LBB6_3029
; %bb.3028:                             ;   in Loop: Header=BB6_2910 Depth=3
	ds_load_b32 v8, v0 offset:720
	s_waitcnt lgkmcnt(0)
	v_and_b32_e32 v8, 15, v8
	s_delay_alu instid0(VALU_DEP_1)
	v_cmp_eq_u32_e32 vcc_lo, 0, v8
	s_or_not1_b32 s13, vcc_lo, exec_lo
.LBB6_3029:                             ;   in Loop: Header=BB6_2910 Depth=3
	s_or_b32 exec_lo, exec_lo, s14
	s_and_saveexec_b32 s14, s5
	s_cbranch_execz .LBB6_3031
; %bb.3030:                             ;   in Loop: Header=BB6_2910 Depth=3
	ds_load_b32 v8, v0 offset:784
	s_waitcnt lgkmcnt(0)
	v_and_b32_e32 v8, 15, v8
	s_delay_alu instid0(VALU_DEP_1) | instskip(SKIP_3) | instid1(SALU_CYCLE_1)
	v_cmp_eq_u32_e32 vcc_lo, 0, v8
	s_and_b32 s15, s13, vcc_lo
	s_and_not1_b32 s13, s13, exec_lo
	s_and_b32 s15, s15, exec_lo
	s_or_b32 s13, s13, s15
.LBB6_3031:                             ;   in Loop: Header=BB6_2910 Depth=3
	s_or_b32 exec_lo, exec_lo, s14
	s_xor_b32 s13, s13, -1
	v_mov_b32_e32 v15, 0
	v_cndmask_b32_e64 v8, 0, 1, s13
	;;#ASMSTART
	;;#ASMEND
	s_delay_alu instid0(VALU_DEP_1)
	v_cmp_ne_u32_e32 vcc_lo, 0, v8
	s_mov_b32 s13, -1
	s_cbranch_vccz .LBB6_3033
; %bb.3032:                             ;   in Loop: Header=BB6_2910 Depth=3
	v_mov_b32_e32 v18, v0
	v_mov_b32_e32 v22, v135
	s_branch .LBB6_3048
.LBB6_3033:                             ;   in Loop: Header=BB6_2910 Depth=3
	v_ashrrev_i32_e32 v8, 31, v2
	s_mov_b32 s13, exec_lo
	s_delay_alu instid0(VALU_DEP_1) | instskip(NEXT) | instid1(VALU_DEP_1)
	v_lshrrev_b32_e32 v8, 20, v8
	v_add_nc_u32_e32 v8, v2, v8
	s_delay_alu instid0(VALU_DEP_1) | instskip(NEXT) | instid1(VALU_DEP_1)
	v_ashrrev_i32_e32 v15, 12, v8
	v_sub_nc_u32_e32 v19, v15, v135
	s_delay_alu instid0(VALU_DEP_1)
	v_cmpx_lt_i32_e32 0, v19
	s_cbranch_execz .LBB6_3038
; %bb.3034:                             ;   in Loop: Header=BB6_2910 Depth=3
	s_cbranch_execnz .LBB6_3927
; %bb.3035:                             ;   in Loop: Header=BB6_2910 Depth=3
	ds_load_b64 v[8:9], v0
	s_mov_b32 s14, 0
	s_waitcnt lgkmcnt(0)
	v_dual_mov_b32 v11, v9 :: v_dual_mov_b32 v10, v8
.LBB6_3036:                             ;   Parent Loop BB6_51 Depth=1
                                        ;     Parent Loop BB6_2908 Depth=2
                                        ;       Parent Loop BB6_2910 Depth=3
                                        ; =>      This Inner Loop Header: Depth=4
	s_delay_alu instid0(VALU_DEP_1) | instskip(NEXT) | instid1(VALU_DEP_2)
	v_add_co_u32 v25, vcc_lo, v146, v10
	v_add_co_ci_u32_e32 v26, vcc_lo, v148, v11, vcc_lo
	v_sub_nc_u32_e32 v19, v19, v145
	s_clause 0x7
	global_load_b128 v[21:24], v[25:26], off slc dlc
	global_load_b128 v[32:35], v[25:26], off offset:512 slc dlc
	global_load_b128 v[36:39], v[25:26], off offset:1024 slc dlc
	;; [unrolled: 1-line block ×7, first 2 shown]
	v_add_co_u32 v25, vcc_lo, v146, v8
	v_add_co_ci_u32_e32 v26, vcc_lo, v148, v9, vcc_lo
	v_add_co_u32 v10, vcc_lo, v10, v150
	v_add_co_ci_u32_e32 v11, vcc_lo, v11, v151, vcc_lo
	;; [unrolled: 2-line block ×3, first 2 shown]
	v_cmp_gt_i32_e32 vcc_lo, 1, v19
	s_waitcnt vmcnt(7)
	global_store_b128 v[25:26], v[21:24], off glc slc dlc
	s_waitcnt vmcnt(6)
	global_store_b128 v[25:26], v[32:35], off offset:512 glc slc dlc
	s_waitcnt vmcnt(5)
	global_store_b128 v[25:26], v[36:39], off offset:1024 glc slc dlc
	;; [unrolled: 2-line block ×7, first 2 shown]
	s_or_b32 s14, vcc_lo, s14
	s_delay_alu instid0(SALU_CYCLE_1)
	s_and_not1_b32 exec_lo, exec_lo, s14
	s_cbranch_execnz .LBB6_3036
; %bb.3037:                             ;   in Loop: Header=BB6_2910 Depth=3
	s_or_b32 exec_lo, exec_lo, s14
.LBB6_3038:                             ;   in Loop: Header=BB6_2910 Depth=3
	s_delay_alu instid0(SALU_CYCLE_1) | instskip(SKIP_3) | instid1(VALU_DEP_1)
	s_or_b32 exec_lo, exec_lo, s13
	v_dual_mov_b32 v15, 0 :: v_dual_lshlrev_b32 v10, 12, v15
	s_mov_b32 s13, 0
	s_mov_b32 s15, exec_lo
                                        ; implicit-def: $vgpr18
                                        ; implicit-def: $vgpr22
	v_cmpx_ne_u32_e64 v2, v10
	s_cbranch_execz .LBB6_3047
; %bb.3039:                             ;   in Loop: Header=BB6_2910 Depth=3
	v_lshlrev_b32_e32 v8, 5, v19
	v_sub_nc_u32_e32 v15, v2, v10
	s_mov_b32 s38, exec_lo
	s_delay_alu instid0(VALU_DEP_2) | instskip(NEXT) | instid1(VALU_DEP_2)
	v_sub_nc_u32_e32 v8, v144, v8
	v_ashrrev_i32_e32 v11, 31, v15
	s_delay_alu instid0(VALU_DEP_2) | instskip(NEXT) | instid1(VALU_DEP_2)
	v_ashrrev_i32_e32 v9, 31, v8
	v_lshrrev_b32_e32 v11, 23, v11
	s_delay_alu instid0(VALU_DEP_2) | instskip(NEXT) | instid1(VALU_DEP_2)
	v_lshrrev_b32_e32 v9, 27, v9
	v_add_nc_u32_e32 v22, v15, v11
	s_delay_alu instid0(VALU_DEP_2) | instskip(NEXT) | instid1(VALU_DEP_2)
	v_add_nc_u32_e32 v9, v8, v9
	v_and_b32_e32 v11, 0xfffffe00, v22
	v_ashrrev_i32_e32 v22, 9, v22
	s_delay_alu instid0(VALU_DEP_3) | instskip(NEXT) | instid1(VALU_DEP_3)
	v_and_b32_e32 v18, 0xffffffe0, v9
	v_sub_nc_u32_e32 v21, v15, v11
	s_delay_alu instid0(VALU_DEP_2) | instskip(SKIP_1) | instid1(VALU_DEP_3)
	v_sub_nc_u32_e32 v19, v8, v18
	v_ashrrev_i32_e32 v8, 5, v9
	v_cmp_lt_i32_e32 vcc_lo, 15, v21
	s_delay_alu instid0(VALU_DEP_3) | instskip(NEXT) | instid1(VALU_DEP_1)
	v_lshlrev_b32_e32 v9, 4, v19
	v_lshl_add_u32 v18, v8, 9, v9
	v_add_co_ci_u32_e64 v9, s13, 0, v22, vcc_lo
	s_delay_alu instid0(VALU_DEP_2) | instskip(NEXT) | instid1(VALU_DEP_2)
	v_sub_nc_u32_e32 v15, v15, v18
	v_sub_nc_u32_e32 v23, v9, v8
	s_delay_alu instid0(VALU_DEP_2)
	v_cmpx_lt_i32_e32 15, v15
	s_cbranch_execz .LBB6_3044
; %bb.3040:                             ;   in Loop: Header=BB6_2910 Depth=3
	s_cbranch_execnz .LBB6_3957
; %bb.3041:                             ;   in Loop: Header=BB6_2910 Depth=3
	ds_load_b64 v[8:9], v0
	v_add_nc_u32_e32 v18, v18, v10
	s_mov_b32 s39, 0
	s_delay_alu instid0(VALU_DEP_1)
	v_ashrrev_i32_e32 v22, 31, v18
.LBB6_3042:                             ;   Parent Loop BB6_51 Depth=1
                                        ;     Parent Loop BB6_2908 Depth=2
                                        ;       Parent Loop BB6_2910 Depth=3
                                        ; =>      This Inner Loop Header: Depth=4
	s_waitcnt lgkmcnt(0)
	v_add_co_u32 v32, s13, v8, v18
	s_delay_alu instid0(VALU_DEP_1)
	v_add_co_ci_u32_e64 v33, s13, v9, v22, s13
	v_sub_nc_u32_e32 v15, v15, v147
	v_add_co_u32 v18, s14, v18, v162
	global_load_b128 v[24:27], v[32:33], off slc dlc
	v_sub_nc_u32_e32 v23, v23, v145
	v_cmp_gt_i32_e64 s13, 16, v15
	v_add_co_ci_u32_e64 v22, s14, v22, v163, s14
	s_delay_alu instid0(VALU_DEP_2)
	s_or_b32 s39, s13, s39
	s_waitcnt vmcnt(0)
	global_store_b128 v[32:33], v[24:27], off glc slc dlc
	s_and_not1_b32 exec_lo, exec_lo, s39
	s_cbranch_execnz .LBB6_3042
; %bb.3043:                             ;   in Loop: Header=BB6_2910 Depth=3
	s_or_b32 exec_lo, exec_lo, s39
.LBB6_3044:                             ;   in Loop: Header=BB6_2910 Depth=3
	s_delay_alu instid0(SALU_CYCLE_1) | instskip(SKIP_3) | instid1(VALU_DEP_1)
	s_or_b32 exec_lo, exec_lo, s38
	v_dual_mov_b32 v15, 0 :: v_dual_and_b32 v8, 14, v2
	s_mov_b32 s14, 0
	s_mov_b32 s38, exec_lo
                                        ; implicit-def: $vgpr18
                                        ; implicit-def: $vgpr22
	v_cndmask_b32_e32 v2, v21, v8, vcc_lo
	s_delay_alu instid0(VALU_DEP_1)
	v_cmpx_ne_u32_e32 0, v2
; %bb.3045:                             ;   in Loop: Header=BB6_2910 Depth=3
	v_cmp_lt_i32_e64 s13, 0, v23
	v_sub_nc_u32_e32 v8, v21, v8
	s_mov_b32 s14, exec_lo
	s_delay_alu instid0(VALU_DEP_2) | instskip(NEXT) | instid1(VALU_DEP_1)
	v_cndmask_b32_e64 v9, 0, v145, s13
	v_sub_nc_u32_e32 v9, v9, v23
	s_delay_alu instid0(VALU_DEP_1) | instskip(NEXT) | instid1(VALU_DEP_1)
	v_lshl_add_u32 v18, v9, 5, v19
	v_ashrrev_i32_e32 v9, 31, v18
	s_delay_alu instid0(VALU_DEP_1) | instskip(NEXT) | instid1(VALU_DEP_1)
	v_lshrrev_b32_e32 v9, 27, v9
	v_dual_cndmask_b32 v8, 0, v8 :: v_dual_add_nc_u32 v9, v18, v9
	s_delay_alu instid0(VALU_DEP_1) | instskip(NEXT) | instid1(VALU_DEP_2)
	v_add3_u32 v15, v11, v10, v8
	v_ashrrev_i32_e32 v22, 5, v9
; %bb.3046:                             ;   in Loop: Header=BB6_2910 Depth=3
	s_or_b32 exec_lo, exec_lo, s38
	s_delay_alu instid0(SALU_CYCLE_1)
	s_and_b32 s13, s14, exec_lo
.LBB6_3047:                             ;   in Loop: Header=BB6_2910 Depth=3
	s_or_b32 exec_lo, exec_lo, s15
.LBB6_3048:                             ;   in Loop: Header=BB6_2910 Depth=3
	s_and_saveexec_b32 s14, s13
	s_cbranch_execz .LBB6_3060
; %bb.3049:                             ;   in Loop: Header=BB6_2910 Depth=3
	v_ashrrev_i32_e32 v8, 31, v2
	s_mov_b32 s13, exec_lo
	s_delay_alu instid0(VALU_DEP_1) | instskip(NEXT) | instid1(VALU_DEP_1)
	v_lshrrev_b32_e32 v8, 22, v8
	v_add_nc_u32_e32 v8, v2, v8
	s_delay_alu instid0(VALU_DEP_1) | instskip(NEXT) | instid1(VALU_DEP_1)
	v_ashrrev_i32_e32 v21, 10, v8
	v_sub_nc_u32_e32 v19, v21, v22
	s_delay_alu instid0(VALU_DEP_1)
	v_cmpx_lt_i32_e32 0, v19
	s_cbranch_execz .LBB6_3054
; %bb.3050:                             ;   in Loop: Header=BB6_2910 Depth=3
	s_cbranch_execnz .LBB6_3915
; %bb.3051:                             ;   in Loop: Header=BB6_2910 Depth=3
	v_ashrrev_i32_e32 v8, 31, v18
	s_mov_b32 s15, 0
	s_delay_alu instid0(VALU_DEP_1) | instskip(NEXT) | instid1(VALU_DEP_1)
	v_lshrrev_b32_e32 v8, 27, v8
	v_add_nc_u32_e32 v8, v18, v8
	s_delay_alu instid0(VALU_DEP_1) | instskip(SKIP_3) | instid1(VALU_DEP_1)
	v_and_b32_e32 v10, 0x7fffffe0, v8
	ds_load_b64 v[8:9], v0
	v_lshlrev_b32_e32 v11, 10, v22
	v_sub_nc_u32_e32 v10, v18, v10
	v_lshlrev_b32_e32 v10, 1, v10
	s_delay_alu instid0(VALU_DEP_1) | instskip(NEXT) | instid1(VALU_DEP_1)
	v_add3_u32 v22, v10, v15, v11
	v_ashrrev_i32_e32 v23, 31, v22
	s_waitcnt lgkmcnt(0)
	v_dual_mov_b32 v11, v9 :: v_dual_mov_b32 v10, v8
.LBB6_3052:                             ;   Parent Loop BB6_51 Depth=1
                                        ;     Parent Loop BB6_2908 Depth=2
                                        ;       Parent Loop BB6_2910 Depth=3
                                        ; =>      This Inner Loop Header: Depth=4
	s_delay_alu instid0(VALU_DEP_1) | instskip(NEXT) | instid1(VALU_DEP_2)
	v_add_co_u32 v24, vcc_lo, v22, v10
	v_add_co_ci_u32_e32 v25, vcc_lo, v23, v11, vcc_lo
	v_sub_nc_u32_e32 v19, v19, v145
	s_clause 0xf
	flat_load_u16 v26, v[24:25] slc dlc
	flat_load_u16 v27, v[24:25] offset:64 slc dlc
	flat_load_u16 v32, v[24:25] offset:128 slc dlc
	;; [unrolled: 1-line block ×15, first 2 shown]
	v_add_co_u32 v24, vcc_lo, v22, v8
	v_add_co_ci_u32_e32 v25, vcc_lo, v23, v9, vcc_lo
	v_add_co_u32 v10, vcc_lo, v10, v165
	v_add_co_ci_u32_e32 v11, vcc_lo, v11, v166, vcc_lo
	;; [unrolled: 2-line block ×3, first 2 shown]
	v_cmp_gt_i32_e32 vcc_lo, 1, v19
	s_waitcnt vmcnt(15) lgkmcnt(15)
	flat_store_b16 v[24:25], v26 glc slc dlc
	s_waitcnt vmcnt(14) lgkmcnt(15)
	flat_store_b16 v[24:25], v27 offset:64 glc slc dlc
	s_waitcnt vmcnt(13) lgkmcnt(15)
	flat_store_b16 v[24:25], v32 offset:128 glc slc dlc
	;; [unrolled: 2-line block ×15, first 2 shown]
	s_or_b32 s15, vcc_lo, s15
	s_delay_alu instid0(SALU_CYCLE_1)
	s_and_not1_b32 exec_lo, exec_lo, s15
	s_cbranch_execnz .LBB6_3052
; %bb.3053:                             ;   in Loop: Header=BB6_2910 Depth=3
	s_or_b32 exec_lo, exec_lo, s15
.LBB6_3054:                             ;   in Loop: Header=BB6_2910 Depth=3
	s_delay_alu instid0(SALU_CYCLE_1) | instskip(SKIP_2) | instid1(VALU_DEP_1)
	s_or_b32 exec_lo, exec_lo, s13
	v_lshlrev_b32_e32 v8, 10, v21
	s_mov_b32 s15, exec_lo
	v_cmpx_ne_u32_e64 v2, v8
	s_cbranch_execz .LBB6_3059
; %bb.3055:                             ;   in Loop: Header=BB6_2910 Depth=3
	v_ashrrev_i32_e32 v9, 31, v18
	v_lshlrev_b32_e32 v10, 5, v19
	s_delay_alu instid0(VALU_DEP_2) | instskip(NEXT) | instid1(VALU_DEP_1)
	v_lshrrev_b32_e32 v9, 27, v9
	v_add_nc_u32_e32 v9, v18, v9
	s_delay_alu instid0(VALU_DEP_1) | instskip(NEXT) | instid1(VALU_DEP_1)
	v_and_b32_e32 v9, 0xffffffe0, v9
	v_sub_nc_u32_e32 v9, v18, v9
	s_delay_alu instid0(VALU_DEP_1) | instskip(NEXT) | instid1(VALU_DEP_1)
	v_sub_nc_u32_e32 v9, v9, v10
	v_ashrrev_i32_e32 v10, 31, v9
	s_delay_alu instid0(VALU_DEP_1) | instskip(NEXT) | instid1(VALU_DEP_1)
	v_lshrrev_b32_e32 v10, 27, v10
	v_add_nc_u32_e32 v10, v9, v10
	s_delay_alu instid0(VALU_DEP_1) | instskip(SKIP_1) | instid1(VALU_DEP_2)
	v_and_b32_e32 v11, 0x7fffffe0, v10
	v_lshlrev_b32_e32 v10, 1, v10
	v_sub_nc_u32_e32 v9, v9, v11
	s_delay_alu instid0(VALU_DEP_2) | instskip(NEXT) | instid1(VALU_DEP_2)
	v_and_b32_e32 v10, 0xffffffc0, v10
	v_lshlrev_b32_e32 v9, 1, v9
	s_delay_alu instid0(VALU_DEP_1) | instskip(NEXT) | instid1(VALU_DEP_1)
	v_add3_u32 v10, v10, v9, v8
	v_sub_nc_u32_e32 v2, v2, v10
	s_delay_alu instid0(VALU_DEP_1)
	v_cmp_lt_i32_e32 vcc_lo, 1, v2
	s_and_b32 exec_lo, exec_lo, vcc_lo
	s_cbranch_execz .LBB6_3059
; %bb.3056:                             ;   in Loop: Header=BB6_2910 Depth=3
	s_cbranch_execnz .LBB6_3953
; %bb.3057:                             ;   in Loop: Header=BB6_2910 Depth=3
	ds_load_b64 v[8:9], v0
	v_add_nc_u32_e32 v10, v10, v15
	s_mov_b32 s38, 0
	s_delay_alu instid0(VALU_DEP_1)
	v_ashrrev_i32_e32 v11, 31, v10
.LBB6_3058:                             ;   Parent Loop BB6_51 Depth=1
                                        ;     Parent Loop BB6_2908 Depth=2
                                        ;       Parent Loop BB6_2910 Depth=3
                                        ; =>      This Inner Loop Header: Depth=4
	s_waitcnt lgkmcnt(0)
	v_add_co_u32 v18, vcc_lo, v8, v10
	s_delay_alu instid0(VALU_DEP_2)
	v_add_co_ci_u32_e32 v19, vcc_lo, v9, v11, vcc_lo
	v_sub_nc_u32_e32 v2, v2, v161
	v_add_co_u32 v10, s13, v10, v176
	flat_load_u16 v15, v[18:19] slc dlc
	v_add_co_ci_u32_e64 v11, s13, v11, v177, s13
	v_cmp_gt_i32_e32 vcc_lo, 2, v2
	s_or_b32 s38, vcc_lo, s38
	s_waitcnt vmcnt(0) lgkmcnt(0)
	flat_store_b16 v[18:19], v15 glc slc dlc
	s_and_not1_b32 exec_lo, exec_lo, s38
	s_cbranch_execnz .LBB6_3058
.LBB6_3059:                             ;   in Loop: Header=BB6_2910 Depth=3
	s_or_b32 exec_lo, exec_lo, s15
.LBB6_3060:                             ;   in Loop: Header=BB6_2910 Depth=3
	s_delay_alu instid0(SALU_CYCLE_1)
	s_or_b32 exec_lo, exec_lo, s14
.LBB6_3061:                             ;   in Loop: Header=BB6_2910 Depth=3
	s_and_saveexec_b32 s13, s3
	s_cbranch_execz .LBB6_3083
; %bb.3062:                             ;   in Loop: Header=BB6_2910 Depth=3
	s_and_saveexec_b32 s14, s4
	s_delay_alu instid0(SALU_CYCLE_1)
	s_xor_b32 s14, exec_lo, s14
	s_cbranch_execz .LBB6_3080
; %bb.3063:                             ;   in Loop: Header=BB6_2910 Depth=3
	s_and_saveexec_b32 s15, s1
	s_cbranch_execz .LBB6_3079
; %bb.3064:                             ;   in Loop: Header=BB6_2910 Depth=3
	s_mov_b32 s39, exec_lo
	s_mov_b32 s38, exec_lo
	v_mbcnt_lo_u32_b32 v2, s39, 0
	s_waitcnt lgkmcnt(0)
	s_waitcnt_vscnt null, 0x0
	buffer_gl1_inv
	buffer_gl0_inv
	v_cmpx_eq_u32_e32 0, v2
	s_cbranch_execz .LBB6_3066
; %bb.3065:                             ;   in Loop: Header=BB6_2910 Depth=3
	s_bcnt1_i32_b32 vcc_lo, s39
	s_delay_alu instid0(SALU_CYCLE_1)
	v_mov_b32_e32 v2, vcc_lo
	ds_add_u64 v0, v[2:3]
	s_cbranch_execnz .LBB6_3901
.LBB6_3066:                             ;   in Loop: Header=BB6_2910 Depth=3
	s_or_b32 exec_lo, exec_lo, s38
	s_cbranch_execnz .LBB6_3879
; %bb.3067:                             ;   in Loop: Header=BB6_2910 Depth=3
	ds_load_b64 v[8:9], v0
	v_add_co_u32 v80, vcc_lo, v80, v145
	v_add_co_ci_u32_e32 v81, vcc_lo, 0, v81, vcc_lo
	s_mov_b32 s38, exec_lo
	s_waitcnt lgkmcnt(0)
	s_delay_alu instid0(VALU_DEP_1)
	v_cmpx_lt_u64_e64 v[8:9], v[80:81]
	s_cbranch_execz .LBB6_3078
; %bb.3068:                             ;   in Loop: Header=BB6_2910 Depth=3
	s_mov_b32 s39, 0
	s_mov_b32 s42, 0
                                        ; implicit-def: $sgpr40
                                        ; implicit-def: $sgpr41
	s_branch .LBB6_3070
.LBB6_3069:                             ;   in Loop: Header=BB6_3070 Depth=4
	s_or_b32 exec_lo, exec_lo, s44
	s_delay_alu instid0(SALU_CYCLE_1) | instskip(NEXT) | instid1(SALU_CYCLE_1)
	s_and_b32 vcc_lo, exec_lo, vcc_lo
	s_or_b32 s39, vcc_lo, s39
	s_and_not1_b32 vcc_lo, s40, exec_lo
	s_and_b32 s40, s41, exec_lo
	s_delay_alu instid0(SALU_CYCLE_1)
	s_or_b32 s40, vcc_lo, s40
	s_and_not1_b32 exec_lo, exec_lo, s39
	s_cbranch_execz .LBB6_3076
.LBB6_3070:                             ;   Parent Loop BB6_51 Depth=1
                                        ;     Parent Loop BB6_2908 Depth=2
                                        ;       Parent Loop BB6_2910 Depth=3
                                        ; =>      This Inner Loop Header: Depth=4
	s_add_i32 s42, s42, 1
                                        ; implicit-def: $sgpr44
	s_delay_alu instid0(SALU_CYCLE_1) | instskip(SKIP_1) | instid1(SALU_CYCLE_1)
	s_cmpk_lg_i32 s42, 0x2710
	s_cselect_b32 s43, -1, 0
	s_and_b32 vcc_lo, exec_lo, s43
	s_cbranch_vccnz .LBB6_3073
; %bb.3071:                             ;   in Loop: Header=BB6_3070 Depth=4
	s_cbranch_execnz .LBB6_3941
; %bb.3072:                             ;   in Loop: Header=BB6_3070 Depth=4
	ds_load_b64 v[8:9], v0
	s_and_not1_b32 s43, s43, exec_lo
	s_mov_b32 s42, 0
	s_mov_b32 s44, -1
	s_waitcnt lgkmcnt(0)
	flat_load_b32 v2, v[8:9] glc
	s_waitcnt vmcnt(0) lgkmcnt(0)
	buffer_gl1_inv
	buffer_gl0_inv
	v_cmp_eq_u32_e32 vcc_lo, 0, v2
	s_and_b32 vcc_lo, vcc_lo, exec_lo
	s_delay_alu instid0(SALU_CYCLE_1)
	s_or_b32 s43, s43, vcc_lo
.LBB6_3073:                             ;   in Loop: Header=BB6_3070 Depth=4
	s_and_not1_b32 s41, s41, exec_lo
	s_and_b32 s44, s44, exec_lo
	s_mov_b32 vcc_lo, -1
	s_or_b32 s41, s41, s44
	s_and_saveexec_b32 s44, s43
	s_cbranch_execz .LBB6_3069
; %bb.3074:                             ;   in Loop: Header=BB6_3070 Depth=4
	s_sleep 1
	s_cbranch_execnz .LBB6_3933
; %bb.3075:                             ;   in Loop: Header=BB6_3070 Depth=4
	ds_load_b64 v[8:9], v0
	s_and_not1_b32 s41, s41, exec_lo
	s_waitcnt lgkmcnt(0)
	v_cmp_ge_u64_e32 vcc_lo, v[8:9], v[80:81]
	s_or_not1_b32 vcc_lo, vcc_lo, exec_lo
	s_branch .LBB6_3069
.LBB6_3076:                             ;   in Loop: Header=BB6_2910 Depth=3
	s_or_b32 exec_lo, exec_lo, s39
	s_and_saveexec_b32 vcc_lo, s40
	s_delay_alu instid0(SALU_CYCLE_1)
	s_xor_b32 vcc_lo, exec_lo, vcc_lo
	s_cbranch_execz .LBB6_3078
; %bb.3077:                             ;   in Loop: Header=BB6_2910 Depth=3
	ds_store_b32 v0, v182
	s_cbranch_execnz .LBB6_3987
.LBB6_3078:                             ;   in Loop: Header=BB6_2910 Depth=3
	s_or_b32 exec_lo, exec_lo, s38
	;;#ASMSTART
	s_wakeup
	;;#ASMEND
.LBB6_3079:                             ;   in Loop: Header=BB6_2910 Depth=3
	s_or_b32 exec_lo, exec_lo, s15
.LBB6_3080:                             ;   in Loop: Header=BB6_2910 Depth=3
	s_and_not1_saveexec_b32 s14, s14
	s_cbranch_execz .LBB6_3082
; %bb.3081:                             ;   in Loop: Header=BB6_2910 Depth=3
	s_waitcnt lgkmcnt(0)
	s_waitcnt_vscnt null, 0x0
	buffer_gl1_inv
	buffer_gl0_inv
	s_barrier
.LBB6_3082:                             ;   in Loop: Header=BB6_2910 Depth=3
	s_or_b32 exec_lo, exec_lo, s14
.LBB6_3083:                             ;   in Loop: Header=BB6_2910 Depth=3
	s_delay_alu instid0(SALU_CYCLE_1) | instskip(SKIP_1) | instid1(SALU_CYCLE_1)
	s_or_b32 exec_lo, exec_lo, s13
                                        ; implicit-def: $vgpr2
	s_and_saveexec_b32 s13, s7
	s_xor_b32 s14, exec_lo, s13
	s_cbranch_execz .LBB6_3087
; %bb.3084:                             ;   in Loop: Header=BB6_2910 Depth=3
	v_and_b32_e32 v2, 16, v30
	v_cmp_lt_i32_e32 vcc_lo, 0, v13
	s_delay_alu instid0(VALU_DEP_2) | instskip(SKIP_1) | instid1(VALU_DEP_2)
	v_cmp_ne_u32_e64 s13, 0, v2
	v_and_b32_e32 v2, 16, v30
	s_and_b32 s15, s13, vcc_lo
	s_delay_alu instid0(SALU_CYCLE_1)
	s_and_saveexec_b32 s13, s15
	s_cbranch_execz .LBB6_3086
; %bb.3085:                             ;   in Loop: Header=BB6_2910 Depth=3
	v_mov_b32_e32 v2, 1
	s_waitcnt lgkmcnt(0)
	s_waitcnt_vscnt null, 0x0
	buffer_gl1_inv
	buffer_gl0_inv
.LBB6_3086:                             ;   in Loop: Header=BB6_2910 Depth=3
	s_or_b32 exec_lo, exec_lo, s13
.LBB6_3087:                             ;   in Loop: Header=BB6_2910 Depth=3
	s_and_not1_saveexec_b32 s13, s14
	s_cbranch_execz .LBB6_3109
; %bb.3088:                             ;   in Loop: Header=BB6_2910 Depth=3
	s_and_saveexec_b32 s14, s4
	s_delay_alu instid0(SALU_CYCLE_1)
	s_xor_b32 s14, exec_lo, s14
	s_cbranch_execz .LBB6_3106
; %bb.3089:                             ;   in Loop: Header=BB6_2910 Depth=3
	s_and_saveexec_b32 s15, s1
	s_cbranch_execz .LBB6_3105
; %bb.3090:                             ;   in Loop: Header=BB6_2910 Depth=3
	s_mov_b32 s39, exec_lo
	s_mov_b32 s38, exec_lo
	v_mbcnt_lo_u32_b32 v2, s39, 0
	;;#ASMSTART
	s_waitcnt lgkmcnt(0) vmcnt(0)
	;;#ASMEND
	s_delay_alu instid0(VALU_DEP_1)
	v_cmpx_eq_u32_e32 0, v2
	s_cbranch_execz .LBB6_3092
; %bb.3091:                             ;   in Loop: Header=BB6_2910 Depth=3
	s_bcnt1_i32_b32 vcc_lo, s39
	s_delay_alu instid0(SALU_CYCLE_1)
	v_mov_b32_e32 v2, vcc_lo
	ds_add_u64 v0, v[2:3]
	s_cbranch_execnz .LBB6_3903
.LBB6_3092:                             ;   in Loop: Header=BB6_2910 Depth=3
	s_or_b32 exec_lo, exec_lo, s38
	s_cbranch_execnz .LBB6_3883
; %bb.3093:                             ;   in Loop: Header=BB6_2910 Depth=3
	ds_load_b64 v[8:9], v0
	v_add_co_u32 v80, vcc_lo, v80, v145
	v_add_co_ci_u32_e32 v81, vcc_lo, 0, v81, vcc_lo
	s_mov_b32 s38, exec_lo
	s_waitcnt lgkmcnt(0)
	s_delay_alu instid0(VALU_DEP_1)
	v_cmpx_lt_u64_e64 v[8:9], v[80:81]
	s_cbranch_execz .LBB6_3104
; %bb.3094:                             ;   in Loop: Header=BB6_2910 Depth=3
	s_mov_b32 s39, 0
	s_mov_b32 s42, 0
                                        ; implicit-def: $sgpr40
                                        ; implicit-def: $sgpr41
	s_branch .LBB6_3096
.LBB6_3095:                             ;   in Loop: Header=BB6_3096 Depth=4
	s_or_b32 exec_lo, exec_lo, s44
	s_delay_alu instid0(SALU_CYCLE_1) | instskip(NEXT) | instid1(SALU_CYCLE_1)
	s_and_b32 vcc_lo, exec_lo, vcc_lo
	s_or_b32 s39, vcc_lo, s39
	s_and_not1_b32 vcc_lo, s40, exec_lo
	s_and_b32 s40, s41, exec_lo
	s_delay_alu instid0(SALU_CYCLE_1)
	s_or_b32 s40, vcc_lo, s40
	s_and_not1_b32 exec_lo, exec_lo, s39
	s_cbranch_execz .LBB6_3102
.LBB6_3096:                             ;   Parent Loop BB6_51 Depth=1
                                        ;     Parent Loop BB6_2908 Depth=2
                                        ;       Parent Loop BB6_2910 Depth=3
                                        ; =>      This Inner Loop Header: Depth=4
	s_add_i32 s42, s42, 1
                                        ; implicit-def: $sgpr44
	s_delay_alu instid0(SALU_CYCLE_1) | instskip(SKIP_1) | instid1(SALU_CYCLE_1)
	s_cmpk_lg_i32 s42, 0x2710
	s_cselect_b32 s43, -1, 0
	s_and_b32 vcc_lo, exec_lo, s43
	s_cbranch_vccz .LBB6_3100
.LBB6_3097:                             ;   in Loop: Header=BB6_3096 Depth=4
	s_and_not1_b32 s41, s41, exec_lo
	s_and_b32 s44, s44, exec_lo
	s_mov_b32 vcc_lo, -1
	s_or_b32 s41, s41, s44
	s_and_saveexec_b32 s44, s43
	s_cbranch_execz .LBB6_3095
; %bb.3098:                             ;   in Loop: Header=BB6_3096 Depth=4
	s_sleep 1
	s_cbranch_execnz .LBB6_3939
; %bb.3099:                             ;   in Loop: Header=BB6_3096 Depth=4
	ds_load_b64 v[8:9], v0
	s_and_not1_b32 s41, s41, exec_lo
	s_waitcnt lgkmcnt(0)
	v_cmp_ge_u64_e32 vcc_lo, v[8:9], v[80:81]
	s_or_not1_b32 vcc_lo, vcc_lo, exec_lo
	s_branch .LBB6_3095
.LBB6_3100:                             ;   in Loop: Header=BB6_3096 Depth=4
	s_cbranch_execnz .LBB6_3945
; %bb.3101:                             ;   in Loop: Header=BB6_3096 Depth=4
	ds_load_b64 v[8:9], v0
	s_and_not1_b32 s43, s43, exec_lo
	s_mov_b32 s42, 0
	s_mov_b32 s44, -1
	s_waitcnt lgkmcnt(0)
	s_waitcnt_vscnt null, 0x0
	flat_load_b32 v2, v[8:9] glc
	s_waitcnt vmcnt(0) lgkmcnt(0)
	buffer_gl1_inv
	buffer_gl0_inv
	v_cmp_eq_u32_e32 vcc_lo, 0, v2
	s_and_b32 vcc_lo, vcc_lo, exec_lo
	s_delay_alu instid0(SALU_CYCLE_1)
	s_or_b32 s43, s43, vcc_lo
	s_branch .LBB6_3097
.LBB6_3102:                             ;   in Loop: Header=BB6_2910 Depth=3
	s_or_b32 exec_lo, exec_lo, s39
	s_and_saveexec_b32 vcc_lo, s40
	s_delay_alu instid0(SALU_CYCLE_1)
	s_xor_b32 vcc_lo, exec_lo, vcc_lo
	s_cbranch_execz .LBB6_3104
; %bb.3103:                             ;   in Loop: Header=BB6_2910 Depth=3
	ds_store_b32 v0, v182
	s_cbranch_execnz .LBB6_3989
.LBB6_3104:                             ;   in Loop: Header=BB6_2910 Depth=3
	s_or_b32 exec_lo, exec_lo, s38
	;;#ASMSTART
	s_wakeup
	;;#ASMEND
.LBB6_3105:                             ;   in Loop: Header=BB6_2910 Depth=3
	s_or_b32 exec_lo, exec_lo, s15
.LBB6_3106:                             ;   in Loop: Header=BB6_2910 Depth=3
	s_and_not1_saveexec_b32 s14, s14
	s_cbranch_execz .LBB6_3108
; %bb.3107:                             ;   in Loop: Header=BB6_2910 Depth=3
	;;#ASMSTART
	s_waitcnt lgkmcnt(0) vmcnt(0)
	;;#ASMEND
	s_waitcnt lgkmcnt(0)
	s_waitcnt_vscnt null, 0x0
	s_barrier
.LBB6_3108:                             ;   in Loop: Header=BB6_2910 Depth=3
	s_or_b32 exec_lo, exec_lo, s14
	v_and_b32_e32 v2, 16, v30
.LBB6_3109:                             ;   in Loop: Header=BB6_2910 Depth=3
	s_or_b32 exec_lo, exec_lo, s13
	s_delay_alu instid0(VALU_DEP_1) | instskip(SKIP_1) | instid1(SALU_CYCLE_1)
	v_cmp_ne_u32_e32 vcc_lo, 0, v2
	s_xor_b32 s13, s10, -1
	s_and_b32 s14, vcc_lo, s13
	s_delay_alu instid0(SALU_CYCLE_1)
	s_and_saveexec_b32 s13, s14
	s_cbranch_execz .LBB6_3111
; %bb.3110:                             ;   in Loop: Header=BB6_2910 Depth=3
	s_waitcnt lgkmcnt(0)
	s_waitcnt_vscnt null, 0x0
	flat_store_b32 v[70:71], v182
.LBB6_3111:                             ;   in Loop: Header=BB6_2910 Depth=3
	s_or_b32 exec_lo, exec_lo, s13
	v_and_b32_e32 v2, 48, v30
	s_mov_b32 s13, exec_lo
	s_delay_alu instid0(VALU_DEP_1)
	v_cmpx_ne_u32_e32 0, v2
	s_cbranch_execz .LBB6_3113
; %bb.3112:                             ;   in Loop: Header=BB6_2910 Depth=3
	v_add_co_u32 v66, vcc_lo, v66, 2
	v_add_co_ci_u32_e32 v67, vcc_lo, 0, v67, vcc_lo
	s_waitcnt lgkmcnt(0)
	s_waitcnt_vscnt null, 0x0
	flat_store_b64 v[64:65], v[66:67]
.LBB6_3113:                             ;   in Loop: Header=BB6_2910 Depth=3
	s_or_b32 exec_lo, exec_lo, s13
	v_add_nc_u32_e32 v14, v12, v14
	s_xor_b32 s13, s36, -1
	v_mov_b32_e32 v2, s37
	s_mov_b32 s36, 0
	s_mov_b32 s37, 2
	v_cmp_ge_i32_e32 vcc_lo, v14, v20
	s_or_b32 s13, s13, vcc_lo
	s_delay_alu instid0(SALU_CYCLE_1) | instskip(NEXT) | instid1(SALU_CYCLE_1)
	s_and_b32 s13, exec_lo, s13
	s_or_b32 s35, s13, s35
	s_delay_alu instid0(SALU_CYCLE_1)
	s_and_not1_b32 exec_lo, exec_lo, s35
	s_cbranch_execnz .LBB6_2910
; %bb.3114:                             ;   in Loop: Header=BB6_2908 Depth=2
	s_or_b32 exec_lo, exec_lo, s35
.LBB6_3115:                             ;   in Loop: Header=BB6_2908 Depth=2
	s_delay_alu instid0(SALU_CYCLE_1) | instskip(NEXT) | instid1(SALU_CYCLE_1)
	s_or_b32 exec_lo, exec_lo, s34
	s_mov_b32 s14, exec_lo
	v_cmpx_gt_i32_e32 2, v2
	s_cbranch_execz .LBB6_3201
; %bb.3116:                             ;   in Loop: Header=BB6_2908 Depth=2
	v_cmp_eq_u32_e64 s13, 0, v2
	s_mov_b32 s15, 0
.LBB6_3117:                             ;   Parent Loop BB6_51 Depth=1
                                        ;     Parent Loop BB6_2908 Depth=2
                                        ; =>    This Loop Header: Depth=3
                                        ;         Child Loop BB6_3123 Depth 4
                                        ;         Child Loop BB6_3155 Depth 4
                                        ;         Child Loop BB6_3182 Depth 4
	v_and_b32_e32 v2, 12, v30
	s_mov_b32 s35, -1
	s_mov_b32 s34, exec_lo
	s_delay_alu instid0(VALU_DEP_1)
	v_cmpx_ne_u32_e32 0, v2
	s_cbranch_execz .LBB6_3131
; %bb.3118:                             ;   in Loop: Header=BB6_3117 Depth=3
	v_and_b32_e32 v2, 8, v30
	s_delay_alu instid0(VALU_DEP_1) | instskip(SKIP_3) | instid1(VALU_DEP_1)
	v_add_co_u32 v10, vcc_lo, v82, v2
	v_add_co_ci_u32_e32 v11, vcc_lo, 0, v83, vcc_lo
	v_add_co_u32 v8, vcc_lo, v66, 2
	v_add_co_ci_u32_e32 v9, vcc_lo, 0, v67, vcc_lo
	v_cmp_lt_u64_e32 vcc_lo, v[10:11], v[8:9]
	v_mov_b32_e32 v10, 1
	s_and_saveexec_b32 s35, vcc_lo
	s_cbranch_execz .LBB6_3130
; %bb.3119:                             ;   in Loop: Header=BB6_3117 Depth=3
	v_mov_b32_e32 v10, 0
	s_mov_b32 s36, 0
                                        ; implicit-def: $sgpr37
	s_branch .LBB6_3123
.LBB6_3120:                             ;   in Loop: Header=BB6_3123 Depth=4
	s_or_b32 exec_lo, exec_lo, s41
	v_mov_b32_e32 v11, 0
	s_or_not1_b32 s40, s40, exec_lo
.LBB6_3121:                             ;   in Loop: Header=BB6_3123 Depth=4
	s_or_b32 exec_lo, exec_lo, s39
	s_delay_alu instid0(VALU_DEP_1) | instskip(SKIP_2) | instid1(SALU_CYCLE_1)
	v_mov_b32_e32 v10, v11
	s_and_not1_b32 vcc_lo, s37, exec_lo
	s_and_b32 s37, s40, exec_lo
	s_or_b32 s37, vcc_lo, s37
.LBB6_3122:                             ;   in Loop: Header=BB6_3123 Depth=4
	s_or_b32 exec_lo, exec_lo, s38
	s_waitcnt vmcnt(0) lgkmcnt(0)
	v_add_co_u32 v15, vcc_lo, v82, v2
	v_add_co_ci_u32_e32 v16, vcc_lo, 0, v83, vcc_lo
	s_xor_b32 s38, s37, -1
	s_delay_alu instid0(VALU_DEP_1) | instskip(SKIP_1) | instid1(SALU_CYCLE_1)
	v_cmp_ge_u64_e32 vcc_lo, v[15:16], v[8:9]
	s_or_b32 vcc_lo, s38, vcc_lo
	s_and_b32 vcc_lo, exec_lo, vcc_lo
	s_delay_alu instid0(SALU_CYCLE_1) | instskip(NEXT) | instid1(SALU_CYCLE_1)
	s_or_b32 s36, vcc_lo, s36
	s_and_not1_b32 exec_lo, exec_lo, s36
	s_cbranch_execz .LBB6_3129
.LBB6_3123:                             ;   Parent Loop BB6_51 Depth=1
                                        ;     Parent Loop BB6_2908 Depth=2
                                        ;       Parent Loop BB6_3117 Depth=3
                                        ; =>      This Inner Loop Header: Depth=4
	s_sleep 1
	flat_load_b64 v[82:83], v[64:65] glc
	v_and_b32_e32 v11, 64, v30
	s_and_not1_b32 s37, s37, exec_lo
	s_mov_b32 s38, exec_lo
	s_delay_alu instid0(VALU_DEP_1)
	v_cmpx_eq_u32_e32 0, v11
	s_cbranch_execz .LBB6_3122
; %bb.3124:                             ;   in Loop: Header=BB6_3123 Depth=4
	v_add_nc_u32_e32 v11, 1, v10
	s_mov_b32 s40, -1
	s_mov_b32 s39, exec_lo
	v_cmpx_lt_i32_e32 0x270e, v10
	s_cbranch_execz .LBB6_3121
; %bb.3125:                             ;   in Loop: Header=BB6_3123 Depth=4
	s_cbranch_execnz .LBB6_3647
; %bb.3126:                             ;   in Loop: Header=BB6_3123 Depth=4
	ds_load_b64 v[10:11], v0
	s_mov_b32 s41, exec_lo
	s_waitcnt vmcnt(0) lgkmcnt(0)
	s_waitcnt_vscnt null, 0x0
	flat_load_b32 v10, v[10:11] glc
	s_waitcnt vmcnt(0) lgkmcnt(0)
	buffer_gl1_inv
	buffer_gl0_inv
	v_cmpx_ne_u32_e32 0, v10
	s_cbranch_execz .LBB6_3120
; %bb.3127:                             ;   in Loop: Header=BB6_3123 Depth=4
	ds_store_b32 v0, v10
	s_cbranch_execnz .LBB6_3727
; %bb.3128:                             ;   in Loop: Header=BB6_3123 Depth=4
	v_or_b32_e32 v30, 64, v30
	s_xor_b32 s40, exec_lo, -1
	s_branch .LBB6_3120
.LBB6_3129:                             ;   in Loop: Header=BB6_3117 Depth=3
	s_or_b32 exec_lo, exec_lo, s36
	v_and_b32_e32 v10, 12, v30
.LBB6_3130:                             ;   in Loop: Header=BB6_3117 Depth=3
	s_or_b32 exec_lo, exec_lo, s35
	s_delay_alu instid0(VALU_DEP_1)
	v_cmp_eq_u32_e32 vcc_lo, 0, v10
	;;#ASMSTART
	s_wakeup
	;;#ASMEND
	s_or_not1_b32 s35, vcc_lo, exec_lo
.LBB6_3131:                             ;   in Loop: Header=BB6_3117 Depth=3
	s_or_b32 exec_lo, exec_lo, s34
	v_sub_nc_u32_e32 v2, v20, v14
	s_xor_b32 s13, s13, -1
	s_delay_alu instid0(SALU_CYCLE_1) | instskip(NEXT) | instid1(SALU_CYCLE_1)
	s_and_b32 s13, exec_lo, s13
	s_or_b32 s15, s13, s15
	s_delay_alu instid0(VALU_DEP_1) | instskip(SKIP_1) | instid1(SALU_CYCLE_1)
	v_min_i32_e32 v12, v12, v2
	s_xor_b32 s13, s35, -1
	s_and_saveexec_b32 s34, s13
	s_cbranch_execz .LBB6_3146
; %bb.3132:                             ;   in Loop: Header=BB6_3117 Depth=3
	v_and_b32_e32 v2, 0x108, v30
	s_mov_b32 s13, exec_lo
	s_delay_alu instid0(VALU_DEP_1)
	v_cmpx_ne_u32_e32 0x108, v2
	s_xor_b32 s13, exec_lo, s13
                                        ; implicit-def: $vgpr8_vgpr9
; %bb.3133:                             ;   in Loop: Header=BB6_3117 Depth=3
	v_and_b32_e32 v8, 7, v66
; %bb.3134:                             ;   in Loop: Header=BB6_3117 Depth=3
	s_and_not1_saveexec_b32 s13, s13
	s_cbranch_execz .LBB6_3136
; %bb.3135:                             ;   in Loop: Header=BB6_3117 Depth=3
	v_and_b32_e32 v8, 7, v66
	v_ashrrev_i32_e32 v13, 31, v12
	s_delay_alu instid0(VALU_DEP_2) | instskip(NEXT) | instid1(VALU_DEP_2)
	v_mad_u64_u32 v[9:10], null, v8, 24, v[6:7]
	v_lshlrev_b64 v[15:16], 1, v[12:13]
	flat_store_b64 v[9:10], v[15:16] offset:8
.LBB6_3136:                             ;   in Loop: Header=BB6_3117 Depth=3
	s_or_b32 exec_lo, exec_lo, s13
	v_and_b32_e32 v2, 0x100, v30
	s_mov_b32 s13, -1
	s_mov_b32 s35, exec_lo
                                        ; implicit-def: $vgpr9_vgpr10
	s_delay_alu instid0(VALU_DEP_1)
	v_cmpx_ne_u32_e32 0, v2
	s_cbranch_execnz .LBB6_3139
; %bb.3137:                             ;   in Loop: Header=BB6_3117 Depth=3
	s_or_b32 exec_lo, exec_lo, s35
	s_and_saveexec_b32 vcc_lo, s13
	s_cbranch_execnz .LBB6_3142
.LBB6_3138:                             ;   in Loop: Header=BB6_3117 Depth=3
	s_or_b32 exec_lo, exec_lo, vcc_lo
	s_cbranch_execnz .LBB6_3637
	s_branch .LBB6_3143
.LBB6_3139:                             ;   in Loop: Header=BB6_3117 Depth=3
	v_mad_u64_u32 v[15:16], null, v8, 24, v[6:7]
	s_mov_b32 s36, exec_lo
	s_delay_alu instid0(VALU_DEP_1) | instskip(NEXT) | instid1(VALU_DEP_1)
	v_mov_b32_e32 v2, v16
	v_mad_u64_u32 v[9:10], null, v3, 24, v[2:3]
	s_delay_alu instid0(VALU_DEP_1)
	v_mov_b32_e32 v16, v9
                                        ; implicit-def: $vgpr9_vgpr10
	flat_load_b32 v2, v[15:16]
	s_waitcnt vmcnt(0) lgkmcnt(0)
	v_cmp_ne_u32_e32 vcc_lo, 1, v2
	v_cmpx_eq_u32_e32 1, v2
	s_cbranch_execz .LBB6_3141
; %bb.3140:                             ;   in Loop: Header=BB6_3117 Depth=3
	flat_load_b32 v9, v[15:16] offset:4 glc
	s_waitcnt vmcnt(0) lgkmcnt(0)
	v_ashrrev_i32_e32 v10, 31, v9
	s_delay_alu instid0(VALU_DEP_1)
	v_lshrrev_b64 v[9:10], 1, v[9:10]
.LBB6_3141:                             ;   in Loop: Header=BB6_3117 Depth=3
	s_or_b32 exec_lo, exec_lo, s36
	s_delay_alu instid0(SALU_CYCLE_1)
	s_or_not1_b32 s13, vcc_lo, exec_lo
	s_or_b32 exec_lo, exec_lo, s35
	s_and_saveexec_b32 vcc_lo, s13
	s_cbranch_execz .LBB6_3138
.LBB6_3142:                             ;   in Loop: Header=BB6_3117 Depth=3
	v_mul_lo_u32 v2, v3, v133
	v_mul_lo_u32 v11, v8, v134
	v_mad_u64_u32 v[9:10], null, v8, v133, 0
	s_delay_alu instid0(VALU_DEP_1)
	v_add3_u32 v10, v10, v11, v2
	s_or_b32 exec_lo, exec_lo, vcc_lo
	s_cbranch_execnz .LBB6_3637
.LBB6_3143:                             ;   in Loop: Header=BB6_3117 Depth=3
	s_delay_alu instid0(VALU_DEP_1) | instskip(SKIP_2) | instid1(VALU_DEP_2)
	v_lshlrev_b64 v[8:9], 1, v[9:10]
	v_and_b32_e32 v2, 0x2000, v30
	s_mov_b32 s13, exec_lo
	v_add_co_u32 v8, vcc_lo, v68, v8
	s_delay_alu instid0(VALU_DEP_3)
	v_add_co_ci_u32_e32 v9, vcc_lo, v69, v9, vcc_lo
	ds_store_b64 v0, v[8:9]
	v_cmpx_ne_u32_e32 0, v2
	s_cbranch_execz .LBB6_3145
; %bb.3144:                             ;   in Loop: Header=BB6_3117 Depth=3
	ds_load_b64 v[8:9], v0 offset:584
	s_waitcnt lgkmcnt(0)
	v_add_co_u32 v8, vcc_lo, v8, 1
	v_add_co_ci_u32_e32 v9, vcc_lo, 0, v9, vcc_lo
	ds_store_b64 v0, v[8:9] offset:584
.LBB6_3145:                             ;   in Loop: Header=BB6_3117 Depth=3
	s_or_b32 exec_lo, exec_lo, s13
	v_add_co_u32 v66, vcc_lo, v66, 2
	v_add_co_ci_u32_e32 v67, vcc_lo, 0, v67, vcc_lo
.LBB6_3146:                             ;   in Loop: Header=BB6_3117 Depth=3
	s_or_b32 exec_lo, exec_lo, s34
	s_and_saveexec_b32 s13, s3
	s_cbranch_execz .LBB6_3168
; %bb.3147:                             ;   in Loop: Header=BB6_3117 Depth=3
	s_and_saveexec_b32 vcc_lo, s4
	s_delay_alu instid0(SALU_CYCLE_1)
	s_xor_b32 s34, exec_lo, vcc_lo
	s_cbranch_execz .LBB6_3165
; %bb.3148:                             ;   in Loop: Header=BB6_3117 Depth=3
	s_and_saveexec_b32 s35, s1
	s_cbranch_execz .LBB6_3164
; %bb.3149:                             ;   in Loop: Header=BB6_3117 Depth=3
	s_mov_b32 s37, exec_lo
	s_mov_b32 s36, exec_lo
	v_mbcnt_lo_u32_b32 v2, s37, 0
	s_waitcnt lgkmcnt(0)
	s_waitcnt_vscnt null, 0x0
	buffer_gl1_inv
	buffer_gl0_inv
	v_cmpx_eq_u32_e32 0, v2
	s_cbranch_execz .LBB6_3151
; %bb.3150:                             ;   in Loop: Header=BB6_3117 Depth=3
	s_bcnt1_i32_b32 vcc_lo, s37
	s_delay_alu instid0(SALU_CYCLE_1)
	v_mov_b32_e32 v2, vcc_lo
	ds_add_u64 v0, v[2:3]
	s_cbranch_execnz .LBB6_3783
.LBB6_3151:                             ;   in Loop: Header=BB6_3117 Depth=3
	s_or_b32 exec_lo, exec_lo, s36
	s_cbranch_execnz .LBB6_3751
; %bb.3152:                             ;   in Loop: Header=BB6_3117 Depth=3
	ds_load_b64 v[8:9], v0
	v_add_co_u32 v80, vcc_lo, v80, v145
	v_add_co_ci_u32_e32 v81, vcc_lo, 0, v81, vcc_lo
	s_mov_b32 s36, exec_lo
	s_waitcnt lgkmcnt(0)
	s_delay_alu instid0(VALU_DEP_1)
	v_cmpx_lt_u64_e64 v[8:9], v[80:81]
	s_cbranch_execz .LBB6_3163
; %bb.3153:                             ;   in Loop: Header=BB6_3117 Depth=3
	s_mov_b32 s37, 0
	s_mov_b32 s40, 0
                                        ; implicit-def: $sgpr38
                                        ; implicit-def: $sgpr39
	s_branch .LBB6_3155
.LBB6_3154:                             ;   in Loop: Header=BB6_3155 Depth=4
	s_or_b32 exec_lo, exec_lo, s42
	s_delay_alu instid0(SALU_CYCLE_1) | instskip(NEXT) | instid1(SALU_CYCLE_1)
	s_and_b32 vcc_lo, exec_lo, vcc_lo
	s_or_b32 s37, vcc_lo, s37
	s_and_not1_b32 vcc_lo, s38, exec_lo
	s_and_b32 s38, s39, exec_lo
	s_delay_alu instid0(SALU_CYCLE_1)
	s_or_b32 s38, vcc_lo, s38
	s_and_not1_b32 exec_lo, exec_lo, s37
	s_cbranch_execz .LBB6_3161
.LBB6_3155:                             ;   Parent Loop BB6_51 Depth=1
                                        ;     Parent Loop BB6_2908 Depth=2
                                        ;       Parent Loop BB6_3117 Depth=3
                                        ; =>      This Inner Loop Header: Depth=4
	s_add_i32 s40, s40, 1
                                        ; implicit-def: $sgpr42
	s_delay_alu instid0(SALU_CYCLE_1) | instskip(SKIP_1) | instid1(SALU_CYCLE_1)
	s_cmpk_lg_i32 s40, 0x2710
	s_cselect_b32 s41, -1, 0
	s_and_b32 vcc_lo, exec_lo, s41
	s_cbranch_vccz .LBB6_3159
.LBB6_3156:                             ;   in Loop: Header=BB6_3155 Depth=4
	s_and_not1_b32 s39, s39, exec_lo
	s_and_b32 s42, s42, exec_lo
	s_mov_b32 vcc_lo, -1
	s_or_b32 s39, s39, s42
	s_and_saveexec_b32 s42, s41
	s_cbranch_execz .LBB6_3154
; %bb.3157:                             ;   in Loop: Header=BB6_3155 Depth=4
	s_sleep 1
	s_cbranch_execnz .LBB6_3831
; %bb.3158:                             ;   in Loop: Header=BB6_3155 Depth=4
	ds_load_b64 v[8:9], v0
	s_and_not1_b32 s39, s39, exec_lo
	s_waitcnt lgkmcnt(0)
	v_cmp_ge_u64_e32 vcc_lo, v[8:9], v[80:81]
	s_or_not1_b32 vcc_lo, vcc_lo, exec_lo
	s_branch .LBB6_3154
.LBB6_3159:                             ;   in Loop: Header=BB6_3155 Depth=4
	s_cbranch_execnz .LBB6_3853
; %bb.3160:                             ;   in Loop: Header=BB6_3155 Depth=4
	ds_load_b64 v[8:9], v0
	s_and_not1_b32 s41, s41, exec_lo
	s_mov_b32 s40, 0
	s_mov_b32 s42, -1
	s_waitcnt lgkmcnt(0)
	flat_load_b32 v2, v[8:9] glc
	s_waitcnt vmcnt(0) lgkmcnt(0)
	buffer_gl1_inv
	buffer_gl0_inv
	v_cmp_eq_u32_e32 vcc_lo, 0, v2
	s_and_b32 vcc_lo, vcc_lo, exec_lo
	s_delay_alu instid0(SALU_CYCLE_1)
	s_or_b32 s41, s41, vcc_lo
	s_branch .LBB6_3156
.LBB6_3161:                             ;   in Loop: Header=BB6_3117 Depth=3
	s_or_b32 exec_lo, exec_lo, s37
	s_and_saveexec_b32 vcc_lo, s38
	s_delay_alu instid0(SALU_CYCLE_1)
	s_xor_b32 vcc_lo, exec_lo, vcc_lo
	s_cbranch_execz .LBB6_3163
; %bb.3162:                             ;   in Loop: Header=BB6_3117 Depth=3
	ds_store_b32 v0, v182
	s_cbranch_execnz .LBB6_3967
.LBB6_3163:                             ;   in Loop: Header=BB6_3117 Depth=3
	s_or_b32 exec_lo, exec_lo, s36
	;;#ASMSTART
	s_wakeup
	;;#ASMEND
.LBB6_3164:                             ;   in Loop: Header=BB6_3117 Depth=3
	s_or_b32 exec_lo, exec_lo, s35
.LBB6_3165:                             ;   in Loop: Header=BB6_3117 Depth=3
	s_and_not1_saveexec_b32 vcc_lo, s34
	s_cbranch_execz .LBB6_3167
; %bb.3166:                             ;   in Loop: Header=BB6_3117 Depth=3
	s_waitcnt lgkmcnt(0)
	s_waitcnt_vscnt null, 0x0
	buffer_gl1_inv
	buffer_gl0_inv
	s_barrier
.LBB6_3167:                             ;   in Loop: Header=BB6_3117 Depth=3
	s_or_b32 exec_lo, exec_lo, vcc_lo
.LBB6_3168:                             ;   in Loop: Header=BB6_3117 Depth=3
	s_delay_alu instid0(SALU_CYCLE_1) | instskip(SKIP_1) | instid1(SALU_CYCLE_1)
	s_or_b32 exec_lo, exec_lo, s13
                                        ; implicit-def: $vgpr2
	s_and_saveexec_b32 s13, s7
	s_xor_b32 s34, exec_lo, s13
	s_cbranch_execz .LBB6_3173
; %bb.3169:                             ;   in Loop: Header=BB6_3117 Depth=3
	s_cbranch_execnz .LBB6_3669
; %bb.3170:                             ;   in Loop: Header=BB6_3117 Depth=3
	ds_load_b32 v2, v0
	v_cmp_lt_i32_e32 vcc_lo, 0, v12
	s_waitcnt lgkmcnt(0)
	v_readfirstlane_b32 s13, v2
	v_and_b32_e32 v2, 16, v30
	s_delay_alu instid0(VALU_DEP_2) | instskip(NEXT) | instid1(VALU_DEP_1)
	s_cmp_eq_u32 s13, 0
	v_cmp_ne_u32_e64 s13, 0, v2
	s_cselect_b32 s35, -1, 0
	v_and_b32_e32 v2, 16, v30
	s_and_b32 vcc_lo, vcc_lo, s35
	s_delay_alu instid0(VALU_DEP_2) | instid1(SALU_CYCLE_1)
	s_and_b32 vcc_lo, s13, vcc_lo
	s_delay_alu instid0(SALU_CYCLE_1)
	s_and_saveexec_b32 s13, vcc_lo
	s_cbranch_execz .LBB6_3172
; %bb.3171:                             ;   in Loop: Header=BB6_3117 Depth=3
	v_mov_b32_e32 v2, 1
	s_waitcnt_vscnt null, 0x0
	buffer_gl1_inv
	buffer_gl0_inv
.LBB6_3172:                             ;   in Loop: Header=BB6_3117 Depth=3
	s_or_b32 exec_lo, exec_lo, s13
.LBB6_3173:                             ;   in Loop: Header=BB6_3117 Depth=3
	s_and_not1_saveexec_b32 s13, s34
	s_cbranch_execz .LBB6_3195
; %bb.3174:                             ;   in Loop: Header=BB6_3117 Depth=3
	s_and_saveexec_b32 vcc_lo, s4
	s_delay_alu instid0(SALU_CYCLE_1)
	s_xor_b32 s34, exec_lo, vcc_lo
	s_cbranch_execz .LBB6_3192
; %bb.3175:                             ;   in Loop: Header=BB6_3117 Depth=3
	s_and_saveexec_b32 s35, s1
	s_cbranch_execz .LBB6_3191
; %bb.3176:                             ;   in Loop: Header=BB6_3117 Depth=3
	s_mov_b32 s37, exec_lo
	s_mov_b32 s36, exec_lo
	v_mbcnt_lo_u32_b32 v2, s37, 0
	;;#ASMSTART
	s_waitcnt lgkmcnt(0) vmcnt(0)
	;;#ASMEND
	s_delay_alu instid0(VALU_DEP_1)
	v_cmpx_eq_u32_e32 0, v2
	s_cbranch_execz .LBB6_3178
; %bb.3177:                             ;   in Loop: Header=BB6_3117 Depth=3
	s_bcnt1_i32_b32 vcc_lo, s37
	s_delay_alu instid0(SALU_CYCLE_1)
	v_mov_b32_e32 v2, vcc_lo
	ds_add_u64 v0, v[2:3]
	s_cbranch_execnz .LBB6_3803
.LBB6_3178:                             ;   in Loop: Header=BB6_3117 Depth=3
	s_or_b32 exec_lo, exec_lo, s36
	s_cbranch_execnz .LBB6_3781
; %bb.3179:                             ;   in Loop: Header=BB6_3117 Depth=3
	ds_load_b64 v[8:9], v0
	v_add_co_u32 v80, vcc_lo, v80, v145
	v_add_co_ci_u32_e32 v81, vcc_lo, 0, v81, vcc_lo
	s_mov_b32 s36, exec_lo
	s_waitcnt lgkmcnt(0)
	s_delay_alu instid0(VALU_DEP_1)
	v_cmpx_lt_u64_e64 v[8:9], v[80:81]
	s_cbranch_execz .LBB6_3190
; %bb.3180:                             ;   in Loop: Header=BB6_3117 Depth=3
	s_mov_b32 s37, 0
	s_mov_b32 s40, 0
                                        ; implicit-def: $sgpr38
                                        ; implicit-def: $sgpr39
	s_branch .LBB6_3182
.LBB6_3181:                             ;   in Loop: Header=BB6_3182 Depth=4
	s_or_b32 exec_lo, exec_lo, s42
	s_delay_alu instid0(SALU_CYCLE_1) | instskip(NEXT) | instid1(SALU_CYCLE_1)
	s_and_b32 vcc_lo, exec_lo, vcc_lo
	s_or_b32 s37, vcc_lo, s37
	s_and_not1_b32 vcc_lo, s38, exec_lo
	s_and_b32 s38, s39, exec_lo
	s_delay_alu instid0(SALU_CYCLE_1)
	s_or_b32 s38, vcc_lo, s38
	s_and_not1_b32 exec_lo, exec_lo, s37
	s_cbranch_execz .LBB6_3188
.LBB6_3182:                             ;   Parent Loop BB6_51 Depth=1
                                        ;     Parent Loop BB6_2908 Depth=2
                                        ;       Parent Loop BB6_3117 Depth=3
                                        ; =>      This Inner Loop Header: Depth=4
	s_add_i32 s40, s40, 1
                                        ; implicit-def: $sgpr42
	s_delay_alu instid0(SALU_CYCLE_1) | instskip(SKIP_1) | instid1(SALU_CYCLE_1)
	s_cmpk_lg_i32 s40, 0x2710
	s_cselect_b32 s41, -1, 0
	s_and_b32 vcc_lo, exec_lo, s41
	s_cbranch_vccz .LBB6_3186
.LBB6_3183:                             ;   in Loop: Header=BB6_3182 Depth=4
	s_and_not1_b32 s39, s39, exec_lo
	s_and_b32 s42, s42, exec_lo
	s_mov_b32 vcc_lo, -1
	s_or_b32 s39, s39, s42
	s_and_saveexec_b32 s42, s41
	s_cbranch_execz .LBB6_3181
; %bb.3184:                             ;   in Loop: Header=BB6_3182 Depth=4
	s_sleep 1
	s_cbranch_execnz .LBB6_3863
; %bb.3185:                             ;   in Loop: Header=BB6_3182 Depth=4
	ds_load_b64 v[8:9], v0
	s_and_not1_b32 s39, s39, exec_lo
	s_waitcnt lgkmcnt(0)
	v_cmp_ge_u64_e32 vcc_lo, v[8:9], v[80:81]
	s_or_not1_b32 vcc_lo, vcc_lo, exec_lo
	s_branch .LBB6_3181
.LBB6_3186:                             ;   in Loop: Header=BB6_3182 Depth=4
	s_cbranch_execnz .LBB6_3877
; %bb.3187:                             ;   in Loop: Header=BB6_3182 Depth=4
	ds_load_b64 v[8:9], v0
	s_and_not1_b32 s41, s41, exec_lo
	s_mov_b32 s40, 0
	s_mov_b32 s42, -1
	s_waitcnt lgkmcnt(0)
	s_waitcnt_vscnt null, 0x0
	flat_load_b32 v2, v[8:9] glc
	s_waitcnt vmcnt(0) lgkmcnt(0)
	buffer_gl1_inv
	buffer_gl0_inv
	v_cmp_eq_u32_e32 vcc_lo, 0, v2
	s_and_b32 vcc_lo, vcc_lo, exec_lo
	s_delay_alu instid0(SALU_CYCLE_1)
	s_or_b32 s41, s41, vcc_lo
	s_branch .LBB6_3183
.LBB6_3188:                             ;   in Loop: Header=BB6_3117 Depth=3
	s_or_b32 exec_lo, exec_lo, s37
	s_and_saveexec_b32 vcc_lo, s38
	s_delay_alu instid0(SALU_CYCLE_1)
	s_xor_b32 vcc_lo, exec_lo, vcc_lo
	s_cbranch_execz .LBB6_3190
; %bb.3189:                             ;   in Loop: Header=BB6_3117 Depth=3
	ds_store_b32 v0, v182
	s_cbranch_execnz .LBB6_3977
.LBB6_3190:                             ;   in Loop: Header=BB6_3117 Depth=3
	s_or_b32 exec_lo, exec_lo, s36
	;;#ASMSTART
	s_wakeup
	;;#ASMEND
.LBB6_3191:                             ;   in Loop: Header=BB6_3117 Depth=3
	s_or_b32 exec_lo, exec_lo, s35
.LBB6_3192:                             ;   in Loop: Header=BB6_3117 Depth=3
	s_and_not1_saveexec_b32 vcc_lo, s34
	s_cbranch_execz .LBB6_3194
; %bb.3193:                             ;   in Loop: Header=BB6_3117 Depth=3
	;;#ASMSTART
	s_waitcnt lgkmcnt(0) vmcnt(0)
	;;#ASMEND
	s_waitcnt lgkmcnt(0)
	s_waitcnt_vscnt null, 0x0
	s_barrier
.LBB6_3194:                             ;   in Loop: Header=BB6_3117 Depth=3
	s_or_b32 exec_lo, exec_lo, vcc_lo
	v_and_b32_e32 v2, 16, v30
.LBB6_3195:                             ;   in Loop: Header=BB6_3117 Depth=3
	s_or_b32 exec_lo, exec_lo, s13
	s_delay_alu instid0(VALU_DEP_1) | instskip(SKIP_1) | instid1(SALU_CYCLE_1)
	v_cmp_ne_u32_e32 vcc_lo, 0, v2
	s_xor_b32 s13, s10, -1
	s_and_b32 vcc_lo, vcc_lo, s13
	s_delay_alu instid0(SALU_CYCLE_1)
	s_and_saveexec_b32 s13, vcc_lo
	s_cbranch_execz .LBB6_3197
; %bb.3196:                             ;   in Loop: Header=BB6_3117 Depth=3
	s_waitcnt lgkmcnt(0)
	s_waitcnt_vscnt null, 0x0
	flat_store_b32 v[70:71], v182
.LBB6_3197:                             ;   in Loop: Header=BB6_3117 Depth=3
	s_or_b32 exec_lo, exec_lo, s13
	v_and_b32_e32 v2, 48, v30
	s_mov_b32 s13, exec_lo
	s_delay_alu instid0(VALU_DEP_1)
	v_cmpx_ne_u32_e32 0, v2
	s_cbranch_execz .LBB6_3199
; %bb.3198:                             ;   in Loop: Header=BB6_3117 Depth=3
	v_add_co_u32 v66, vcc_lo, v66, 2
	v_add_co_ci_u32_e32 v67, vcc_lo, 0, v67, vcc_lo
	s_waitcnt lgkmcnt(0)
	s_waitcnt_vscnt null, 0x0
	flat_store_b64 v[64:65], v[66:67]
.LBB6_3199:                             ;   in Loop: Header=BB6_3117 Depth=3
	s_or_b32 exec_lo, exec_lo, s13
	v_add_nc_u32_e32 v14, v12, v14
	s_mov_b32 s13, 0
	s_and_not1_b32 exec_lo, exec_lo, s15
	s_cbranch_execnz .LBB6_3117
; %bb.3200:                             ;   in Loop: Header=BB6_2908 Depth=2
	s_or_b32 exec_lo, exec_lo, s15
.LBB6_3201:                             ;   in Loop: Header=BB6_2908 Depth=2
	s_delay_alu instid0(SALU_CYCLE_1) | instskip(SKIP_2) | instid1(VALU_DEP_1)
	s_or_b32 exec_lo, exec_lo, s14
	v_readlane_b32 s14, v56, 5
	s_add_i32 s13, s17, 1
	s_cmp_eq_u32 s17, s14
	s_cbranch_scc0 .LBB6_2908
.LBB6_3202:                             ;   in Loop: Header=BB6_51 Depth=1
	s_mov_b32 s13, s31
	v_mul_lo_u32 v8, v96, s30
	v_mul_lo_u32 v2, v97, s13
	v_mad_u64_u32 v[9:10], null, v96, s13, 0
	s_mov_b32 s17, 0
	s_delay_alu instid0(VALU_DEP_1) | instskip(NEXT) | instid1(VALU_DEP_2)
	v_add3_u32 v10, v10, v8, v2
	v_sub_co_u32 v11, vcc_lo, v98, v9
	s_delay_alu instid0(VALU_DEP_2) | instskip(NEXT) | instid1(VALU_DEP_1)
	v_sub_co_ci_u32_e32 v12, vcc_lo, v99, v10, vcc_lo
	v_cmp_lt_i64_e32 vcc_lo, v[96:97], v[11:12]
	v_cndmask_b32_e32 v8, v11, v96, vcc_lo
	s_delay_alu instid0(VALU_DEP_1) | instskip(NEXT) | instid1(VALU_DEP_1)
	v_max_i32_e32 v16, 0, v8
	v_add_nc_u32_e32 v2, 31, v16
	s_delay_alu instid0(VALU_DEP_1) | instskip(NEXT) | instid1(VALU_DEP_1)
	v_lshrrev_b32_e32 v2, 1, v2
	v_and_b32_e32 v11, 0x3ffffff0, v2
	v_cmp_lt_i32_e32 vcc_lo, 0, v8
	v_mov_b32_e32 v2, 0
	v_mov_b32_e32 v8, 0
	s_delay_alu instid0(VALU_DEP_4) | instskip(SKIP_1) | instid1(SALU_CYCLE_1)
	v_max_i32_e32 v17, s28, v11
	s_and_b32 s13, s16, vcc_lo
	s_and_saveexec_b32 s15, s13
	s_cbranch_execz .LBB6_3364
; %bb.3203:                             ;   in Loop: Header=BB6_51 Depth=1
	v_add_co_u32 v8, vcc_lo, v9, v100
	v_add_co_ci_u32_e32 v9, vcc_lo, v10, v101, vcc_lo
	s_mov_b32 s35, 1
	s_mov_b32 s34, -1
	s_delay_alu instid0(VALU_DEP_1)
	v_lshlrev_b64 v[10:11], 1, v[8:9]
	v_mov_b32_e32 v8, 0
.LBB6_3204:                             ;   Parent Loop BB6_51 Depth=1
                                        ; =>  This Loop Header: Depth=2
                                        ;       Child Loop BB6_3213 Depth 3
                                        ;       Child Loop BB6_3240 Depth 3
	;; [unrolled: 1-line block ×9, first 2 shown]
	s_and_saveexec_b32 s14, s0
	s_cbranch_execz .LBB6_3207
; %bb.3205:                             ;   in Loop: Header=BB6_3204 Depth=2
	s_cbranch_execnz .LBB6_3619
; %bb.3206:                             ;   in Loop: Header=BB6_3204 Depth=2
	ds_load_b128 v[12:15], v0
	v_ashrrev_i32_e32 v9, 31, v8
	s_delay_alu instid0(VALU_DEP_1)
	v_lshlrev_b64 v[18:19], 1, v[8:9]
	s_waitcnt lgkmcnt(0)
	v_add_co_u32 v2, vcc_lo, v14, v10
	v_add_co_ci_u32_e32 v9, vcc_lo, v15, v11, vcc_lo
	v_add_co_u32 v12, vcc_lo, v12, v10
	v_add_co_ci_u32_e32 v13, vcc_lo, v13, v11, vcc_lo
	s_delay_alu instid0(VALU_DEP_4) | instskip(NEXT) | instid1(VALU_DEP_4)
	v_add_co_u32 v2, vcc_lo, v2, v18
	v_add_co_ci_u32_e32 v9, vcc_lo, v9, v19, vcc_lo
	v_cmp_ne_u64_e32 vcc_lo, 0, v[14:15]
	v_add_co_u32 v12, s13, v12, v18
	s_delay_alu instid0(VALU_DEP_1) | instskip(NEXT) | instid1(VALU_DEP_4)
	v_add_co_ci_u32_e64 v13, s13, v13, v19, s13
	v_dual_cndmask_b32 v15, 0, v9 :: v_dual_cndmask_b32 v14, 0, v2
	ds_store_b64 v0, v[12:13]
	ds_store_b64 v0, v[14:15]
.LBB6_3207:                             ;   in Loop: Header=BB6_3204 Depth=2
	s_or_b32 exec_lo, exec_lo, s14
	v_and_b32_e32 v2, 4, v30
	s_mov_b32 s14, -1
	s_mov_b32 s13, exec_lo
	s_delay_alu instid0(VALU_DEP_1)
	v_cmpx_ne_u32_e32 0, v2
	s_cbranch_execz .LBB6_3221
; %bb.3208:                             ;   in Loop: Header=BB6_3204 Depth=2
	v_add_co_u32 v12, vcc_lo, v66, 2
	v_add_co_ci_u32_e32 v13, vcc_lo, 0, v67, vcc_lo
	v_mov_b32_e32 v2, 1
	s_mov_b32 s14, exec_lo
	s_delay_alu instid0(VALU_DEP_2)
	v_cmpx_lt_u64_e64 v[82:83], v[12:13]
	s_cbranch_execz .LBB6_3220
; %bb.3209:                             ;   in Loop: Header=BB6_3204 Depth=2
	v_mov_b32_e32 v2, 0
	s_mov_b32 s36, 0
                                        ; implicit-def: $sgpr37
	s_branch .LBB6_3213
.LBB6_3210:                             ;   in Loop: Header=BB6_3213 Depth=3
	s_or_b32 exec_lo, exec_lo, s41
	v_mov_b32_e32 v9, 0
	s_or_not1_b32 s40, s40, exec_lo
.LBB6_3211:                             ;   in Loop: Header=BB6_3213 Depth=3
	s_or_b32 exec_lo, exec_lo, s39
	s_delay_alu instid0(VALU_DEP_1) | instskip(SKIP_2) | instid1(SALU_CYCLE_1)
	v_mov_b32_e32 v2, v9
	s_and_not1_b32 vcc_lo, s37, exec_lo
	s_and_b32 s37, s40, exec_lo
	s_or_b32 s37, vcc_lo, s37
.LBB6_3212:                             ;   in Loop: Header=BB6_3213 Depth=3
	s_or_b32 exec_lo, exec_lo, s38
	s_waitcnt vmcnt(0) lgkmcnt(0)
	v_cmp_ge_u64_e32 vcc_lo, v[82:83], v[12:13]
	s_xor_b32 s38, s37, -1
	s_delay_alu instid0(SALU_CYCLE_1) | instskip(NEXT) | instid1(SALU_CYCLE_1)
	s_or_b32 vcc_lo, s38, vcc_lo
	s_and_b32 vcc_lo, exec_lo, vcc_lo
	s_delay_alu instid0(SALU_CYCLE_1) | instskip(NEXT) | instid1(SALU_CYCLE_1)
	s_or_b32 s36, vcc_lo, s36
	s_and_not1_b32 exec_lo, exec_lo, s36
	s_cbranch_execz .LBB6_3219
.LBB6_3213:                             ;   Parent Loop BB6_51 Depth=1
                                        ;     Parent Loop BB6_3204 Depth=2
                                        ; =>    This Inner Loop Header: Depth=3
	s_sleep 1
	flat_load_b64 v[82:83], v[64:65] glc
	v_and_b32_e32 v9, 64, v30
	s_and_not1_b32 s37, s37, exec_lo
	s_mov_b32 s38, exec_lo
	s_delay_alu instid0(VALU_DEP_1)
	v_cmpx_eq_u32_e32 0, v9
	s_cbranch_execz .LBB6_3212
; %bb.3214:                             ;   in Loop: Header=BB6_3213 Depth=3
	v_add_nc_u32_e32 v9, 1, v2
	s_mov_b32 s40, -1
	s_mov_b32 s39, exec_lo
	v_cmpx_lt_i32_e32 0x270e, v2
	s_cbranch_execz .LBB6_3211
; %bb.3215:                             ;   in Loop: Header=BB6_3213 Depth=3
	s_cbranch_execnz .LBB6_3665
; %bb.3216:                             ;   in Loop: Header=BB6_3213 Depth=3
	ds_load_b64 v[14:15], v0
	s_mov_b32 s41, exec_lo
	s_waitcnt vmcnt(0) lgkmcnt(0)
	s_waitcnt_vscnt null, 0x0
	flat_load_b32 v2, v[14:15] glc
	s_waitcnt vmcnt(0) lgkmcnt(0)
	buffer_gl1_inv
	buffer_gl0_inv
	v_cmpx_ne_u32_e32 0, v2
	s_cbranch_execz .LBB6_3210
; %bb.3217:                             ;   in Loop: Header=BB6_3213 Depth=3
	ds_store_b32 v0, v2
	s_cbranch_execnz .LBB6_3735
; %bb.3218:                             ;   in Loop: Header=BB6_3213 Depth=3
	v_or_b32_e32 v30, 64, v30
	s_xor_b32 s40, exec_lo, -1
	s_branch .LBB6_3210
.LBB6_3219:                             ;   in Loop: Header=BB6_3204 Depth=2
	s_or_b32 exec_lo, exec_lo, s36
	v_and_b32_e32 v2, 4, v30
.LBB6_3220:                             ;   in Loop: Header=BB6_3204 Depth=2
	s_or_b32 exec_lo, exec_lo, s14
	s_delay_alu instid0(VALU_DEP_1)
	v_cmp_eq_u32_e32 vcc_lo, 0, v2
	;;#ASMSTART
	s_wakeup
	;;#ASMEND
	s_or_not1_b32 s14, vcc_lo, exec_lo
.LBB6_3221:                             ;   in Loop: Header=BB6_3204 Depth=2
	s_or_b32 exec_lo, exec_lo, s13
	s_xor_b32 s13, s14, -1
	s_delay_alu instid0(SALU_CYCLE_1)
	s_and_saveexec_b32 s14, s13
	s_cbranch_execz .LBB6_3231
; %bb.3222:                             ;   in Loop: Header=BB6_3204 Depth=2
	v_and_b32_e32 v2, 0x100, v30
	s_mov_b32 s13, -1
                                        ; implicit-def: $vgpr12_vgpr13
	s_delay_alu instid0(VALU_DEP_1)
	v_cmp_ne_u32_e32 vcc_lo, 0, v2
	v_and_b32_e32 v2, 7, v66
	s_and_saveexec_b32 s36, vcc_lo
	s_cbranch_execz .LBB6_3226
; %bb.3223:                             ;   in Loop: Header=BB6_3204 Depth=2
	s_delay_alu instid0(VALU_DEP_1)
	v_mad_u64_u32 v[14:15], null, v2, 24, v[6:7]
	s_mov_b32 s37, exec_lo
                                        ; implicit-def: $vgpr12_vgpr13
	flat_load_b32 v9, v[14:15]
	s_waitcnt vmcnt(0) lgkmcnt(0)
	v_cmp_ne_u32_e32 vcc_lo, 1, v9
	v_cmpx_eq_u32_e32 1, v9
	s_cbranch_execz .LBB6_3225
; %bb.3224:                             ;   in Loop: Header=BB6_3204 Depth=2
	flat_load_b32 v12, v[14:15] offset:4 glc
	s_waitcnt vmcnt(0) lgkmcnt(0)
	v_ashrrev_i32_e32 v13, 31, v12
	s_delay_alu instid0(VALU_DEP_1)
	v_lshrrev_b64 v[12:13], 1, v[12:13]
.LBB6_3225:                             ;   in Loop: Header=BB6_3204 Depth=2
	s_or_b32 exec_lo, exec_lo, s37
	s_delay_alu instid0(SALU_CYCLE_1)
	s_or_not1_b32 s13, vcc_lo, exec_lo
.LBB6_3226:                             ;   in Loop: Header=BB6_3204 Depth=2
	s_or_b32 exec_lo, exec_lo, s36
	s_and_saveexec_b32 vcc_lo, s13
; %bb.3227:                             ;   in Loop: Header=BB6_3204 Depth=2
	v_mad_i64_i32 v[12:13], null, v2, v133, 0
; %bb.3228:                             ;   in Loop: Header=BB6_3204 Depth=2
	s_or_b32 exec_lo, exec_lo, vcc_lo
	s_delay_alu instid0(VALU_DEP_1) | instskip(SKIP_2) | instid1(VALU_DEP_2)
	v_lshlrev_b64 v[12:13], 1, v[12:13]
	v_and_b32_e32 v2, 0x2000, v30
	s_mov_b32 s13, exec_lo
	v_add_co_u32 v12, vcc_lo, v68, v12
	s_delay_alu instid0(VALU_DEP_3)
	v_add_co_ci_u32_e32 v13, vcc_lo, v69, v13, vcc_lo
	ds_store_b64 v0, v[12:13] offset:720
	v_cmpx_ne_u32_e32 0, v2
	s_cbranch_execz .LBB6_3230
; %bb.3229:                             ;   in Loop: Header=BB6_3204 Depth=2
	ds_load_b64 v[12:13], v0 offset:584
	s_waitcnt lgkmcnt(0)
	v_add_co_u32 v12, vcc_lo, v12, 1
	v_add_co_ci_u32_e32 v13, vcc_lo, 0, v13, vcc_lo
	ds_store_b64 v0, v[12:13] offset:584
.LBB6_3230:                             ;   in Loop: Header=BB6_3204 Depth=2
	s_or_b32 exec_lo, exec_lo, s13
	v_add_co_u32 v66, vcc_lo, v66, 2
	v_add_co_ci_u32_e32 v67, vcc_lo, 0, v67, vcc_lo
.LBB6_3231:                             ;   in Loop: Header=BB6_3204 Depth=2
	s_or_b32 exec_lo, exec_lo, s14
	s_and_saveexec_b32 s13, s3
	s_cbranch_execz .LBB6_3253
; %bb.3232:                             ;   in Loop: Header=BB6_3204 Depth=2
	s_and_saveexec_b32 s14, s4
	s_delay_alu instid0(SALU_CYCLE_1)
	s_xor_b32 s14, exec_lo, s14
	s_cbranch_execz .LBB6_3250
; %bb.3233:                             ;   in Loop: Header=BB6_3204 Depth=2
	s_and_saveexec_b32 s36, s1
	s_cbranch_execz .LBB6_3249
; %bb.3234:                             ;   in Loop: Header=BB6_3204 Depth=2
	s_mov_b32 s38, exec_lo
	s_mov_b32 s37, exec_lo
	v_mbcnt_lo_u32_b32 v2, s38, 0
	s_waitcnt lgkmcnt(0)
	s_waitcnt_vscnt null, 0x0
	buffer_gl1_inv
	buffer_gl0_inv
	v_cmpx_eq_u32_e32 0, v2
	s_cbranch_execz .LBB6_3236
; %bb.3235:                             ;   in Loop: Header=BB6_3204 Depth=2
	s_bcnt1_i32_b32 vcc_lo, s38
	s_delay_alu instid0(SALU_CYCLE_1)
	v_mov_b32_e32 v2, vcc_lo
	ds_add_u64 v0, v[2:3]
	s_cbranch_execnz .LBB6_3777
.LBB6_3236:                             ;   in Loop: Header=BB6_3204 Depth=2
	s_or_b32 exec_lo, exec_lo, s37
	s_cbranch_execnz .LBB6_3745
; %bb.3237:                             ;   in Loop: Header=BB6_3204 Depth=2
	ds_load_b64 v[12:13], v0
	v_add_co_u32 v80, vcc_lo, v80, v145
	v_add_co_ci_u32_e32 v81, vcc_lo, 0, v81, vcc_lo
	s_mov_b32 s37, exec_lo
	s_waitcnt lgkmcnt(0)
	s_delay_alu instid0(VALU_DEP_1)
	v_cmpx_lt_u64_e64 v[12:13], v[80:81]
	s_cbranch_execz .LBB6_3248
; %bb.3238:                             ;   in Loop: Header=BB6_3204 Depth=2
	s_mov_b32 s38, 0
	s_mov_b32 s41, 0
                                        ; implicit-def: $sgpr39
                                        ; implicit-def: $sgpr40
	s_branch .LBB6_3240
.LBB6_3239:                             ;   in Loop: Header=BB6_3240 Depth=3
	s_or_b32 exec_lo, exec_lo, s43
	s_delay_alu instid0(SALU_CYCLE_1) | instskip(NEXT) | instid1(SALU_CYCLE_1)
	s_and_b32 vcc_lo, exec_lo, vcc_lo
	s_or_b32 s38, vcc_lo, s38
	s_and_not1_b32 vcc_lo, s39, exec_lo
	s_and_b32 s39, s40, exec_lo
	s_delay_alu instid0(SALU_CYCLE_1)
	s_or_b32 s39, vcc_lo, s39
	s_and_not1_b32 exec_lo, exec_lo, s38
	s_cbranch_execz .LBB6_3246
.LBB6_3240:                             ;   Parent Loop BB6_51 Depth=1
                                        ;     Parent Loop BB6_3204 Depth=2
                                        ; =>    This Inner Loop Header: Depth=3
	s_add_i32 s41, s41, 1
                                        ; implicit-def: $sgpr43
	s_delay_alu instid0(SALU_CYCLE_1) | instskip(SKIP_1) | instid1(SALU_CYCLE_1)
	s_cmpk_lg_i32 s41, 0x2710
	s_cselect_b32 s42, -1, 0
	s_and_b32 vcc_lo, exec_lo, s42
	s_cbranch_vccz .LBB6_3244
.LBB6_3241:                             ;   in Loop: Header=BB6_3240 Depth=3
	s_and_not1_b32 s40, s40, exec_lo
	s_and_b32 s43, s43, exec_lo
	s_mov_b32 vcc_lo, -1
	s_or_b32 s40, s40, s43
	s_and_saveexec_b32 s43, s42
	s_cbranch_execz .LBB6_3239
; %bb.3242:                             ;   in Loop: Header=BB6_3240 Depth=3
	s_sleep 1
	s_cbranch_execnz .LBB6_3827
; %bb.3243:                             ;   in Loop: Header=BB6_3240 Depth=3
	ds_load_b64 v[12:13], v0
	s_and_not1_b32 s40, s40, exec_lo
	s_waitcnt lgkmcnt(0)
	v_cmp_ge_u64_e32 vcc_lo, v[12:13], v[80:81]
	s_or_not1_b32 vcc_lo, vcc_lo, exec_lo
	s_branch .LBB6_3239
.LBB6_3244:                             ;   in Loop: Header=BB6_3240 Depth=3
	s_cbranch_execnz .LBB6_3843
; %bb.3245:                             ;   in Loop: Header=BB6_3240 Depth=3
	ds_load_b64 v[12:13], v0
	s_and_not1_b32 s42, s42, exec_lo
	s_mov_b32 s41, 0
	s_mov_b32 s43, -1
	s_waitcnt lgkmcnt(0)
	flat_load_b32 v2, v[12:13] glc
	s_waitcnt vmcnt(0) lgkmcnt(0)
	buffer_gl1_inv
	buffer_gl0_inv
	v_cmp_eq_u32_e32 vcc_lo, 0, v2
	s_and_b32 vcc_lo, vcc_lo, exec_lo
	s_delay_alu instid0(SALU_CYCLE_1)
	s_or_b32 s42, s42, vcc_lo
	s_branch .LBB6_3241
.LBB6_3246:                             ;   in Loop: Header=BB6_3204 Depth=2
	s_or_b32 exec_lo, exec_lo, s38
	s_and_saveexec_b32 vcc_lo, s39
	s_delay_alu instid0(SALU_CYCLE_1)
	s_xor_b32 vcc_lo, exec_lo, vcc_lo
	s_cbranch_execz .LBB6_3248
; %bb.3247:                             ;   in Loop: Header=BB6_3204 Depth=2
	ds_store_b32 v0, v182
	s_cbranch_execnz .LBB6_3963
.LBB6_3248:                             ;   in Loop: Header=BB6_3204 Depth=2
	s_or_b32 exec_lo, exec_lo, s37
	;;#ASMSTART
	s_wakeup
	;;#ASMEND
.LBB6_3249:                             ;   in Loop: Header=BB6_3204 Depth=2
	s_or_b32 exec_lo, exec_lo, s36
.LBB6_3250:                             ;   in Loop: Header=BB6_3204 Depth=2
	s_and_not1_saveexec_b32 s14, s14
	s_cbranch_execz .LBB6_3252
; %bb.3251:                             ;   in Loop: Header=BB6_3204 Depth=2
	s_waitcnt lgkmcnt(0)
	s_waitcnt_vscnt null, 0x0
	buffer_gl1_inv
	buffer_gl0_inv
	s_barrier
.LBB6_3252:                             ;   in Loop: Header=BB6_3204 Depth=2
	s_or_b32 exec_lo, exec_lo, s14
.LBB6_3253:                             ;   in Loop: Header=BB6_3204 Depth=2
	s_delay_alu instid0(SALU_CYCLE_1)
	s_or_b32 exec_lo, exec_lo, s13
	s_cbranch_execnz .LBB6_3613
; %bb.3254:                             ;   in Loop: Header=BB6_3204 Depth=2
	ds_load_b32 v12, v0
	v_and_b32_e32 v2, 0x4000, v30
	s_xor_b32 s13, s2, -1
	s_delay_alu instid0(VALU_DEP_1) | instskip(SKIP_1) | instid1(SALU_CYCLE_1)
	v_cmp_ne_u32_e32 vcc_lo, 0, v2
	s_and_b32 s14, s13, vcc_lo
	s_and_saveexec_b32 s13, s14
	s_cbranch_execz .LBB6_3276
; %bb.3255:                             ;   in Loop: Header=BB6_3204 Depth=2
	s_and_saveexec_b32 s14, s4
	s_delay_alu instid0(SALU_CYCLE_1)
	s_xor_b32 s14, exec_lo, s14
	s_cbranch_execz .LBB6_3273
; %bb.3256:                             ;   in Loop: Header=BB6_3204 Depth=2
	s_and_saveexec_b32 s36, s1
	s_cbranch_execz .LBB6_3272
; %bb.3257:                             ;   in Loop: Header=BB6_3204 Depth=2
	s_mov_b32 s38, exec_lo
	s_mov_b32 s37, exec_lo
	v_mbcnt_lo_u32_b32 v2, s38, 0
	s_waitcnt lgkmcnt(0)
	s_waitcnt_vscnt null, 0x0
	buffer_gl1_inv
	buffer_gl0_inv
	v_cmpx_eq_u32_e32 0, v2
	s_cbranch_execz .LBB6_3259
; %bb.3258:                             ;   in Loop: Header=BB6_3204 Depth=2
	s_bcnt1_i32_b32 vcc_lo, s38
	s_delay_alu instid0(SALU_CYCLE_1)
	v_mov_b32_e32 v2, vcc_lo
	ds_add_u64 v0, v[2:3]
	s_cbranch_execnz .LBB6_3815
.LBB6_3259:                             ;   in Loop: Header=BB6_3204 Depth=2
	s_or_b32 exec_lo, exec_lo, s37
	s_cbranch_execnz .LBB6_3797
; %bb.3260:                             ;   in Loop: Header=BB6_3204 Depth=2
	ds_load_b64 v[13:14], v0
	v_add_co_u32 v80, vcc_lo, v80, v145
	v_add_co_ci_u32_e32 v81, vcc_lo, 0, v81, vcc_lo
	s_mov_b32 s37, exec_lo
	s_waitcnt lgkmcnt(0)
	s_delay_alu instid0(VALU_DEP_1)
	v_cmpx_lt_u64_e64 v[13:14], v[80:81]
	s_cbranch_execz .LBB6_3271
; %bb.3261:                             ;   in Loop: Header=BB6_3204 Depth=2
	s_mov_b32 s38, 0
	s_mov_b32 s41, 0
                                        ; implicit-def: $sgpr39
                                        ; implicit-def: $sgpr40
	s_branch .LBB6_3263
.LBB6_3262:                             ;   in Loop: Header=BB6_3263 Depth=3
	s_or_b32 exec_lo, exec_lo, s43
	s_delay_alu instid0(SALU_CYCLE_1) | instskip(NEXT) | instid1(SALU_CYCLE_1)
	s_and_b32 vcc_lo, exec_lo, vcc_lo
	s_or_b32 s38, vcc_lo, s38
	s_and_not1_b32 vcc_lo, s39, exec_lo
	s_and_b32 s39, s40, exec_lo
	s_delay_alu instid0(SALU_CYCLE_1)
	s_or_b32 s39, vcc_lo, s39
	s_and_not1_b32 exec_lo, exec_lo, s38
	s_cbranch_execz .LBB6_3269
.LBB6_3263:                             ;   Parent Loop BB6_51 Depth=1
                                        ;     Parent Loop BB6_3204 Depth=2
                                        ; =>    This Inner Loop Header: Depth=3
	s_add_i32 s41, s41, 1
                                        ; implicit-def: $sgpr43
	s_delay_alu instid0(SALU_CYCLE_1) | instskip(SKIP_1) | instid1(SALU_CYCLE_1)
	s_cmpk_lg_i32 s41, 0x2710
	s_cselect_b32 s42, -1, 0
	s_and_b32 vcc_lo, exec_lo, s42
	s_cbranch_vccz .LBB6_3267
.LBB6_3264:                             ;   in Loop: Header=BB6_3263 Depth=3
	s_and_not1_b32 s40, s40, exec_lo
	s_and_b32 s43, s43, exec_lo
	s_mov_b32 vcc_lo, -1
	s_or_b32 s40, s40, s43
	s_and_saveexec_b32 s43, s42
	s_cbranch_execz .LBB6_3262
; %bb.3265:                             ;   in Loop: Header=BB6_3263 Depth=3
	s_sleep 1
	s_cbranch_execnz .LBB6_3881
; %bb.3266:                             ;   in Loop: Header=BB6_3263 Depth=3
	ds_load_b64 v[13:14], v0
	s_and_not1_b32 s40, s40, exec_lo
	s_waitcnt lgkmcnt(0)
	v_cmp_ge_u64_e32 vcc_lo, v[13:14], v[80:81]
	s_or_not1_b32 vcc_lo, vcc_lo, exec_lo
	s_branch .LBB6_3262
.LBB6_3267:                             ;   in Loop: Header=BB6_3263 Depth=3
	s_cbranch_execnz .LBB6_3893
; %bb.3268:                             ;   in Loop: Header=BB6_3263 Depth=3
	ds_load_b64 v[13:14], v0
	s_and_not1_b32 s42, s42, exec_lo
	s_mov_b32 s41, 0
	s_mov_b32 s43, -1
	s_waitcnt lgkmcnt(0)
	flat_load_b32 v2, v[13:14] glc
	s_waitcnt vmcnt(0) lgkmcnt(0)
	buffer_gl1_inv
	buffer_gl0_inv
	v_cmp_eq_u32_e32 vcc_lo, 0, v2
	s_and_b32 vcc_lo, vcc_lo, exec_lo
	s_delay_alu instid0(SALU_CYCLE_1)
	s_or_b32 s42, s42, vcc_lo
	s_branch .LBB6_3264
.LBB6_3269:                             ;   in Loop: Header=BB6_3204 Depth=2
	s_or_b32 exec_lo, exec_lo, s38
	s_and_saveexec_b32 vcc_lo, s39
	s_delay_alu instid0(SALU_CYCLE_1)
	s_xor_b32 vcc_lo, exec_lo, vcc_lo
	s_cbranch_execz .LBB6_3271
; %bb.3270:                             ;   in Loop: Header=BB6_3204 Depth=2
	ds_store_b32 v0, v182
	s_cbranch_execnz .LBB6_3979
.LBB6_3271:                             ;   in Loop: Header=BB6_3204 Depth=2
	s_or_b32 exec_lo, exec_lo, s37
	;;#ASMSTART
	s_wakeup
	;;#ASMEND
.LBB6_3272:                             ;   in Loop: Header=BB6_3204 Depth=2
	s_or_b32 exec_lo, exec_lo, s36
.LBB6_3273:                             ;   in Loop: Header=BB6_3204 Depth=2
	s_and_not1_saveexec_b32 s14, s14
	s_cbranch_execz .LBB6_3275
; %bb.3274:                             ;   in Loop: Header=BB6_3204 Depth=2
	s_waitcnt lgkmcnt(0)
	s_waitcnt_vscnt null, 0x0
	buffer_gl1_inv
	buffer_gl0_inv
	s_barrier
.LBB6_3275:                             ;   in Loop: Header=BB6_3204 Depth=2
	s_or_b32 exec_lo, exec_lo, s14
.LBB6_3276:                             ;   in Loop: Header=BB6_3204 Depth=2
	s_delay_alu instid0(SALU_CYCLE_1)
	s_or_b32 exec_lo, exec_lo, s13
	s_cbranch_execnz .LBB6_3671
; %bb.3277:                             ;   in Loop: Header=BB6_3204 Depth=2
	ds_load_b64 v[13:14], v0
	v_sub_nc_u32_e32 v2, v16, v8
	v_mov_b32_e32 v9, 0
	s_delay_alu instid0(VALU_DEP_2) | instskip(SKIP_3) | instid1(SALU_CYCLE_1)
	v_min_i32_e32 v17, v17, v2
	s_waitcnt lgkmcnt(0)
	v_cmp_eq_u64_e32 vcc_lo, 0, v[13:14]
	s_or_b32 s13, vcc_lo, vcc_lo
	s_and_b32 vcc_lo, exec_lo, s13
	s_cbranch_vccnz .LBB6_3312
; %bb.3278:                             ;   in Loop: Header=BB6_3204 Depth=2
	s_mov_b32 s13, -1
	s_and_saveexec_b32 s14, s6
	s_cbranch_execz .LBB6_3280
; %bb.3279:                             ;   in Loop: Header=BB6_3204 Depth=2
	ds_load_b32 v2, v0 offset:720
	s_waitcnt lgkmcnt(0)
	v_and_b32_e32 v2, 15, v2
	s_delay_alu instid0(VALU_DEP_1)
	v_cmp_eq_u32_e32 vcc_lo, 0, v2
	s_or_not1_b32 s13, vcc_lo, exec_lo
.LBB6_3280:                             ;   in Loop: Header=BB6_3204 Depth=2
	s_or_b32 exec_lo, exec_lo, s14
	s_and_saveexec_b32 s14, s5
	s_cbranch_execz .LBB6_3282
; %bb.3281:                             ;   in Loop: Header=BB6_3204 Depth=2
	ds_load_b32 v2, v0 offset:784
	s_waitcnt lgkmcnt(0)
	v_and_b32_e32 v2, 15, v2
	s_delay_alu instid0(VALU_DEP_1) | instskip(SKIP_3) | instid1(SALU_CYCLE_1)
	v_cmp_eq_u32_e32 vcc_lo, 0, v2
	s_and_b32 vcc_lo, s13, vcc_lo
	s_and_not1_b32 s13, s13, exec_lo
	s_and_b32 vcc_lo, vcc_lo, exec_lo
	s_or_b32 s13, s13, vcc_lo
.LBB6_3282:                             ;   in Loop: Header=BB6_3204 Depth=2
	s_or_b32 exec_lo, exec_lo, s14
	v_cmp_eq_u32_e32 vcc_lo, 0, v12
	s_xor_b32 s13, s13, -1
	v_mov_b32_e32 v18, 0
	v_cndmask_b32_e64 v2, 0, 1, s13
	;;#ASMSTART
	;;#ASMEND
	v_cndmask_b32_e32 v9, 0, v17, vcc_lo
	s_delay_alu instid0(VALU_DEP_2) | instskip(SKIP_1) | instid1(VALU_DEP_2)
	v_cmp_ne_u32_e32 vcc_lo, 0, v2
	s_mov_b32 s13, -1
	v_lshlrev_b32_e32 v2, 1, v9
	s_cbranch_vccz .LBB6_3284
; %bb.3283:                             ;   in Loop: Header=BB6_3204 Depth=2
	v_dual_mov_b32 v19, v0 :: v_dual_mov_b32 v22, v135
	s_branch .LBB6_3299
.LBB6_3284:                             ;   in Loop: Header=BB6_3204 Depth=2
	s_delay_alu instid0(VALU_DEP_1) | instskip(SKIP_1) | instid1(VALU_DEP_1)
	v_ashrrev_i32_e32 v12, 31, v2
	s_mov_b32 s13, exec_lo
	v_lshrrev_b32_e32 v12, 20, v12
	s_delay_alu instid0(VALU_DEP_1) | instskip(NEXT) | instid1(VALU_DEP_1)
	v_add_nc_u32_e32 v12, v2, v12
	v_ashrrev_i32_e32 v18, 12, v12
	s_delay_alu instid0(VALU_DEP_1) | instskip(NEXT) | instid1(VALU_DEP_1)
	v_sub_nc_u32_e32 v20, v18, v135
	v_cmpx_lt_i32_e32 0, v20
	s_cbranch_execz .LBB6_3289
; %bb.3285:                             ;   in Loop: Header=BB6_3204 Depth=2
	s_cbranch_execnz .LBB6_3849
; %bb.3286:                             ;   in Loop: Header=BB6_3204 Depth=2
	ds_load_b64 v[12:13], v0
	s_mov_b32 s14, 0
	s_waitcnt lgkmcnt(0)
	v_dual_mov_b32 v15, v13 :: v_dual_mov_b32 v14, v12
.LBB6_3287:                             ;   Parent Loop BB6_51 Depth=1
                                        ;     Parent Loop BB6_3204 Depth=2
                                        ; =>    This Inner Loop Header: Depth=3
	s_delay_alu instid0(VALU_DEP_1) | instskip(NEXT) | instid1(VALU_DEP_2)
	v_add_co_u32 v25, vcc_lo, v146, v14
	v_add_co_ci_u32_e32 v26, vcc_lo, v148, v15, vcc_lo
	v_sub_nc_u32_e32 v20, v20, v145
	s_clause 0x7
	global_load_b128 v[21:24], v[25:26], off slc dlc
	global_load_b128 v[32:35], v[25:26], off offset:512 slc dlc
	global_load_b128 v[36:39], v[25:26], off offset:1024 slc dlc
	;; [unrolled: 1-line block ×7, first 2 shown]
	v_add_co_u32 v25, vcc_lo, v146, v12
	v_add_co_ci_u32_e32 v26, vcc_lo, v148, v13, vcc_lo
	v_add_co_u32 v14, vcc_lo, v14, v150
	v_add_co_ci_u32_e32 v15, vcc_lo, v15, v151, vcc_lo
	;; [unrolled: 2-line block ×3, first 2 shown]
	v_cmp_gt_i32_e32 vcc_lo, 1, v20
	s_waitcnt vmcnt(7)
	global_store_b128 v[25:26], v[21:24], off glc slc dlc
	s_waitcnt vmcnt(6)
	global_store_b128 v[25:26], v[32:35], off offset:512 glc slc dlc
	s_waitcnt vmcnt(5)
	global_store_b128 v[25:26], v[36:39], off offset:1024 glc slc dlc
	s_waitcnt vmcnt(4)
	global_store_b128 v[25:26], v[48:51], off offset:1536 glc slc dlc
	s_waitcnt vmcnt(3)
	global_store_b128 v[25:26], v[98:101], off offset:2048 glc slc dlc
	s_waitcnt vmcnt(2)
	global_store_b128 v[25:26], v[112:115], off offset:2560 glc slc dlc
	s_waitcnt vmcnt(1)
	global_store_b128 v[25:26], v[116:119], off offset:3072 glc slc dlc
	s_waitcnt vmcnt(0)
	global_store_b128 v[25:26], v[128:131], off offset:3584 glc slc dlc
	s_or_b32 s14, vcc_lo, s14
	s_delay_alu instid0(SALU_CYCLE_1)
	s_and_not1_b32 exec_lo, exec_lo, s14
	s_cbranch_execnz .LBB6_3287
; %bb.3288:                             ;   in Loop: Header=BB6_3204 Depth=2
	s_or_b32 exec_lo, exec_lo, s14
.LBB6_3289:                             ;   in Loop: Header=BB6_3204 Depth=2
	s_delay_alu instid0(SALU_CYCLE_1) | instskip(SKIP_4) | instid1(VALU_DEP_2)
	s_or_b32 exec_lo, exec_lo, s13
	v_lshlrev_b32_e32 v14, 12, v18
	v_mov_b32_e32 v18, 0
	s_mov_b32 s13, 0
	s_mov_b32 s36, exec_lo
                                        ; implicit-def: $vgpr19
                                        ; implicit-def: $vgpr22
	v_cmpx_ne_u32_e64 v2, v14
	s_cbranch_execz .LBB6_3298
; %bb.3290:                             ;   in Loop: Header=BB6_3204 Depth=2
	v_lshlrev_b32_e32 v12, 5, v20
	v_sub_nc_u32_e32 v18, v2, v14
	s_mov_b32 s37, exec_lo
	s_delay_alu instid0(VALU_DEP_2) | instskip(NEXT) | instid1(VALU_DEP_2)
	v_sub_nc_u32_e32 v12, v144, v12
	v_ashrrev_i32_e32 v15, 31, v18
	s_delay_alu instid0(VALU_DEP_2) | instskip(NEXT) | instid1(VALU_DEP_2)
	v_ashrrev_i32_e32 v13, 31, v12
	v_lshrrev_b32_e32 v15, 23, v15
	s_delay_alu instid0(VALU_DEP_2) | instskip(NEXT) | instid1(VALU_DEP_2)
	v_lshrrev_b32_e32 v13, 27, v13
	v_add_nc_u32_e32 v22, v18, v15
	s_delay_alu instid0(VALU_DEP_2) | instskip(NEXT) | instid1(VALU_DEP_2)
	v_add_nc_u32_e32 v13, v12, v13
	v_and_b32_e32 v15, 0xfffffe00, v22
	v_ashrrev_i32_e32 v22, 9, v22
	s_delay_alu instid0(VALU_DEP_3) | instskip(NEXT) | instid1(VALU_DEP_3)
	v_and_b32_e32 v19, 0xffffffe0, v13
	v_sub_nc_u32_e32 v21, v18, v15
	s_delay_alu instid0(VALU_DEP_2) | instskip(SKIP_1) | instid1(VALU_DEP_3)
	v_sub_nc_u32_e32 v20, v12, v19
	v_ashrrev_i32_e32 v12, 5, v13
	v_cmp_lt_i32_e32 vcc_lo, 15, v21
	s_delay_alu instid0(VALU_DEP_3) | instskip(NEXT) | instid1(VALU_DEP_1)
	v_lshlrev_b32_e32 v13, 4, v20
	v_lshl_add_u32 v19, v12, 9, v13
	v_add_co_ci_u32_e64 v13, s13, 0, v22, vcc_lo
	s_delay_alu instid0(VALU_DEP_2) | instskip(NEXT) | instid1(VALU_DEP_2)
	v_sub_nc_u32_e32 v18, v18, v19
	v_sub_nc_u32_e32 v23, v13, v12
	s_delay_alu instid0(VALU_DEP_2)
	v_cmpx_lt_i32_e32 15, v18
	s_cbranch_execz .LBB6_3295
; %bb.3291:                             ;   in Loop: Header=BB6_3204 Depth=2
	s_cbranch_execnz .LBB6_3905
; %bb.3292:                             ;   in Loop: Header=BB6_3204 Depth=2
	ds_load_b64 v[12:13], v0
	v_add_nc_u32_e32 v19, v19, v14
	s_mov_b32 s38, 0
	s_delay_alu instid0(VALU_DEP_1)
	v_ashrrev_i32_e32 v22, 31, v19
.LBB6_3293:                             ;   Parent Loop BB6_51 Depth=1
                                        ;     Parent Loop BB6_3204 Depth=2
                                        ; =>    This Inner Loop Header: Depth=3
	s_waitcnt lgkmcnt(0)
	v_add_co_u32 v32, s13, v12, v19
	s_delay_alu instid0(VALU_DEP_1)
	v_add_co_ci_u32_e64 v33, s13, v13, v22, s13
	v_sub_nc_u32_e32 v18, v18, v147
	v_add_co_u32 v19, s14, v19, v162
	global_load_b128 v[24:27], v[32:33], off slc dlc
	v_sub_nc_u32_e32 v23, v23, v145
	v_cmp_gt_i32_e64 s13, 16, v18
	v_add_co_ci_u32_e64 v22, s14, v22, v163, s14
	s_delay_alu instid0(VALU_DEP_2)
	s_or_b32 s38, s13, s38
	s_waitcnt vmcnt(0)
	global_store_b128 v[32:33], v[24:27], off glc slc dlc
	s_and_not1_b32 exec_lo, exec_lo, s38
	s_cbranch_execnz .LBB6_3293
; %bb.3294:                             ;   in Loop: Header=BB6_3204 Depth=2
	s_or_b32 exec_lo, exec_lo, s38
.LBB6_3295:                             ;   in Loop: Header=BB6_3204 Depth=2
	s_delay_alu instid0(SALU_CYCLE_1) | instskip(SKIP_4) | instid1(VALU_DEP_2)
	s_or_b32 exec_lo, exec_lo, s37
	v_and_b32_e32 v12, 14, v2
	v_mov_b32_e32 v18, 0
	s_mov_b32 s14, 0
	s_mov_b32 s37, exec_lo
                                        ; implicit-def: $vgpr19
                                        ; implicit-def: $vgpr22
	v_cndmask_b32_e32 v2, v21, v12, vcc_lo
	s_delay_alu instid0(VALU_DEP_1)
	v_cmpx_ne_u32_e32 0, v2
; %bb.3296:                             ;   in Loop: Header=BB6_3204 Depth=2
	v_cmp_lt_i32_e64 s13, 0, v23
	v_sub_nc_u32_e32 v12, v21, v12
	s_mov_b32 s14, exec_lo
	s_delay_alu instid0(VALU_DEP_2) | instskip(NEXT) | instid1(VALU_DEP_1)
	v_cndmask_b32_e64 v13, 0, v145, s13
	v_sub_nc_u32_e32 v13, v13, v23
	s_delay_alu instid0(VALU_DEP_1) | instskip(NEXT) | instid1(VALU_DEP_1)
	v_lshl_add_u32 v19, v13, 5, v20
	v_ashrrev_i32_e32 v13, 31, v19
	s_delay_alu instid0(VALU_DEP_1) | instskip(NEXT) | instid1(VALU_DEP_1)
	v_lshrrev_b32_e32 v13, 27, v13
	v_dual_cndmask_b32 v12, 0, v12 :: v_dual_add_nc_u32 v13, v19, v13
	s_delay_alu instid0(VALU_DEP_1) | instskip(NEXT) | instid1(VALU_DEP_2)
	v_add3_u32 v18, v15, v14, v12
	v_ashrrev_i32_e32 v22, 5, v13
; %bb.3297:                             ;   in Loop: Header=BB6_3204 Depth=2
	s_or_b32 exec_lo, exec_lo, s37
	s_delay_alu instid0(SALU_CYCLE_1)
	s_and_b32 s13, s14, exec_lo
.LBB6_3298:                             ;   in Loop: Header=BB6_3204 Depth=2
	s_or_b32 exec_lo, exec_lo, s36
.LBB6_3299:                             ;   in Loop: Header=BB6_3204 Depth=2
	s_and_saveexec_b32 s14, s13
	s_cbranch_execz .LBB6_3311
; %bb.3300:                             ;   in Loop: Header=BB6_3204 Depth=2
	v_ashrrev_i32_e32 v12, 31, v2
	s_mov_b32 s13, exec_lo
	s_delay_alu instid0(VALU_DEP_1) | instskip(NEXT) | instid1(VALU_DEP_1)
	v_lshrrev_b32_e32 v12, 22, v12
	v_add_nc_u32_e32 v12, v2, v12
	s_delay_alu instid0(VALU_DEP_1) | instskip(NEXT) | instid1(VALU_DEP_1)
	v_ashrrev_i32_e32 v21, 10, v12
	v_sub_nc_u32_e32 v20, v21, v22
	s_delay_alu instid0(VALU_DEP_1)
	v_cmpx_lt_i32_e32 0, v20
	s_cbranch_execz .LBB6_3305
; %bb.3301:                             ;   in Loop: Header=BB6_3204 Depth=2
	s_cbranch_execnz .LBB6_3839
; %bb.3302:                             ;   in Loop: Header=BB6_3204 Depth=2
	v_ashrrev_i32_e32 v12, 31, v19
	s_mov_b32 s36, 0
	s_delay_alu instid0(VALU_DEP_1) | instskip(NEXT) | instid1(VALU_DEP_1)
	v_lshrrev_b32_e32 v12, 27, v12
	v_add_nc_u32_e32 v12, v19, v12
	s_delay_alu instid0(VALU_DEP_1) | instskip(SKIP_3) | instid1(VALU_DEP_1)
	v_and_b32_e32 v14, 0x7fffffe0, v12
	ds_load_b64 v[12:13], v0
	v_lshlrev_b32_e32 v15, 10, v22
	v_sub_nc_u32_e32 v14, v19, v14
	v_lshlrev_b32_e32 v14, 1, v14
	s_delay_alu instid0(VALU_DEP_1) | instskip(NEXT) | instid1(VALU_DEP_1)
	v_add3_u32 v22, v14, v18, v15
	v_ashrrev_i32_e32 v23, 31, v22
	s_waitcnt lgkmcnt(0)
	v_dual_mov_b32 v15, v13 :: v_dual_mov_b32 v14, v12
.LBB6_3303:                             ;   Parent Loop BB6_51 Depth=1
                                        ;     Parent Loop BB6_3204 Depth=2
                                        ; =>    This Inner Loop Header: Depth=3
	s_delay_alu instid0(VALU_DEP_1) | instskip(NEXT) | instid1(VALU_DEP_2)
	v_add_co_u32 v24, vcc_lo, v22, v14
	v_add_co_ci_u32_e32 v25, vcc_lo, v23, v15, vcc_lo
	v_sub_nc_u32_e32 v20, v20, v145
	s_clause 0xf
	flat_load_u16 v26, v[24:25] slc dlc
	flat_load_u16 v27, v[24:25] offset:64 slc dlc
	flat_load_u16 v32, v[24:25] offset:128 slc dlc
	;; [unrolled: 1-line block ×15, first 2 shown]
	v_add_co_u32 v24, vcc_lo, v22, v12
	v_add_co_ci_u32_e32 v25, vcc_lo, v23, v13, vcc_lo
	v_add_co_u32 v14, vcc_lo, v14, v165
	v_add_co_ci_u32_e32 v15, vcc_lo, v15, v166, vcc_lo
	;; [unrolled: 2-line block ×3, first 2 shown]
	v_cmp_gt_i32_e32 vcc_lo, 1, v20
	s_waitcnt vmcnt(15) lgkmcnt(15)
	flat_store_b16 v[24:25], v26 glc slc dlc
	s_waitcnt vmcnt(14) lgkmcnt(15)
	flat_store_b16 v[24:25], v27 offset:64 glc slc dlc
	s_waitcnt vmcnt(13) lgkmcnt(15)
	flat_store_b16 v[24:25], v32 offset:128 glc slc dlc
	s_waitcnt vmcnt(12) lgkmcnt(15)
	flat_store_b16 v[24:25], v33 offset:192 glc slc dlc
	s_waitcnt vmcnt(11) lgkmcnt(15)
	flat_store_b16 v[24:25], v34 offset:256 glc slc dlc
	s_waitcnt vmcnt(10) lgkmcnt(15)
	flat_store_b16 v[24:25], v35 offset:320 glc slc dlc
	s_waitcnt vmcnt(9) lgkmcnt(15)
	flat_store_b16 v[24:25], v36 offset:384 glc slc dlc
	s_waitcnt vmcnt(8) lgkmcnt(15)
	flat_store_b16 v[24:25], v37 offset:448 glc slc dlc
	s_waitcnt vmcnt(7) lgkmcnt(15)
	flat_store_b16 v[24:25], v38 offset:512 glc slc dlc
	s_waitcnt vmcnt(6) lgkmcnt(15)
	flat_store_b16 v[24:25], v39 offset:576 glc slc dlc
	s_waitcnt vmcnt(5) lgkmcnt(15)
	flat_store_b16 v[24:25], v48 offset:640 glc slc dlc
	s_waitcnt vmcnt(4) lgkmcnt(15)
	flat_store_b16 v[24:25], v49 offset:704 glc slc dlc
	s_waitcnt vmcnt(3) lgkmcnt(15)
	flat_store_b16 v[24:25], v50 offset:768 glc slc dlc
	s_waitcnt vmcnt(2) lgkmcnt(15)
	flat_store_b16 v[24:25], v51 offset:832 glc slc dlc
	s_waitcnt vmcnt(1) lgkmcnt(15)
	flat_store_b16 v[24:25], v98 offset:896 glc slc dlc
	s_waitcnt vmcnt(0) lgkmcnt(15)
	flat_store_b16 v[24:25], v99 offset:960 glc slc dlc
	s_or_b32 s36, vcc_lo, s36
	s_delay_alu instid0(SALU_CYCLE_1)
	s_and_not1_b32 exec_lo, exec_lo, s36
	s_cbranch_execnz .LBB6_3303
; %bb.3304:                             ;   in Loop: Header=BB6_3204 Depth=2
	s_or_b32 exec_lo, exec_lo, s36
.LBB6_3305:                             ;   in Loop: Header=BB6_3204 Depth=2
	s_delay_alu instid0(SALU_CYCLE_1) | instskip(SKIP_2) | instid1(VALU_DEP_1)
	s_or_b32 exec_lo, exec_lo, s13
	v_lshlrev_b32_e32 v12, 10, v21
	s_mov_b32 s36, exec_lo
	v_cmpx_ne_u32_e64 v2, v12
	s_cbranch_execz .LBB6_3310
; %bb.3306:                             ;   in Loop: Header=BB6_3204 Depth=2
	v_ashrrev_i32_e32 v13, 31, v19
	v_lshlrev_b32_e32 v14, 5, v20
	s_delay_alu instid0(VALU_DEP_2) | instskip(NEXT) | instid1(VALU_DEP_1)
	v_lshrrev_b32_e32 v13, 27, v13
	v_add_nc_u32_e32 v13, v19, v13
	s_delay_alu instid0(VALU_DEP_1) | instskip(NEXT) | instid1(VALU_DEP_1)
	v_and_b32_e32 v13, 0xffffffe0, v13
	v_sub_nc_u32_e32 v13, v19, v13
	s_delay_alu instid0(VALU_DEP_1) | instskip(NEXT) | instid1(VALU_DEP_1)
	v_sub_nc_u32_e32 v13, v13, v14
	v_ashrrev_i32_e32 v14, 31, v13
	s_delay_alu instid0(VALU_DEP_1) | instskip(NEXT) | instid1(VALU_DEP_1)
	v_lshrrev_b32_e32 v14, 27, v14
	v_add_nc_u32_e32 v14, v13, v14
	s_delay_alu instid0(VALU_DEP_1) | instskip(SKIP_1) | instid1(VALU_DEP_2)
	v_and_b32_e32 v15, 0x7fffffe0, v14
	v_lshlrev_b32_e32 v14, 1, v14
	v_sub_nc_u32_e32 v13, v13, v15
	s_delay_alu instid0(VALU_DEP_2) | instskip(NEXT) | instid1(VALU_DEP_2)
	v_and_b32_e32 v14, 0xffffffc0, v14
	v_lshlrev_b32_e32 v13, 1, v13
	s_delay_alu instid0(VALU_DEP_1) | instskip(NEXT) | instid1(VALU_DEP_1)
	v_add3_u32 v14, v14, v13, v12
	v_sub_nc_u32_e32 v2, v2, v14
	s_delay_alu instid0(VALU_DEP_1)
	v_cmp_lt_i32_e32 vcc_lo, 1, v2
	s_and_b32 exec_lo, exec_lo, vcc_lo
	s_cbranch_execz .LBB6_3310
; %bb.3307:                             ;   in Loop: Header=BB6_3204 Depth=2
	s_cbranch_execnz .LBB6_3899
; %bb.3308:                             ;   in Loop: Header=BB6_3204 Depth=2
	ds_load_b64 v[12:13], v0
	v_add_nc_u32_e32 v14, v14, v18
	s_mov_b32 s37, 0
	s_delay_alu instid0(VALU_DEP_1)
	v_ashrrev_i32_e32 v15, 31, v14
.LBB6_3309:                             ;   Parent Loop BB6_51 Depth=1
                                        ;     Parent Loop BB6_3204 Depth=2
                                        ; =>    This Inner Loop Header: Depth=3
	s_waitcnt lgkmcnt(0)
	v_add_co_u32 v18, vcc_lo, v12, v14
	s_delay_alu instid0(VALU_DEP_2)
	v_add_co_ci_u32_e32 v19, vcc_lo, v13, v15, vcc_lo
	v_sub_nc_u32_e32 v2, v2, v161
	v_add_co_u32 v14, s13, v14, v176
	flat_load_u16 v20, v[18:19] slc dlc
	v_add_co_ci_u32_e64 v15, s13, v15, v177, s13
	v_cmp_gt_i32_e32 vcc_lo, 2, v2
	s_or_b32 s37, vcc_lo, s37
	s_waitcnt vmcnt(0) lgkmcnt(0)
	flat_store_b16 v[18:19], v20 glc slc dlc
	s_and_not1_b32 exec_lo, exec_lo, s37
	s_cbranch_execnz .LBB6_3309
.LBB6_3310:                             ;   in Loop: Header=BB6_3204 Depth=2
	s_or_b32 exec_lo, exec_lo, s36
.LBB6_3311:                             ;   in Loop: Header=BB6_3204 Depth=2
	s_delay_alu instid0(SALU_CYCLE_1)
	s_or_b32 exec_lo, exec_lo, s14
.LBB6_3312:                             ;   in Loop: Header=BB6_3204 Depth=2
	s_and_saveexec_b32 s13, s3
	s_cbranch_execz .LBB6_3334
; %bb.3313:                             ;   in Loop: Header=BB6_3204 Depth=2
	s_and_saveexec_b32 s14, s4
	s_delay_alu instid0(SALU_CYCLE_1)
	s_xor_b32 s14, exec_lo, s14
	s_cbranch_execz .LBB6_3331
; %bb.3314:                             ;   in Loop: Header=BB6_3204 Depth=2
	s_and_saveexec_b32 s36, s1
	s_cbranch_execz .LBB6_3330
; %bb.3315:                             ;   in Loop: Header=BB6_3204 Depth=2
	s_mov_b32 s38, exec_lo
	s_mov_b32 s37, exec_lo
	v_mbcnt_lo_u32_b32 v2, s38, 0
	s_waitcnt lgkmcnt(0)
	s_waitcnt_vscnt null, 0x0
	buffer_gl1_inv
	buffer_gl0_inv
	v_cmpx_eq_u32_e32 0, v2
	s_cbranch_execz .LBB6_3317
; %bb.3316:                             ;   in Loop: Header=BB6_3204 Depth=2
	s_bcnt1_i32_b32 vcc_lo, s38
	s_delay_alu instid0(SALU_CYCLE_1)
	v_mov_b32_e32 v2, vcc_lo
	ds_add_u64 v0, v[2:3]
	s_cbranch_execnz .LBB6_3885
.LBB6_3317:                             ;   in Loop: Header=BB6_3204 Depth=2
	s_or_b32 exec_lo, exec_lo, s37
	s_cbranch_execnz .LBB6_3859
; %bb.3318:                             ;   in Loop: Header=BB6_3204 Depth=2
	ds_load_b64 v[12:13], v0
	v_add_co_u32 v80, vcc_lo, v80, v145
	v_add_co_ci_u32_e32 v81, vcc_lo, 0, v81, vcc_lo
	s_mov_b32 s37, exec_lo
	s_waitcnt lgkmcnt(0)
	s_delay_alu instid0(VALU_DEP_1)
	v_cmpx_lt_u64_e64 v[12:13], v[80:81]
	s_cbranch_execz .LBB6_3329
; %bb.3319:                             ;   in Loop: Header=BB6_3204 Depth=2
	s_mov_b32 s38, 0
	s_mov_b32 s41, 0
                                        ; implicit-def: $sgpr39
                                        ; implicit-def: $sgpr40
	s_branch .LBB6_3321
.LBB6_3320:                             ;   in Loop: Header=BB6_3321 Depth=3
	s_or_b32 exec_lo, exec_lo, s43
	s_delay_alu instid0(SALU_CYCLE_1) | instskip(NEXT) | instid1(SALU_CYCLE_1)
	s_and_b32 vcc_lo, exec_lo, vcc_lo
	s_or_b32 s38, vcc_lo, s38
	s_and_not1_b32 vcc_lo, s39, exec_lo
	s_and_b32 s39, s40, exec_lo
	s_delay_alu instid0(SALU_CYCLE_1)
	s_or_b32 s39, vcc_lo, s39
	s_and_not1_b32 exec_lo, exec_lo, s38
	s_cbranch_execz .LBB6_3327
.LBB6_3321:                             ;   Parent Loop BB6_51 Depth=1
                                        ;     Parent Loop BB6_3204 Depth=2
                                        ; =>    This Inner Loop Header: Depth=3
	s_add_i32 s41, s41, 1
                                        ; implicit-def: $sgpr43
	s_delay_alu instid0(SALU_CYCLE_1) | instskip(SKIP_1) | instid1(SALU_CYCLE_1)
	s_cmpk_lg_i32 s41, 0x2710
	s_cselect_b32 s42, -1, 0
	s_and_b32 vcc_lo, exec_lo, s42
	s_cbranch_vccnz .LBB6_3324
; %bb.3322:                             ;   in Loop: Header=BB6_3321 Depth=3
	s_cbranch_execnz .LBB6_3929
; %bb.3323:                             ;   in Loop: Header=BB6_3321 Depth=3
	ds_load_b64 v[12:13], v0
	s_and_not1_b32 s42, s42, exec_lo
	s_mov_b32 s41, 0
	s_mov_b32 s43, -1
	s_waitcnt lgkmcnt(0)
	flat_load_b32 v2, v[12:13] glc
	s_waitcnt vmcnt(0) lgkmcnt(0)
	buffer_gl1_inv
	buffer_gl0_inv
	v_cmp_eq_u32_e32 vcc_lo, 0, v2
	s_and_b32 vcc_lo, vcc_lo, exec_lo
	s_delay_alu instid0(SALU_CYCLE_1)
	s_or_b32 s42, s42, vcc_lo
.LBB6_3324:                             ;   in Loop: Header=BB6_3321 Depth=3
	s_and_not1_b32 s40, s40, exec_lo
	s_and_b32 s43, s43, exec_lo
	s_mov_b32 vcc_lo, -1
	s_or_b32 s40, s40, s43
	s_and_saveexec_b32 s43, s42
	s_cbranch_execz .LBB6_3320
; %bb.3325:                             ;   in Loop: Header=BB6_3321 Depth=3
	s_sleep 1
	s_cbranch_execnz .LBB6_3917
; %bb.3326:                             ;   in Loop: Header=BB6_3321 Depth=3
	ds_load_b64 v[12:13], v0
	s_and_not1_b32 s40, s40, exec_lo
	s_waitcnt lgkmcnt(0)
	v_cmp_ge_u64_e32 vcc_lo, v[12:13], v[80:81]
	s_or_not1_b32 vcc_lo, vcc_lo, exec_lo
	s_branch .LBB6_3320
.LBB6_3327:                             ;   in Loop: Header=BB6_3204 Depth=2
	s_or_b32 exec_lo, exec_lo, s38
	s_and_saveexec_b32 vcc_lo, s39
	s_delay_alu instid0(SALU_CYCLE_1)
	s_xor_b32 vcc_lo, exec_lo, vcc_lo
	s_cbranch_execz .LBB6_3329
; %bb.3328:                             ;   in Loop: Header=BB6_3204 Depth=2
	ds_store_b32 v0, v182
	s_cbranch_execnz .LBB6_3983
.LBB6_3329:                             ;   in Loop: Header=BB6_3204 Depth=2
	s_or_b32 exec_lo, exec_lo, s37
	;;#ASMSTART
	s_wakeup
	;;#ASMEND
.LBB6_3330:                             ;   in Loop: Header=BB6_3204 Depth=2
	s_or_b32 exec_lo, exec_lo, s36
.LBB6_3331:                             ;   in Loop: Header=BB6_3204 Depth=2
	s_and_not1_saveexec_b32 s14, s14
	s_cbranch_execz .LBB6_3333
; %bb.3332:                             ;   in Loop: Header=BB6_3204 Depth=2
	s_waitcnt lgkmcnt(0)
	s_waitcnt_vscnt null, 0x0
	buffer_gl1_inv
	buffer_gl0_inv
	s_barrier
.LBB6_3333:                             ;   in Loop: Header=BB6_3204 Depth=2
	s_or_b32 exec_lo, exec_lo, s14
.LBB6_3334:                             ;   in Loop: Header=BB6_3204 Depth=2
	s_delay_alu instid0(SALU_CYCLE_1) | instskip(SKIP_1) | instid1(SALU_CYCLE_1)
	s_or_b32 exec_lo, exec_lo, s13
	s_and_saveexec_b32 s13, s7
	s_xor_b32 s14, exec_lo, s13
	s_cbranch_execz .LBB6_3338
; %bb.3335:                             ;   in Loop: Header=BB6_3204 Depth=2
	v_and_b32_e32 v2, 16, v30
	v_cmp_lt_i32_e32 vcc_lo, 0, v9
	s_delay_alu instid0(VALU_DEP_2) | instskip(NEXT) | instid1(VALU_DEP_1)
	v_cmp_ne_u32_e64 s13, 0, v2
	s_and_b32 vcc_lo, s13, vcc_lo
	s_delay_alu instid0(SALU_CYCLE_1)
	s_and_saveexec_b32 s13, vcc_lo
	s_cbranch_execz .LBB6_3337
; %bb.3336:                             ;   in Loop: Header=BB6_3204 Depth=2
	s_waitcnt lgkmcnt(0)
	s_waitcnt_vscnt null, 0x0
	buffer_gl1_inv
	buffer_gl0_inv
.LBB6_3337:                             ;   in Loop: Header=BB6_3204 Depth=2
	s_or_b32 exec_lo, exec_lo, s13
.LBB6_3338:                             ;   in Loop: Header=BB6_3204 Depth=2
	s_and_not1_saveexec_b32 s13, s14
	s_cbranch_execz .LBB6_3360
; %bb.3339:                             ;   in Loop: Header=BB6_3204 Depth=2
	s_and_saveexec_b32 s14, s4
	s_delay_alu instid0(SALU_CYCLE_1)
	s_xor_b32 s14, exec_lo, s14
	s_cbranch_execz .LBB6_3357
; %bb.3340:                             ;   in Loop: Header=BB6_3204 Depth=2
	s_and_saveexec_b32 s36, s1
	s_cbranch_execz .LBB6_3356
; %bb.3341:                             ;   in Loop: Header=BB6_3204 Depth=2
	s_mov_b32 s38, exec_lo
	s_mov_b32 s37, exec_lo
	v_mbcnt_lo_u32_b32 v2, s38, 0
	;;#ASMSTART
	s_waitcnt lgkmcnt(0) vmcnt(0)
	;;#ASMEND
	s_delay_alu instid0(VALU_DEP_1)
	v_cmpx_eq_u32_e32 0, v2
	s_cbranch_execz .LBB6_3343
; %bb.3342:                             ;   in Loop: Header=BB6_3204 Depth=2
	s_bcnt1_i32_b32 vcc_lo, s38
	s_delay_alu instid0(SALU_CYCLE_1)
	v_mov_b32_e32 v2, vcc_lo
	ds_add_u64 v0, v[2:3]
	s_cbranch_execnz .LBB6_3889
.LBB6_3343:                             ;   in Loop: Header=BB6_3204 Depth=2
	s_or_b32 exec_lo, exec_lo, s37
	s_cbranch_execnz .LBB6_3869
; %bb.3344:                             ;   in Loop: Header=BB6_3204 Depth=2
	ds_load_b64 v[12:13], v0
	v_add_co_u32 v80, vcc_lo, v80, v145
	v_add_co_ci_u32_e32 v81, vcc_lo, 0, v81, vcc_lo
	s_mov_b32 s37, exec_lo
	s_waitcnt lgkmcnt(0)
	s_delay_alu instid0(VALU_DEP_1)
	v_cmpx_lt_u64_e64 v[12:13], v[80:81]
	s_cbranch_execz .LBB6_3355
; %bb.3345:                             ;   in Loop: Header=BB6_3204 Depth=2
	s_mov_b32 s38, 0
	s_mov_b32 s41, 0
                                        ; implicit-def: $sgpr39
                                        ; implicit-def: $sgpr40
	s_branch .LBB6_3347
.LBB6_3346:                             ;   in Loop: Header=BB6_3347 Depth=3
	s_or_b32 exec_lo, exec_lo, s43
	s_delay_alu instid0(SALU_CYCLE_1) | instskip(NEXT) | instid1(SALU_CYCLE_1)
	s_and_b32 vcc_lo, exec_lo, vcc_lo
	s_or_b32 s38, vcc_lo, s38
	s_and_not1_b32 vcc_lo, s39, exec_lo
	s_and_b32 s39, s40, exec_lo
	s_delay_alu instid0(SALU_CYCLE_1)
	s_or_b32 s39, vcc_lo, s39
	s_and_not1_b32 exec_lo, exec_lo, s38
	s_cbranch_execz .LBB6_3353
.LBB6_3347:                             ;   Parent Loop BB6_51 Depth=1
                                        ;     Parent Loop BB6_3204 Depth=2
                                        ; =>    This Inner Loop Header: Depth=3
	s_add_i32 s41, s41, 1
                                        ; implicit-def: $sgpr43
	s_delay_alu instid0(SALU_CYCLE_1) | instskip(SKIP_1) | instid1(SALU_CYCLE_1)
	s_cmpk_lg_i32 s41, 0x2710
	s_cselect_b32 s42, -1, 0
	s_and_b32 vcc_lo, exec_lo, s42
	s_cbranch_vccz .LBB6_3351
.LBB6_3348:                             ;   in Loop: Header=BB6_3347 Depth=3
	s_and_not1_b32 s40, s40, exec_lo
	s_and_b32 s43, s43, exec_lo
	s_mov_b32 vcc_lo, -1
	s_or_b32 s40, s40, s43
	s_and_saveexec_b32 s43, s42
	s_cbranch_execz .LBB6_3346
; %bb.3349:                             ;   in Loop: Header=BB6_3347 Depth=3
	s_sleep 1
	s_cbranch_execnz .LBB6_3923
; %bb.3350:                             ;   in Loop: Header=BB6_3347 Depth=3
	ds_load_b64 v[12:13], v0
	s_and_not1_b32 s40, s40, exec_lo
	s_waitcnt lgkmcnt(0)
	v_cmp_ge_u64_e32 vcc_lo, v[12:13], v[80:81]
	s_or_not1_b32 vcc_lo, vcc_lo, exec_lo
	s_branch .LBB6_3346
.LBB6_3351:                             ;   in Loop: Header=BB6_3347 Depth=3
	s_cbranch_execnz .LBB6_3937
; %bb.3352:                             ;   in Loop: Header=BB6_3347 Depth=3
	ds_load_b64 v[12:13], v0
	s_and_not1_b32 s42, s42, exec_lo
	s_mov_b32 s41, 0
	s_mov_b32 s43, -1
	s_waitcnt lgkmcnt(0)
	s_waitcnt_vscnt null, 0x0
	flat_load_b32 v2, v[12:13] glc
	s_waitcnt vmcnt(0) lgkmcnt(0)
	buffer_gl1_inv
	buffer_gl0_inv
	v_cmp_eq_u32_e32 vcc_lo, 0, v2
	s_and_b32 vcc_lo, vcc_lo, exec_lo
	s_delay_alu instid0(SALU_CYCLE_1)
	s_or_b32 s42, s42, vcc_lo
	s_branch .LBB6_3348
.LBB6_3353:                             ;   in Loop: Header=BB6_3204 Depth=2
	s_or_b32 exec_lo, exec_lo, s38
	s_and_saveexec_b32 vcc_lo, s39
	s_delay_alu instid0(SALU_CYCLE_1)
	s_xor_b32 vcc_lo, exec_lo, vcc_lo
	s_cbranch_execz .LBB6_3355
; %bb.3354:                             ;   in Loop: Header=BB6_3204 Depth=2
	ds_store_b32 v0, v182
	s_cbranch_execnz .LBB6_3985
.LBB6_3355:                             ;   in Loop: Header=BB6_3204 Depth=2
	s_or_b32 exec_lo, exec_lo, s37
	;;#ASMSTART
	s_wakeup
	;;#ASMEND
.LBB6_3356:                             ;   in Loop: Header=BB6_3204 Depth=2
	s_or_b32 exec_lo, exec_lo, s36
.LBB6_3357:                             ;   in Loop: Header=BB6_3204 Depth=2
	s_and_not1_saveexec_b32 s14, s14
	s_cbranch_execz .LBB6_3359
; %bb.3358:                             ;   in Loop: Header=BB6_3204 Depth=2
	;;#ASMSTART
	s_waitcnt lgkmcnt(0) vmcnt(0)
	;;#ASMEND
	s_waitcnt lgkmcnt(0)
	s_waitcnt_vscnt null, 0x0
	s_barrier
.LBB6_3359:                             ;   in Loop: Header=BB6_3204 Depth=2
	s_or_b32 exec_lo, exec_lo, s14
.LBB6_3360:                             ;   in Loop: Header=BB6_3204 Depth=2
	s_delay_alu instid0(SALU_CYCLE_1) | instskip(SKIP_2) | instid1(VALU_DEP_1)
	s_or_b32 exec_lo, exec_lo, s13
	v_and_b32_e32 v2, 32, v30
	s_mov_b32 s13, exec_lo
	v_cmpx_ne_u32_e32 0, v2
	s_cbranch_execz .LBB6_3362
; %bb.3361:                             ;   in Loop: Header=BB6_3204 Depth=2
	v_add_co_u32 v66, vcc_lo, v66, 2
	v_add_co_ci_u32_e32 v67, vcc_lo, 0, v67, vcc_lo
	s_waitcnt lgkmcnt(0)
	s_waitcnt_vscnt null, 0x0
	flat_store_b64 v[64:65], v[66:67]
.LBB6_3362:                             ;   in Loop: Header=BB6_3204 Depth=2
	s_or_b32 exec_lo, exec_lo, s13
	v_add_nc_u32_e32 v8, v17, v8
	s_xor_b32 s13, s34, -1
	v_mov_b32_e32 v2, s35
	s_mov_b32 s34, 0
	s_mov_b32 s35, 2
	v_cmp_ge_i32_e32 vcc_lo, v8, v16
	s_or_b32 s13, s13, vcc_lo
	s_delay_alu instid0(SALU_CYCLE_1) | instskip(NEXT) | instid1(SALU_CYCLE_1)
	s_and_b32 s13, exec_lo, s13
	s_or_b32 s17, s13, s17
	s_delay_alu instid0(SALU_CYCLE_1)
	s_and_not1_b32 exec_lo, exec_lo, s17
	s_cbranch_execnz .LBB6_3204
; %bb.3363:                             ;   in Loop: Header=BB6_51 Depth=1
	s_or_b32 exec_lo, exec_lo, s17
.LBB6_3364:                             ;   in Loop: Header=BB6_51 Depth=1
	s_delay_alu instid0(SALU_CYCLE_1) | instskip(NEXT) | instid1(SALU_CYCLE_1)
	s_or_b32 exec_lo, exec_lo, s15
	s_mov_b32 s14, exec_lo
	v_cmpx_gt_i32_e32 2, v2
	s_cbranch_execz .LBB6_3443
; %bb.3365:                             ;   in Loop: Header=BB6_51 Depth=1
	v_cmp_eq_u32_e64 s13, 0, v2
	s_mov_b32 s15, 0
.LBB6_3366:                             ;   Parent Loop BB6_51 Depth=1
                                        ; =>  This Loop Header: Depth=2
                                        ;       Child Loop BB6_3372 Depth 3
                                        ;       Child Loop BB6_3399 Depth 3
	;; [unrolled: 1-line block ×3, first 2 shown]
	v_and_b32_e32 v2, 4, v30
	s_mov_b32 s34, -1
	s_mov_b32 s17, exec_lo
	s_delay_alu instid0(VALU_DEP_1)
	v_cmpx_ne_u32_e32 0, v2
	s_cbranch_execz .LBB6_3380
; %bb.3367:                             ;   in Loop: Header=BB6_3366 Depth=2
	v_add_co_u32 v9, vcc_lo, v66, 2
	v_add_co_ci_u32_e32 v10, vcc_lo, 0, v67, vcc_lo
	v_mov_b32_e32 v2, 1
	s_mov_b32 s34, exec_lo
	s_delay_alu instid0(VALU_DEP_2)
	v_cmpx_lt_u64_e64 v[82:83], v[9:10]
	s_cbranch_execz .LBB6_3379
; %bb.3368:                             ;   in Loop: Header=BB6_3366 Depth=2
	v_mov_b32_e32 v2, 0
	s_mov_b32 s35, 0
                                        ; implicit-def: $sgpr36
	s_branch .LBB6_3372
.LBB6_3369:                             ;   in Loop: Header=BB6_3372 Depth=3
	s_or_b32 exec_lo, exec_lo, s40
	v_mov_b32_e32 v11, 0
	s_or_not1_b32 s39, s39, exec_lo
.LBB6_3370:                             ;   in Loop: Header=BB6_3372 Depth=3
	s_or_b32 exec_lo, exec_lo, s38
	s_delay_alu instid0(VALU_DEP_1) | instskip(SKIP_2) | instid1(SALU_CYCLE_1)
	v_mov_b32_e32 v2, v11
	s_and_not1_b32 vcc_lo, s36, exec_lo
	s_and_b32 s36, s39, exec_lo
	s_or_b32 s36, vcc_lo, s36
.LBB6_3371:                             ;   in Loop: Header=BB6_3372 Depth=3
	s_or_b32 exec_lo, exec_lo, s37
	s_waitcnt vmcnt(0) lgkmcnt(0)
	v_cmp_ge_u64_e32 vcc_lo, v[82:83], v[9:10]
	s_xor_b32 s37, s36, -1
	s_delay_alu instid0(SALU_CYCLE_1) | instskip(NEXT) | instid1(SALU_CYCLE_1)
	s_or_b32 vcc_lo, s37, vcc_lo
	s_and_b32 vcc_lo, exec_lo, vcc_lo
	s_delay_alu instid0(SALU_CYCLE_1) | instskip(NEXT) | instid1(SALU_CYCLE_1)
	s_or_b32 s35, vcc_lo, s35
	s_and_not1_b32 exec_lo, exec_lo, s35
	s_cbranch_execz .LBB6_3378
.LBB6_3372:                             ;   Parent Loop BB6_51 Depth=1
                                        ;     Parent Loop BB6_3366 Depth=2
                                        ; =>    This Inner Loop Header: Depth=3
	s_sleep 1
	flat_load_b64 v[82:83], v[64:65] glc
	v_and_b32_e32 v11, 64, v30
	s_and_not1_b32 s36, s36, exec_lo
	s_mov_b32 s37, exec_lo
	s_delay_alu instid0(VALU_DEP_1)
	v_cmpx_eq_u32_e32 0, v11
	s_cbranch_execz .LBB6_3371
; %bb.3373:                             ;   in Loop: Header=BB6_3372 Depth=3
	v_add_nc_u32_e32 v11, 1, v2
	s_mov_b32 s39, -1
	s_mov_b32 s38, exec_lo
	v_cmpx_lt_i32_e32 0x270e, v2
	s_cbranch_execz .LBB6_3370
; %bb.3374:                             ;   in Loop: Header=BB6_3372 Depth=3
	s_cbranch_execnz .LBB6_3657
; %bb.3375:                             ;   in Loop: Header=BB6_3372 Depth=3
	ds_load_b64 v[11:12], v0
	s_mov_b32 s40, exec_lo
	s_waitcnt vmcnt(0) lgkmcnt(0)
	s_waitcnt_vscnt null, 0x0
	flat_load_b32 v2, v[11:12] glc
	s_waitcnt vmcnt(0) lgkmcnt(0)
	buffer_gl1_inv
	buffer_gl0_inv
	v_cmpx_ne_u32_e32 0, v2
	s_cbranch_execz .LBB6_3369
; %bb.3376:                             ;   in Loop: Header=BB6_3372 Depth=3
	ds_store_b32 v0, v2
	s_cbranch_execnz .LBB6_3731
; %bb.3377:                             ;   in Loop: Header=BB6_3372 Depth=3
	v_or_b32_e32 v30, 64, v30
	s_xor_b32 s39, exec_lo, -1
	s_branch .LBB6_3369
.LBB6_3378:                             ;   in Loop: Header=BB6_3366 Depth=2
	s_or_b32 exec_lo, exec_lo, s35
	v_and_b32_e32 v2, 4, v30
.LBB6_3379:                             ;   in Loop: Header=BB6_3366 Depth=2
	s_or_b32 exec_lo, exec_lo, s34
	s_delay_alu instid0(VALU_DEP_1)
	v_cmp_eq_u32_e32 vcc_lo, 0, v2
	;;#ASMSTART
	s_wakeup
	;;#ASMEND
	s_or_not1_b32 s34, vcc_lo, exec_lo
.LBB6_3380:                             ;   in Loop: Header=BB6_3366 Depth=2
	s_or_b32 exec_lo, exec_lo, s17
	s_xor_b32 s13, s13, -1
	s_delay_alu instid0(SALU_CYCLE_1) | instskip(NEXT) | instid1(SALU_CYCLE_1)
	s_and_b32 s13, exec_lo, s13
	s_or_b32 s15, s13, s15
	s_xor_b32 s13, s34, -1
	s_delay_alu instid0(SALU_CYCLE_1)
	s_and_saveexec_b32 s17, s13
	s_cbranch_execz .LBB6_3390
; %bb.3381:                             ;   in Loop: Header=BB6_3366 Depth=2
	v_and_b32_e32 v2, 0x100, v30
	s_mov_b32 s13, -1
                                        ; implicit-def: $vgpr9_vgpr10
	s_delay_alu instid0(VALU_DEP_1)
	v_cmp_ne_u32_e32 vcc_lo, 0, v2
	v_and_b32_e32 v2, 7, v66
	s_and_saveexec_b32 s34, vcc_lo
	s_cbranch_execz .LBB6_3385
; %bb.3382:                             ;   in Loop: Header=BB6_3366 Depth=2
	s_delay_alu instid0(VALU_DEP_1) | instskip(SKIP_4) | instid1(VALU_DEP_1)
	v_mad_u64_u32 v[11:12], null, v2, 24, v[6:7]
	flat_load_b32 v9, v[11:12]
	s_waitcnt vmcnt(0) lgkmcnt(0)
	v_cmp_ne_u32_e32 vcc_lo, 1, v9
	v_cmp_eq_u32_e64 s13, 1, v9
                                        ; implicit-def: $vgpr9_vgpr10
	s_and_saveexec_b32 s35, s13
	s_cbranch_execz .LBB6_3384
; %bb.3383:                             ;   in Loop: Header=BB6_3366 Depth=2
	flat_load_b32 v9, v[11:12] offset:4 glc
	s_waitcnt vmcnt(0) lgkmcnt(0)
	v_ashrrev_i32_e32 v10, 31, v9
	s_delay_alu instid0(VALU_DEP_1)
	v_lshrrev_b64 v[9:10], 1, v[9:10]
.LBB6_3384:                             ;   in Loop: Header=BB6_3366 Depth=2
	s_or_b32 exec_lo, exec_lo, s35
	s_delay_alu instid0(SALU_CYCLE_1)
	s_or_not1_b32 s13, vcc_lo, exec_lo
.LBB6_3385:                             ;   in Loop: Header=BB6_3366 Depth=2
	s_or_b32 exec_lo, exec_lo, s34
	s_and_saveexec_b32 vcc_lo, s13
; %bb.3386:                             ;   in Loop: Header=BB6_3366 Depth=2
	v_mad_i64_i32 v[9:10], null, v2, v133, 0
; %bb.3387:                             ;   in Loop: Header=BB6_3366 Depth=2
	s_or_b32 exec_lo, exec_lo, vcc_lo
	s_delay_alu instid0(VALU_DEP_1) | instskip(SKIP_2) | instid1(VALU_DEP_2)
	v_lshlrev_b64 v[9:10], 1, v[9:10]
	v_and_b32_e32 v2, 0x2000, v30
	s_mov_b32 s13, exec_lo
	v_add_co_u32 v9, vcc_lo, v68, v9
	s_delay_alu instid0(VALU_DEP_3)
	v_add_co_ci_u32_e32 v10, vcc_lo, v69, v10, vcc_lo
	ds_store_b64 v0, v[9:10] offset:720
	v_cmpx_ne_u32_e32 0, v2
	s_cbranch_execz .LBB6_3389
; %bb.3388:                             ;   in Loop: Header=BB6_3366 Depth=2
	ds_load_b64 v[9:10], v0 offset:584
	s_waitcnt lgkmcnt(0)
	v_add_co_u32 v9, vcc_lo, v9, 1
	v_add_co_ci_u32_e32 v10, vcc_lo, 0, v10, vcc_lo
	ds_store_b64 v0, v[9:10] offset:584
.LBB6_3389:                             ;   in Loop: Header=BB6_3366 Depth=2
	s_or_b32 exec_lo, exec_lo, s13
	v_add_co_u32 v66, vcc_lo, v66, 2
	v_add_co_ci_u32_e32 v67, vcc_lo, 0, v67, vcc_lo
.LBB6_3390:                             ;   in Loop: Header=BB6_3366 Depth=2
	s_or_b32 exec_lo, exec_lo, s17
	s_and_saveexec_b32 s13, s3
	s_cbranch_execz .LBB6_3412
; %bb.3391:                             ;   in Loop: Header=BB6_3366 Depth=2
	s_and_saveexec_b32 s17, s4
	s_delay_alu instid0(SALU_CYCLE_1)
	s_xor_b32 s17, exec_lo, s17
	s_cbranch_execz .LBB6_3409
; %bb.3392:                             ;   in Loop: Header=BB6_3366 Depth=2
	s_and_saveexec_b32 s34, s1
	s_cbranch_execz .LBB6_3408
; %bb.3393:                             ;   in Loop: Header=BB6_3366 Depth=2
	s_mov_b32 s36, exec_lo
	s_mov_b32 s35, exec_lo
	v_mbcnt_lo_u32_b32 v2, s36, 0
	s_waitcnt lgkmcnt(0)
	s_waitcnt_vscnt null, 0x0
	buffer_gl1_inv
	buffer_gl0_inv
	v_cmpx_eq_u32_e32 0, v2
	s_cbranch_execz .LBB6_3395
; %bb.3394:                             ;   in Loop: Header=BB6_3366 Depth=2
	s_bcnt1_i32_b32 vcc_lo, s36
	s_delay_alu instid0(SALU_CYCLE_1)
	v_mov_b32_e32 v2, vcc_lo
	ds_add_u64 v0, v[2:3]
	s_cbranch_execnz .LBB6_3765
.LBB6_3395:                             ;   in Loop: Header=BB6_3366 Depth=2
	s_or_b32 exec_lo, exec_lo, s35
	s_cbranch_execnz .LBB6_3739
; %bb.3396:                             ;   in Loop: Header=BB6_3366 Depth=2
	ds_load_b64 v[9:10], v0
	v_add_co_u32 v80, vcc_lo, v80, v145
	v_add_co_ci_u32_e32 v81, vcc_lo, 0, v81, vcc_lo
	s_mov_b32 s35, exec_lo
	s_waitcnt lgkmcnt(0)
	s_delay_alu instid0(VALU_DEP_1)
	v_cmpx_lt_u64_e64 v[9:10], v[80:81]
	s_cbranch_execz .LBB6_3407
; %bb.3397:                             ;   in Loop: Header=BB6_3366 Depth=2
	s_mov_b32 s36, 0
	s_mov_b32 s39, 0
                                        ; implicit-def: $sgpr37
                                        ; implicit-def: $sgpr38
	s_branch .LBB6_3399
.LBB6_3398:                             ;   in Loop: Header=BB6_3399 Depth=3
	s_or_b32 exec_lo, exec_lo, s41
	s_delay_alu instid0(SALU_CYCLE_1) | instskip(NEXT) | instid1(SALU_CYCLE_1)
	s_and_b32 vcc_lo, exec_lo, vcc_lo
	s_or_b32 s36, vcc_lo, s36
	s_and_not1_b32 vcc_lo, s37, exec_lo
	s_and_b32 s37, s38, exec_lo
	s_delay_alu instid0(SALU_CYCLE_1)
	s_or_b32 s37, vcc_lo, s37
	s_and_not1_b32 exec_lo, exec_lo, s36
	s_cbranch_execz .LBB6_3405
.LBB6_3399:                             ;   Parent Loop BB6_51 Depth=1
                                        ;     Parent Loop BB6_3366 Depth=2
                                        ; =>    This Inner Loop Header: Depth=3
	s_add_i32 s39, s39, 1
                                        ; implicit-def: $sgpr41
	s_delay_alu instid0(SALU_CYCLE_1) | instskip(SKIP_1) | instid1(SALU_CYCLE_1)
	s_cmpk_lg_i32 s39, 0x2710
	s_cselect_b32 s40, -1, 0
	s_and_b32 vcc_lo, exec_lo, s40
	s_cbranch_vccz .LBB6_3403
.LBB6_3400:                             ;   in Loop: Header=BB6_3399 Depth=3
	s_and_not1_b32 s38, s38, exec_lo
	s_and_b32 s41, s41, exec_lo
	s_mov_b32 vcc_lo, -1
	s_or_b32 s38, s38, s41
	s_and_saveexec_b32 s41, s40
	s_cbranch_execz .LBB6_3398
; %bb.3401:                             ;   in Loop: Header=BB6_3399 Depth=3
	s_sleep 1
	s_cbranch_execnz .LBB6_3813
; %bb.3402:                             ;   in Loop: Header=BB6_3399 Depth=3
	ds_load_b64 v[9:10], v0
	s_and_not1_b32 s38, s38, exec_lo
	s_waitcnt lgkmcnt(0)
	v_cmp_ge_u64_e32 vcc_lo, v[9:10], v[80:81]
	s_or_not1_b32 vcc_lo, vcc_lo, exec_lo
	s_branch .LBB6_3398
.LBB6_3403:                             ;   in Loop: Header=BB6_3399 Depth=3
	s_cbranch_execnz .LBB6_3835
; %bb.3404:                             ;   in Loop: Header=BB6_3399 Depth=3
	ds_load_b64 v[9:10], v0
	s_and_not1_b32 s40, s40, exec_lo
	s_mov_b32 s39, 0
	s_mov_b32 s41, -1
	s_waitcnt lgkmcnt(0)
	flat_load_b32 v2, v[9:10] glc
	s_waitcnt vmcnt(0) lgkmcnt(0)
	buffer_gl1_inv
	buffer_gl0_inv
	v_cmp_eq_u32_e32 vcc_lo, 0, v2
	s_and_b32 vcc_lo, vcc_lo, exec_lo
	s_delay_alu instid0(SALU_CYCLE_1)
	s_or_b32 s40, s40, vcc_lo
	s_branch .LBB6_3400
.LBB6_3405:                             ;   in Loop: Header=BB6_3366 Depth=2
	s_or_b32 exec_lo, exec_lo, s36
	s_and_saveexec_b32 vcc_lo, s37
	s_delay_alu instid0(SALU_CYCLE_1)
	s_xor_b32 vcc_lo, exec_lo, vcc_lo
	s_cbranch_execz .LBB6_3407
; %bb.3406:                             ;   in Loop: Header=BB6_3366 Depth=2
	ds_store_b32 v0, v182
	s_cbranch_execnz .LBB6_3959
.LBB6_3407:                             ;   in Loop: Header=BB6_3366 Depth=2
	s_or_b32 exec_lo, exec_lo, s35
	;;#ASMSTART
	s_wakeup
	;;#ASMEND
.LBB6_3408:                             ;   in Loop: Header=BB6_3366 Depth=2
	s_or_b32 exec_lo, exec_lo, s34
.LBB6_3409:                             ;   in Loop: Header=BB6_3366 Depth=2
	s_and_not1_saveexec_b32 s17, s17
	s_cbranch_execz .LBB6_3411
; %bb.3410:                             ;   in Loop: Header=BB6_3366 Depth=2
	s_waitcnt lgkmcnt(0)
	s_waitcnt_vscnt null, 0x0
	buffer_gl1_inv
	buffer_gl0_inv
	s_barrier
.LBB6_3411:                             ;   in Loop: Header=BB6_3366 Depth=2
	s_or_b32 exec_lo, exec_lo, s17
.LBB6_3412:                             ;   in Loop: Header=BB6_3366 Depth=2
	s_delay_alu instid0(SALU_CYCLE_1) | instskip(SKIP_1) | instid1(VALU_DEP_1)
	s_or_b32 exec_lo, exec_lo, s13
	v_sub_nc_u32_e32 v2, v16, v8
	v_min_i32_e32 v17, v17, v2
	s_and_saveexec_b32 s13, s7
	s_delay_alu instid0(SALU_CYCLE_1)
	s_xor_b32 s17, exec_lo, s13
	s_cbranch_execz .LBB6_3417
; %bb.3413:                             ;   in Loop: Header=BB6_3366 Depth=2
	s_cbranch_execnz .LBB6_3653
; %bb.3414:                             ;   in Loop: Header=BB6_3366 Depth=2
	ds_load_b32 v2, v0
	v_cmp_lt_i32_e32 vcc_lo, 0, v17
	s_waitcnt lgkmcnt(0)
	v_readfirstlane_b32 s13, v2
	v_and_b32_e32 v2, 16, v30
	s_delay_alu instid0(VALU_DEP_2) | instskip(NEXT) | instid1(VALU_DEP_1)
	s_cmp_eq_u32 s13, 0
	v_cmp_ne_u32_e64 s13, 0, v2
	s_cselect_b32 s34, -1, 0
	s_delay_alu instid0(SALU_CYCLE_1)
	s_and_b32 vcc_lo, vcc_lo, s34
	s_delay_alu instid0(VALU_DEP_1) | instid1(SALU_CYCLE_1)
	s_and_b32 vcc_lo, s13, vcc_lo
	s_delay_alu instid0(SALU_CYCLE_1)
	s_and_saveexec_b32 s13, vcc_lo
	s_cbranch_execz .LBB6_3416
; %bb.3415:                             ;   in Loop: Header=BB6_3366 Depth=2
	s_waitcnt_vscnt null, 0x0
	buffer_gl1_inv
	buffer_gl0_inv
.LBB6_3416:                             ;   in Loop: Header=BB6_3366 Depth=2
	s_or_b32 exec_lo, exec_lo, s13
.LBB6_3417:                             ;   in Loop: Header=BB6_3366 Depth=2
	s_and_not1_saveexec_b32 s13, s17
	s_cbranch_execz .LBB6_3439
; %bb.3418:                             ;   in Loop: Header=BB6_3366 Depth=2
	s_and_saveexec_b32 s17, s4
	s_delay_alu instid0(SALU_CYCLE_1)
	s_xor_b32 s17, exec_lo, s17
	s_cbranch_execz .LBB6_3436
; %bb.3419:                             ;   in Loop: Header=BB6_3366 Depth=2
	s_and_saveexec_b32 s34, s1
	s_cbranch_execz .LBB6_3435
; %bb.3420:                             ;   in Loop: Header=BB6_3366 Depth=2
	s_mov_b32 s36, exec_lo
	s_mov_b32 s35, exec_lo
	v_mbcnt_lo_u32_b32 v2, s36, 0
	;;#ASMSTART
	s_waitcnt lgkmcnt(0) vmcnt(0)
	;;#ASMEND
	s_delay_alu instid0(VALU_DEP_1)
	v_cmpx_eq_u32_e32 0, v2
	s_cbranch_execz .LBB6_3422
; %bb.3421:                             ;   in Loop: Header=BB6_3366 Depth=2
	s_bcnt1_i32_b32 vcc_lo, s36
	s_delay_alu instid0(SALU_CYCLE_1)
	v_mov_b32_e32 v2, vcc_lo
	ds_add_u64 v0, v[2:3]
	s_cbranch_execnz .LBB6_3793
.LBB6_3422:                             ;   in Loop: Header=BB6_3366 Depth=2
	s_or_b32 exec_lo, exec_lo, s35
	s_cbranch_execnz .LBB6_3763
; %bb.3423:                             ;   in Loop: Header=BB6_3366 Depth=2
	ds_load_b64 v[9:10], v0
	v_add_co_u32 v80, vcc_lo, v80, v145
	v_add_co_ci_u32_e32 v81, vcc_lo, 0, v81, vcc_lo
	s_mov_b32 s35, exec_lo
	s_waitcnt lgkmcnt(0)
	s_delay_alu instid0(VALU_DEP_1)
	v_cmpx_lt_u64_e64 v[9:10], v[80:81]
	s_cbranch_execz .LBB6_3434
; %bb.3424:                             ;   in Loop: Header=BB6_3366 Depth=2
	s_mov_b32 s36, 0
	s_mov_b32 s39, 0
                                        ; implicit-def: $sgpr37
                                        ; implicit-def: $sgpr38
	s_branch .LBB6_3426
.LBB6_3425:                             ;   in Loop: Header=BB6_3426 Depth=3
	s_or_b32 exec_lo, exec_lo, s41
	s_delay_alu instid0(SALU_CYCLE_1) | instskip(NEXT) | instid1(SALU_CYCLE_1)
	s_and_b32 vcc_lo, exec_lo, vcc_lo
	s_or_b32 s36, vcc_lo, s36
	s_and_not1_b32 vcc_lo, s37, exec_lo
	s_and_b32 s37, s38, exec_lo
	s_delay_alu instid0(SALU_CYCLE_1)
	s_or_b32 s37, vcc_lo, s37
	s_and_not1_b32 exec_lo, exec_lo, s36
	s_cbranch_execz .LBB6_3432
.LBB6_3426:                             ;   Parent Loop BB6_51 Depth=1
                                        ;     Parent Loop BB6_3366 Depth=2
                                        ; =>    This Inner Loop Header: Depth=3
	s_add_i32 s39, s39, 1
                                        ; implicit-def: $sgpr41
	s_delay_alu instid0(SALU_CYCLE_1) | instskip(SKIP_1) | instid1(SALU_CYCLE_1)
	s_cmpk_lg_i32 s39, 0x2710
	s_cselect_b32 s40, -1, 0
	s_and_b32 vcc_lo, exec_lo, s40
	s_cbranch_vccz .LBB6_3430
.LBB6_3427:                             ;   in Loop: Header=BB6_3426 Depth=3
	s_and_not1_b32 s38, s38, exec_lo
	s_and_b32 s41, s41, exec_lo
	s_mov_b32 vcc_lo, -1
	s_or_b32 s38, s38, s41
	s_and_saveexec_b32 s41, s40
	s_cbranch_execz .LBB6_3425
; %bb.3428:                             ;   in Loop: Header=BB6_3426 Depth=3
	s_sleep 1
	s_cbranch_execnz .LBB6_3847
; %bb.3429:                             ;   in Loop: Header=BB6_3426 Depth=3
	ds_load_b64 v[9:10], v0
	s_and_not1_b32 s38, s38, exec_lo
	s_waitcnt lgkmcnt(0)
	v_cmp_ge_u64_e32 vcc_lo, v[9:10], v[80:81]
	s_or_not1_b32 vcc_lo, vcc_lo, exec_lo
	s_branch .LBB6_3425
.LBB6_3430:                             ;   in Loop: Header=BB6_3426 Depth=3
	s_cbranch_execnz .LBB6_3867
; %bb.3431:                             ;   in Loop: Header=BB6_3426 Depth=3
	ds_load_b64 v[9:10], v0
	s_and_not1_b32 s40, s40, exec_lo
	s_mov_b32 s39, 0
	s_mov_b32 s41, -1
	s_waitcnt lgkmcnt(0)
	s_waitcnt_vscnt null, 0x0
	flat_load_b32 v2, v[9:10] glc
	s_waitcnt vmcnt(0) lgkmcnt(0)
	buffer_gl1_inv
	buffer_gl0_inv
	v_cmp_eq_u32_e32 vcc_lo, 0, v2
	s_and_b32 vcc_lo, vcc_lo, exec_lo
	s_delay_alu instid0(SALU_CYCLE_1)
	s_or_b32 s40, s40, vcc_lo
	s_branch .LBB6_3427
.LBB6_3432:                             ;   in Loop: Header=BB6_3366 Depth=2
	s_or_b32 exec_lo, exec_lo, s36
	s_and_saveexec_b32 vcc_lo, s37
	s_delay_alu instid0(SALU_CYCLE_1)
	s_xor_b32 vcc_lo, exec_lo, vcc_lo
	s_cbranch_execz .LBB6_3434
; %bb.3433:                             ;   in Loop: Header=BB6_3366 Depth=2
	ds_store_b32 v0, v182
	s_cbranch_execnz .LBB6_3973
.LBB6_3434:                             ;   in Loop: Header=BB6_3366 Depth=2
	s_or_b32 exec_lo, exec_lo, s35
	;;#ASMSTART
	s_wakeup
	;;#ASMEND
.LBB6_3435:                             ;   in Loop: Header=BB6_3366 Depth=2
	s_or_b32 exec_lo, exec_lo, s34
.LBB6_3436:                             ;   in Loop: Header=BB6_3366 Depth=2
	s_and_not1_saveexec_b32 s17, s17
	s_cbranch_execz .LBB6_3438
; %bb.3437:                             ;   in Loop: Header=BB6_3366 Depth=2
	;;#ASMSTART
	s_waitcnt lgkmcnt(0) vmcnt(0)
	;;#ASMEND
	s_waitcnt lgkmcnt(0)
	s_waitcnt_vscnt null, 0x0
	s_barrier
.LBB6_3438:                             ;   in Loop: Header=BB6_3366 Depth=2
	s_or_b32 exec_lo, exec_lo, s17
.LBB6_3439:                             ;   in Loop: Header=BB6_3366 Depth=2
	s_delay_alu instid0(SALU_CYCLE_1) | instskip(SKIP_2) | instid1(VALU_DEP_1)
	s_or_b32 exec_lo, exec_lo, s13
	v_and_b32_e32 v2, 32, v30
	s_mov_b32 s13, exec_lo
	v_cmpx_ne_u32_e32 0, v2
	s_cbranch_execz .LBB6_3441
; %bb.3440:                             ;   in Loop: Header=BB6_3366 Depth=2
	v_add_co_u32 v66, vcc_lo, v66, 2
	v_add_co_ci_u32_e32 v67, vcc_lo, 0, v67, vcc_lo
	s_waitcnt lgkmcnt(0)
	s_waitcnt_vscnt null, 0x0
	flat_store_b64 v[64:65], v[66:67]
.LBB6_3441:                             ;   in Loop: Header=BB6_3366 Depth=2
	s_or_b32 exec_lo, exec_lo, s13
	v_add_nc_u32_e32 v8, v17, v8
	s_mov_b32 s13, 0
	s_and_not1_b32 exec_lo, exec_lo, s15
	s_cbranch_execnz .LBB6_3366
; %bb.3442:                             ;   in Loop: Header=BB6_51 Depth=1
	s_or_b32 exec_lo, exec_lo, s15
.LBB6_3443:                             ;   in Loop: Header=BB6_51 Depth=1
	s_delay_alu instid0(SALU_CYCLE_1)
	s_or_b32 exec_lo, exec_lo, s14
	v_add_co_u32 v86, vcc_lo, v86, v84
	v_add_co_ci_u32_e32 v87, vcc_lo, v87, v85, vcc_lo
	v_readlane_b32 s34, v56, 5
	v_readlane_b32 s35, v56, 6
	s_mov_b32 s14, s30
	s_delay_alu instid0(VALU_DEP_3) | instskip(SKIP_1) | instid1(SALU_CYCLE_1)
	v_cmp_ge_i64_e32 vcc_lo, v[86:87], v[4:5]
	s_or_b32 s24, vcc_lo, s24
	s_and_not1_b32 exec_lo, exec_lo, s24
	s_cbranch_execnz .LBB6_51
; %bb.3444:
	s_or_b32 exec_lo, exec_lo, s24
.LBB6_3445:
	s_delay_alu instid0(SALU_CYCLE_1)
	s_or_b32 exec_lo, exec_lo, s20
; %bb.3446:
	v_and_b32_e32 v0, 0x800, v30
	s_mov_b32 s0, exec_lo
	s_delay_alu instid0(VALU_DEP_1)
	v_cmpx_eq_u32_e32 0, v0
	s_cbranch_execz .LBB6_3703
; %bb.3447:
	v_and_b32_e32 v0, 48, v30
	s_mov_b32 s1, exec_lo
	s_delay_alu instid0(VALU_DEP_1)
	v_cmpx_ne_u32_e32 0, v0
	s_cbranch_execz .LBB6_3449
; %bb.3448:
	flat_store_b64 v[54:55], v[66:67] offset:104
.LBB6_3449:
	s_or_b32 exec_lo, exec_lo, s1
	v_and_b32_e32 v0, 0x88, v30
	s_mov_b32 s1, exec_lo
	s_delay_alu instid0(VALU_DEP_1)
	v_cmpx_eq_u32_e32 0x88, v0
	s_cbranch_execz .LBB6_3499
; %bb.3450:
	v_add_nc_u32_e32 v0, 6, v66
	s_mov_b32 s2, 0
                                        ; implicit-def: $sgpr3
	s_delay_alu instid0(VALU_DEP_1) | instskip(NEXT) | instid1(VALU_DEP_1)
	v_and_b32_e32 v0, 7, v0
	v_mad_u64_u32 v[2:3], null, v0, 24, v[6:7]
	v_mov_b32_e32 v0, 0
	s_delay_alu instid0(VALU_DEP_2) | instskip(NEXT) | instid1(VALU_DEP_3)
	v_add_co_u32 v2, vcc_lo, v2, 8
	v_add_co_ci_u32_e32 v3, vcc_lo, 0, v3, vcc_lo
	s_branch .LBB6_3485
.LBB6_3451:
	s_trap 2
	s_sendmsg_rtn_b32 s0, sendmsg(MSG_RTN_GET_DOORBELL)
	s_mov_b32 ttmp2, m0
	s_waitcnt lgkmcnt(0)
	s_and_b32 s0, s0, 0x3ff
	s_delay_alu instid0(SALU_CYCLE_1) | instskip(NEXT) | instid1(SALU_CYCLE_1)
	s_bitset1_b32 s0, 10
	s_mov_b32 m0, s0
	s_sendmsg sendmsg(MSG_INTERRUPT)
	s_mov_b32 m0, ttmp2
.LBB6_3452:                             ; =>This Inner Loop Header: Depth=1
	s_sethalt 5
	s_branch .LBB6_3452
.LBB6_3453:
	v_bfe_u32 v9, v7, 8, 8
	v_not_b32_e32 v8, v8
	s_mov_b32 s1, exec_lo
                                        ; implicit-def: $vgpr14_vgpr15
                                        ; implicit-def: $vgpr28_vgpr29
                                        ; implicit-def: $vgpr4_vgpr5
	s_delay_alu instid0(VALU_DEP_2)
	v_cmpx_ne_u32_e64 v9, v6
	s_xor_b32 s1, exec_lo, s1
	s_cbranch_execz .LBB6_3455
; %bb.3454:
	s_clause 0x1
	flat_load_b128 v[9:12], v[2:3] offset:72
	flat_load_b64 v[4:5], v[2:3] offset:96
	v_add_nc_u32_e32 v6, v6, v8
                                        ; implicit-def: $vgpr8
	s_waitcnt vmcnt(0) lgkmcnt(0)
	v_lshrrev_b64 v[14:15], 13, v[4:5]
	v_dual_mov_b32 v4, v11 :: v_dual_mov_b32 v5, v12
	s_delay_alu instid0(VALU_DEP_3) | instskip(SKIP_2) | instid1(VALU_DEP_3)
	v_ashrrev_i32_e32 v7, 31, v6
	v_mad_u64_u32 v[28:29], null, v11, v6, v[9:10]
	v_mul_lo_u32 v6, v12, v6
                                        ; implicit-def: $vgpr9
	v_mul_lo_u32 v7, v11, v7
	s_delay_alu instid0(VALU_DEP_1)
	v_add3_u32 v29, v6, v29, v7
.LBB6_3455:
	s_and_not1_saveexec_b32 s1, s1
	s_cbranch_execz .LBB6_3457
; %bb.3456:
	s_clause 0x1
	flat_load_b128 v[10:13], v[2:3] offset:72
	flat_load_b128 v[4:7], v[2:3] offset:88
	s_waitcnt vmcnt(0) lgkmcnt(0)
	v_add_nc_u32_e32 v6, v9, v8
	s_delay_alu instid0(VALU_DEP_1) | instskip(NEXT) | instid1(VALU_DEP_1)
	v_ashrrev_i32_e32 v8, 31, v6
	v_mul_lo_u32 v8, v12, v8
	v_mad_u64_u32 v[28:29], null, v12, v6, v[10:11]
	v_mul_lo_u32 v6, v13, v6
	v_lshrrev_b32_e32 v14, 2, v7
	s_delay_alu instid0(VALU_DEP_2)
	v_add3_u32 v29, v6, v29, v8
.LBB6_3457:
	s_or_b32 exec_lo, exec_lo, s1
	s_and_not1_saveexec_b32 s0, s0
	s_cbranch_execz .LBB6_3
.LBB6_3458:
	s_clause 0x1
	flat_load_b64 v[6:7], v[2:3] offset:96
	flat_load_b64 v[4:5], v[2:3] offset:72
	v_mov_b32_e32 v28, 0
	v_mov_b32_e32 v29, 0
	s_waitcnt vmcnt(1) lgkmcnt(1)
	v_lshlrev_b64 v[14:15], 8, v[6:7]
	s_or_b32 exec_lo, exec_lo, s0
	s_cbranch_execz .LBB6_4
.LBB6_3459:
	s_trap 2
	s_sendmsg_rtn_b32 s0, sendmsg(MSG_RTN_GET_DOORBELL)
	s_mov_b32 ttmp2, m0
	s_waitcnt lgkmcnt(0)
	s_and_b32 s0, s0, 0x3ff
	s_delay_alu instid0(SALU_CYCLE_1) | instskip(NEXT) | instid1(SALU_CYCLE_1)
	s_bitset1_b32 s0, 10
	s_mov_b32 m0, s0
	s_sendmsg sendmsg(MSG_INTERRUPT)
	s_mov_b32 m0, ttmp2
.LBB6_3460:                             ; =>This Inner Loop Header: Depth=1
	s_sethalt 5
	s_branch .LBB6_3460
.LBB6_3461:
	s_trap 2
	s_sendmsg_rtn_b32 s0, sendmsg(MSG_RTN_GET_DOORBELL)
	s_mov_b32 ttmp2, m0
	s_waitcnt lgkmcnt(0)
	s_and_b32 s0, s0, 0x3ff
	s_delay_alu instid0(SALU_CYCLE_1) | instskip(NEXT) | instid1(SALU_CYCLE_1)
	s_bitset1_b32 s0, 10
	s_mov_b32 m0, s0
	s_sendmsg sendmsg(MSG_INTERRUPT)
	s_mov_b32 m0, ttmp2
.LBB6_3462:                             ; =>This Inner Loop Header: Depth=1
	s_sethalt 5
	s_branch .LBB6_3462
.LBB6_3463:
	s_trap 2
	s_sendmsg_rtn_b32 s0, sendmsg(MSG_RTN_GET_DOORBELL)
	s_mov_b32 ttmp2, m0
	s_waitcnt lgkmcnt(0)
	s_and_b32 s0, s0, 0x3ff
	s_delay_alu instid0(SALU_CYCLE_1) | instskip(NEXT) | instid1(SALU_CYCLE_1)
	s_bitset1_b32 s0, 10
	s_mov_b32 m0, s0
	s_sendmsg sendmsg(MSG_INTERRUPT)
	s_mov_b32 m0, ttmp2
.LBB6_3464:                             ; =>This Inner Loop Header: Depth=1
	s_sethalt 5
	s_branch .LBB6_3464
.LBB6_3465:
	s_trap 2
	s_sendmsg_rtn_b32 s0, sendmsg(MSG_RTN_GET_DOORBELL)
	s_mov_b32 ttmp2, m0
	s_waitcnt lgkmcnt(0)
	s_and_b32 s0, s0, 0x3ff
	s_delay_alu instid0(SALU_CYCLE_1) | instskip(NEXT) | instid1(SALU_CYCLE_1)
	s_bitset1_b32 s0, 10
	s_mov_b32 m0, s0
	s_sendmsg sendmsg(MSG_INTERRUPT)
	s_mov_b32 m0, ttmp2
.LBB6_3466:                             ; =>This Inner Loop Header: Depth=1
	s_sethalt 5
	s_branch .LBB6_3466
.LBB6_3467:
	s_trap 2
	s_sendmsg_rtn_b32 s0, sendmsg(MSG_RTN_GET_DOORBELL)
	s_mov_b32 ttmp2, m0
	s_waitcnt lgkmcnt(0)
	s_and_b32 s0, s0, 0x3ff
	s_delay_alu instid0(SALU_CYCLE_1) | instskip(NEXT) | instid1(SALU_CYCLE_1)
	s_bitset1_b32 s0, 10
	s_mov_b32 m0, s0
	s_sendmsg sendmsg(MSG_INTERRUPT)
	s_mov_b32 m0, ttmp2
.LBB6_3468:                             ; =>This Inner Loop Header: Depth=1
	s_sethalt 5
	s_branch .LBB6_3468
.LBB6_3469:
	s_trap 2
	s_sendmsg_rtn_b32 s0, sendmsg(MSG_RTN_GET_DOORBELL)
	s_mov_b32 ttmp2, m0
	s_waitcnt lgkmcnt(0)
	s_and_b32 s0, s0, 0x3ff
	s_delay_alu instid0(SALU_CYCLE_1) | instskip(NEXT) | instid1(SALU_CYCLE_1)
	s_bitset1_b32 s0, 10
	s_mov_b32 m0, s0
	s_sendmsg sendmsg(MSG_INTERRUPT)
	s_mov_b32 m0, ttmp2
.LBB6_3470:                             ; =>This Inner Loop Header: Depth=1
	s_sethalt 5
	s_branch .LBB6_3470
.LBB6_3471:
	s_trap 2
	s_sendmsg_rtn_b32 s0, sendmsg(MSG_RTN_GET_DOORBELL)
	s_mov_b32 ttmp2, m0
	s_waitcnt lgkmcnt(0)
	s_and_b32 s0, s0, 0x3ff
	s_delay_alu instid0(SALU_CYCLE_1) | instskip(NEXT) | instid1(SALU_CYCLE_1)
	s_bitset1_b32 s0, 10
	s_mov_b32 m0, s0
	s_sendmsg sendmsg(MSG_INTERRUPT)
	s_mov_b32 m0, ttmp2
.LBB6_3472:                             ; =>This Inner Loop Header: Depth=1
	s_sethalt 5
	s_branch .LBB6_3472
.LBB6_3473:
	s_trap 2
	s_sendmsg_rtn_b32 s0, sendmsg(MSG_RTN_GET_DOORBELL)
	s_mov_b32 ttmp2, m0
	s_waitcnt lgkmcnt(0)
	s_and_b32 s0, s0, 0x3ff
	s_delay_alu instid0(SALU_CYCLE_1) | instskip(NEXT) | instid1(SALU_CYCLE_1)
	s_bitset1_b32 s0, 10
	s_mov_b32 m0, s0
	s_sendmsg sendmsg(MSG_INTERRUPT)
	s_mov_b32 m0, ttmp2
.LBB6_3474:                             ; =>This Inner Loop Header: Depth=1
	s_sethalt 5
	s_branch .LBB6_3474
.LBB6_3475:
	s_trap 2
	s_sendmsg_rtn_b32 s0, sendmsg(MSG_RTN_GET_DOORBELL)
	s_mov_b32 ttmp2, m0
	s_waitcnt lgkmcnt(0)
	s_and_b32 s0, s0, 0x3ff
	s_delay_alu instid0(SALU_CYCLE_1) | instskip(NEXT) | instid1(SALU_CYCLE_1)
	s_bitset1_b32 s0, 10
	s_mov_b32 m0, s0
	s_sendmsg sendmsg(MSG_INTERRUPT)
	s_mov_b32 m0, ttmp2
.LBB6_3476:                             ; =>This Inner Loop Header: Depth=1
	s_sethalt 5
	s_branch .LBB6_3476
.LBB6_3477:
	s_trap 2
	s_sendmsg_rtn_b32 s0, sendmsg(MSG_RTN_GET_DOORBELL)
	s_mov_b32 ttmp2, m0
	s_waitcnt lgkmcnt(0)
	s_and_b32 s0, s0, 0x3ff
	s_delay_alu instid0(SALU_CYCLE_1) | instskip(NEXT) | instid1(SALU_CYCLE_1)
	s_bitset1_b32 s0, 10
	s_mov_b32 m0, s0
	s_sendmsg sendmsg(MSG_INTERRUPT)
	s_mov_b32 m0, ttmp2
.LBB6_3478:                             ; =>This Inner Loop Header: Depth=1
	s_sethalt 5
	s_branch .LBB6_3478
.LBB6_3479:
	s_trap 2
	s_sendmsg_rtn_b32 s0, sendmsg(MSG_RTN_GET_DOORBELL)
	s_mov_b32 ttmp2, m0
	s_waitcnt lgkmcnt(0)
	s_and_b32 s0, s0, 0x3ff
	s_delay_alu instid0(SALU_CYCLE_1) | instskip(NEXT) | instid1(SALU_CYCLE_1)
	s_bitset1_b32 s0, 10
	s_mov_b32 m0, s0
	s_sendmsg sendmsg(MSG_INTERRUPT)
	s_mov_b32 m0, ttmp2
.LBB6_3480:                             ; =>This Inner Loop Header: Depth=1
	s_sethalt 5
	s_branch .LBB6_3480
.LBB6_3481:                             ;   in Loop: Header=BB6_3485 Depth=1
	s_or_b32 exec_lo, exec_lo, s10
	v_mov_b32_e32 v4, 0
	s_or_not1_b32 s7, s7, exec_lo
.LBB6_3482:                             ;   in Loop: Header=BB6_3485 Depth=1
	s_or_b32 exec_lo, exec_lo, s6
	s_delay_alu instid0(VALU_DEP_1)
	v_mov_b32_e32 v0, v4
	s_and_b32 s6, s7, exec_lo
.LBB6_3483:                             ;   in Loop: Header=BB6_3485 Depth=1
	s_or_b32 exec_lo, exec_lo, s5
	s_xor_b32 s5, s6, -1
	s_and_not1_b32 s3, s3, exec_lo
	s_and_b32 s5, s5, exec_lo
	s_delay_alu instid0(SALU_CYCLE_1)
	s_or_b32 s3, s3, s5
.LBB6_3484:                             ;   in Loop: Header=BB6_3485 Depth=1
	s_or_b32 exec_lo, exec_lo, s4
	s_delay_alu instid0(SALU_CYCLE_1) | instskip(NEXT) | instid1(SALU_CYCLE_1)
	s_and_b32 s4, exec_lo, s3
	s_or_b32 s2, s4, s2
	s_delay_alu instid0(SALU_CYCLE_1)
	s_and_not1_b32 exec_lo, exec_lo, s2
	s_cbranch_execz .LBB6_3498
.LBB6_3485:                             ; =>This Inner Loop Header: Depth=1
	flat_load_b64 v[4:5], v[2:3] glc dlc
	s_waitcnt vmcnt(0)
	s_or_b32 s3, s3, exec_lo
	s_mov_b32 s4, exec_lo
	s_waitcnt lgkmcnt(0)
	v_cmpx_ne_u64_e32 -1, v[4:5]
	s_cbranch_execz .LBB6_3484
; %bb.3486:                             ;   in Loop: Header=BB6_3485 Depth=1
	v_and_b32_e32 v4, 64, v30
	s_mov_b32 s6, 0
	s_mov_b32 s5, exec_lo
	s_delay_alu instid0(VALU_DEP_1)
	v_cmpx_eq_u32_e32 0, v4
	s_cbranch_execz .LBB6_3483
; %bb.3487:                             ;   in Loop: Header=BB6_3485 Depth=1
	v_add_nc_u32_e32 v4, 1, v0
	s_mov_b32 s7, -1
	s_mov_b32 s6, exec_lo
	v_cmpx_lt_i32_e32 0x270e, v0
	s_cbranch_execz .LBB6_3482
; %bb.3488:                             ;   in Loop: Header=BB6_3485 Depth=1
	s_cbranch_execnz .LBB6_3492
; %bb.3489:                             ;   in Loop: Header=BB6_3485 Depth=1
	ds_load_b64 v[4:5], v0
	s_mov_b32 s10, exec_lo
	s_waitcnt lgkmcnt(0)
	s_waitcnt_vscnt null, 0x0
	flat_load_b32 v0, v[4:5] glc
	s_waitcnt vmcnt(0) lgkmcnt(0)
	buffer_gl1_inv
	buffer_gl0_inv
	v_cmpx_ne_u32_e32 0, v0
	s_cbranch_execz .LBB6_3481
; %bb.3490:                             ;   in Loop: Header=BB6_3485 Depth=1
	ds_store_b32 v0, v0
	s_cbranch_execnz .LBB6_3516
; %bb.3491:                             ;   in Loop: Header=BB6_3485 Depth=1
	v_or_b32_e32 v30, 64, v30
	s_xor_b32 s7, exec_lo, -1
	s_branch .LBB6_3481
.LBB6_3492:
	s_trap 2
	s_sendmsg_rtn_b32 s0, sendmsg(MSG_RTN_GET_DOORBELL)
	s_mov_b32 ttmp2, m0
	s_waitcnt lgkmcnt(0)
	s_and_b32 s0, s0, 0x3ff
	s_delay_alu instid0(SALU_CYCLE_1) | instskip(NEXT) | instid1(SALU_CYCLE_1)
	s_bitset1_b32 s0, 10
	s_mov_b32 m0, s0
	s_sendmsg sendmsg(MSG_INTERRUPT)
	s_mov_b32 m0, ttmp2
.LBB6_3493:                             ; =>This Inner Loop Header: Depth=1
	s_sethalt 5
	s_branch .LBB6_3493
.LBB6_3494:
	s_trap 2
	s_sendmsg_rtn_b32 s0, sendmsg(MSG_RTN_GET_DOORBELL)
	s_mov_b32 ttmp2, m0
	s_waitcnt lgkmcnt(0)
	s_and_b32 s0, s0, 0x3ff
	s_delay_alu instid0(SALU_CYCLE_1) | instskip(NEXT) | instid1(SALU_CYCLE_1)
	s_bitset1_b32 s0, 10
	s_mov_b32 m0, s0
	s_sendmsg sendmsg(MSG_INTERRUPT)
	s_mov_b32 m0, ttmp2
.LBB6_3495:                             ; =>This Inner Loop Header: Depth=1
	s_sethalt 5
	s_branch .LBB6_3495
.LBB6_3496:
	s_trap 2
	s_sendmsg_rtn_b32 s0, sendmsg(MSG_RTN_GET_DOORBELL)
	s_mov_b32 ttmp2, m0
	s_waitcnt lgkmcnt(0)
	s_and_b32 s0, s0, 0x3ff
	s_delay_alu instid0(SALU_CYCLE_1) | instskip(NEXT) | instid1(SALU_CYCLE_1)
	s_bitset1_b32 s0, 10
	s_mov_b32 m0, s0
	s_sendmsg sendmsg(MSG_INTERRUPT)
	s_mov_b32 m0, ttmp2
.LBB6_3497:                             ; =>This Inner Loop Header: Depth=1
	s_sethalt 5
	s_branch .LBB6_3497
.LBB6_3498:
	s_or_b32 exec_lo, exec_lo, s2
.LBB6_3499:
	s_delay_alu instid0(SALU_CYCLE_1) | instskip(SKIP_2) | instid1(VALU_DEP_1)
	s_or_b32 exec_lo, exec_lo, s1
	v_and_b32_e32 v0, 0x2000, v30
	s_mov_b32 s1, exec_lo
	v_cmpx_ne_u32_e32 0, v0
	s_cbranch_execz .LBB6_3502
; %bb.3500:
	s_cbranch_execnz .LBB6_3510
; %bb.3501:
	ds_load_b64 v[2:3], v0
	s_waitcnt lgkmcnt(0)
	flat_store_b64 v[52:53], v[2:3] offset:16
.LBB6_3502:
	s_or_b32 exec_lo, exec_lo, s1
	v_cmp_ne_u32_e32 vcc_lo, 32, v1
	s_and_b32 exec_lo, exec_lo, vcc_lo
	s_cbranch_execz .LBB6_3703
; %bb.3503:
	s_mov_b32 s1, exec_lo
	v_cmpx_ne_u32_e64 v132, v1
	s_xor_b32 s1, exec_lo, s1
	s_cbranch_execz .LBB6_3701
; %bb.3504:
	v_and_b32_e32 v0, 31, v31
	s_mov_b32 s2, exec_lo
	s_delay_alu instid0(VALU_DEP_1)
	v_cmpx_eq_u32_e32 0, v0
	s_cbranch_execz .LBB6_3700
; %bb.3505:
	s_mov_b32 s4, exec_lo
	s_mov_b32 s3, exec_lo
	v_mbcnt_lo_u32_b32 v0, s4, 0
	s_waitcnt lgkmcnt(0)
	s_waitcnt_vscnt null, 0x0
	buffer_gl1_inv
	buffer_gl0_inv
	v_cmpx_eq_u32_e32 0, v0
	s_cbranch_execz .LBB6_3507
; %bb.3506:
	s_bcnt1_i32_b32 s4, s4
	s_delay_alu instid0(SALU_CYCLE_1)
	v_dual_mov_b32 v3, 0 :: v_dual_mov_b32 v2, s4
	ds_add_u64 v0, v[2:3]
	s_cbranch_execnz .LBB6_3545
.LBB6_3507:
	s_or_b32 exec_lo, exec_lo, s3
	s_cbranch_execnz .LBB6_3524
; %bb.3508:
	v_ashrrev_i32_e32 v0, 31, v1
	s_mov_b32 s3, exec_lo
	s_delay_alu instid0(VALU_DEP_1) | instskip(NEXT) | instid1(VALU_DEP_1)
	v_lshrrev_b32_e32 v0, 27, v0
	v_add_nc_u32_e32 v0, v1, v0
	ds_load_b64 v[2:3], v0
	v_ashrrev_i32_e32 v0, 5, v0
	s_delay_alu instid0(VALU_DEP_1) | instskip(SKIP_1) | instid1(VALU_DEP_2)
	v_ashrrev_i32_e32 v1, 31, v0
	v_add_co_u32 v0, vcc_lo, v80, v0
	v_add_co_ci_u32_e32 v1, vcc_lo, v81, v1, vcc_lo
	s_waitcnt lgkmcnt(0)
	s_delay_alu instid0(VALU_DEP_1)
	v_cmpx_lt_u64_e64 v[2:3], v[0:1]
	s_cbranch_execz .LBB6_3699
; %bb.3509:
	s_mov_b32 s4, 0
	s_mov_b32 s7, 0
                                        ; implicit-def: $sgpr5
                                        ; implicit-def: $sgpr6
	s_branch .LBB6_3531
.LBB6_3510:
	s_trap 2
	s_sendmsg_rtn_b32 s0, sendmsg(MSG_RTN_GET_DOORBELL)
	s_mov_b32 ttmp2, m0
	s_waitcnt lgkmcnt(0)
	s_and_b32 s0, s0, 0x3ff
	s_delay_alu instid0(SALU_CYCLE_1) | instskip(NEXT) | instid1(SALU_CYCLE_1)
	s_bitset1_b32 s0, 10
	s_mov_b32 m0, s0
	s_sendmsg sendmsg(MSG_INTERRUPT)
	s_mov_b32 m0, ttmp2
.LBB6_3511:                             ; =>This Inner Loop Header: Depth=1
	s_sethalt 5
	s_branch .LBB6_3511
.LBB6_3512:
	s_trap 2
	s_sendmsg_rtn_b32 s0, sendmsg(MSG_RTN_GET_DOORBELL)
	s_mov_b32 ttmp2, m0
	s_waitcnt lgkmcnt(0)
	s_and_b32 s0, s0, 0x3ff
	s_delay_alu instid0(SALU_CYCLE_1) | instskip(NEXT) | instid1(SALU_CYCLE_1)
	s_bitset1_b32 s0, 10
	s_mov_b32 m0, s0
	s_sendmsg sendmsg(MSG_INTERRUPT)
	s_mov_b32 m0, ttmp2
.LBB6_3513:                             ; =>This Inner Loop Header: Depth=1
	s_sethalt 5
	s_branch .LBB6_3513
.LBB6_3514:
	s_trap 2
	s_sendmsg_rtn_b32 s0, sendmsg(MSG_RTN_GET_DOORBELL)
	s_mov_b32 ttmp2, m0
	s_waitcnt lgkmcnt(0)
	s_and_b32 s0, s0, 0x3ff
	s_delay_alu instid0(SALU_CYCLE_1) | instskip(NEXT) | instid1(SALU_CYCLE_1)
	s_bitset1_b32 s0, 10
	s_mov_b32 m0, s0
	s_sendmsg sendmsg(MSG_INTERRUPT)
	s_mov_b32 m0, ttmp2
.LBB6_3515:                             ; =>This Inner Loop Header: Depth=1
	s_sethalt 5
	s_branch .LBB6_3515
.LBB6_3516:
	s_trap 2
	s_sendmsg_rtn_b32 s0, sendmsg(MSG_RTN_GET_DOORBELL)
	s_mov_b32 ttmp2, m0
	s_waitcnt lgkmcnt(0)
	s_and_b32 s0, s0, 0x3ff
	s_delay_alu instid0(SALU_CYCLE_1) | instskip(NEXT) | instid1(SALU_CYCLE_1)
	s_bitset1_b32 s0, 10
	s_mov_b32 m0, s0
	s_sendmsg sendmsg(MSG_INTERRUPT)
	s_mov_b32 m0, ttmp2
.LBB6_3517:                             ; =>This Inner Loop Header: Depth=1
	s_sethalt 5
	s_branch .LBB6_3517
.LBB6_3518:
	s_trap 2
	s_sendmsg_rtn_b32 s0, sendmsg(MSG_RTN_GET_DOORBELL)
	s_mov_b32 ttmp2, m0
	s_waitcnt lgkmcnt(0)
	s_and_b32 s0, s0, 0x3ff
	s_delay_alu instid0(SALU_CYCLE_1) | instskip(NEXT) | instid1(SALU_CYCLE_1)
	s_bitset1_b32 s0, 10
	s_mov_b32 m0, s0
	s_sendmsg sendmsg(MSG_INTERRUPT)
	s_mov_b32 m0, ttmp2
.LBB6_3519:                             ; =>This Inner Loop Header: Depth=1
	s_sethalt 5
	s_branch .LBB6_3519
.LBB6_3520:
	s_trap 2
	s_sendmsg_rtn_b32 s0, sendmsg(MSG_RTN_GET_DOORBELL)
	s_mov_b32 ttmp2, m0
	s_waitcnt lgkmcnt(0)
	s_and_b32 s0, s0, 0x3ff
	s_delay_alu instid0(SALU_CYCLE_1) | instskip(NEXT) | instid1(SALU_CYCLE_1)
	s_bitset1_b32 s0, 10
	s_mov_b32 m0, s0
	s_sendmsg sendmsg(MSG_INTERRUPT)
	s_mov_b32 m0, ttmp2
.LBB6_3521:                             ; =>This Inner Loop Header: Depth=1
	s_sethalt 5
	s_branch .LBB6_3521
.LBB6_3522:
	s_trap 2
	s_sendmsg_rtn_b32 s0, sendmsg(MSG_RTN_GET_DOORBELL)
	s_mov_b32 ttmp2, m0
	s_waitcnt lgkmcnt(0)
	s_and_b32 s0, s0, 0x3ff
	s_delay_alu instid0(SALU_CYCLE_1) | instskip(NEXT) | instid1(SALU_CYCLE_1)
	s_bitset1_b32 s0, 10
	s_mov_b32 m0, s0
	s_sendmsg sendmsg(MSG_INTERRUPT)
	s_mov_b32 m0, ttmp2
.LBB6_3523:                             ; =>This Inner Loop Header: Depth=1
	s_sethalt 5
	s_branch .LBB6_3523
.LBB6_3524:
	s_trap 2
	s_sendmsg_rtn_b32 s0, sendmsg(MSG_RTN_GET_DOORBELL)
	s_mov_b32 ttmp2, m0
	s_waitcnt lgkmcnt(0)
	s_and_b32 s0, s0, 0x3ff
	s_delay_alu instid0(SALU_CYCLE_1) | instskip(NEXT) | instid1(SALU_CYCLE_1)
	s_bitset1_b32 s0, 10
	s_mov_b32 m0, s0
	s_sendmsg sendmsg(MSG_INTERRUPT)
	s_mov_b32 m0, ttmp2
.LBB6_3525:                             ; =>This Inner Loop Header: Depth=1
	s_sethalt 5
	s_branch .LBB6_3525
.LBB6_3526:
	s_trap 2
	s_sendmsg_rtn_b32 s0, sendmsg(MSG_RTN_GET_DOORBELL)
	s_mov_b32 ttmp2, m0
	s_waitcnt lgkmcnt(0)
	s_and_b32 s0, s0, 0x3ff
	s_delay_alu instid0(SALU_CYCLE_1) | instskip(NEXT) | instid1(SALU_CYCLE_1)
	s_bitset1_b32 s0, 10
	s_mov_b32 m0, s0
	s_sendmsg sendmsg(MSG_INTERRUPT)
	s_mov_b32 m0, ttmp2
.LBB6_3527:                             ; =>This Inner Loop Header: Depth=1
	s_sethalt 5
	s_branch .LBB6_3527
.LBB6_3528:
	s_trap 2
	s_sendmsg_rtn_b32 s0, sendmsg(MSG_RTN_GET_DOORBELL)
	s_mov_b32 ttmp2, m0
	s_waitcnt lgkmcnt(0)
	s_and_b32 s0, s0, 0x3ff
	s_delay_alu instid0(SALU_CYCLE_1) | instskip(NEXT) | instid1(SALU_CYCLE_1)
	s_bitset1_b32 s0, 10
	s_mov_b32 m0, s0
	s_sendmsg sendmsg(MSG_INTERRUPT)
	s_mov_b32 m0, ttmp2
.LBB6_3529:                             ; =>This Inner Loop Header: Depth=1
	s_sethalt 5
	s_branch .LBB6_3529
.LBB6_3530:                             ;   in Loop: Header=BB6_3531 Depth=1
	s_or_b32 exec_lo, exec_lo, s12
	s_delay_alu instid0(SALU_CYCLE_1) | instskip(NEXT) | instid1(SALU_CYCLE_1)
	s_and_b32 s10, exec_lo, s11
	s_or_b32 s4, s10, s4
	s_and_not1_b32 s5, s5, exec_lo
	s_and_b32 s10, s6, exec_lo
	s_delay_alu instid0(SALU_CYCLE_1)
	s_or_b32 s5, s5, s10
	s_and_not1_b32 exec_lo, exec_lo, s4
	s_cbranch_execz .LBB6_3697
.LBB6_3531:                             ; =>This Inner Loop Header: Depth=1
	s_add_i32 s7, s7, 1
                                        ; implicit-def: $sgpr11
	s_delay_alu instid0(SALU_CYCLE_1) | instskip(SKIP_1) | instid1(SALU_CYCLE_1)
	s_cmpk_lg_i32 s7, 0x2710
	s_cselect_b32 s10, -1, 0
	s_and_b32 vcc_lo, exec_lo, s10
	s_cbranch_vccz .LBB6_3535
.LBB6_3532:                             ;   in Loop: Header=BB6_3531 Depth=1
	s_and_not1_b32 s6, s6, exec_lo
	s_and_b32 s12, s11, exec_lo
	s_mov_b32 s11, -1
	s_or_b32 s6, s6, s12
	s_and_saveexec_b32 s12, s10
	s_cbranch_execz .LBB6_3530
; %bb.3533:                             ;   in Loop: Header=BB6_3531 Depth=1
	s_sleep 1
	s_cbranch_execnz .LBB6_3583
; %bb.3534:                             ;   in Loop: Header=BB6_3531 Depth=1
	ds_load_b64 v[2:3], v0
	s_and_not1_b32 s6, s6, exec_lo
	s_waitcnt lgkmcnt(0)
	v_cmp_ge_u64_e32 vcc_lo, v[2:3], v[0:1]
	s_or_not1_b32 s11, vcc_lo, exec_lo
	s_branch .LBB6_3530
.LBB6_3535:                             ;   in Loop: Header=BB6_3531 Depth=1
	s_cbranch_execnz .LBB6_3585
; %bb.3536:                             ;   in Loop: Header=BB6_3531 Depth=1
	ds_load_b64 v[2:3], v0
	s_and_not1_b32 s10, s10, exec_lo
	s_mov_b32 s7, 0
	s_mov_b32 s11, -1
	s_waitcnt lgkmcnt(0)
	flat_load_b32 v2, v[2:3] glc
	s_waitcnt vmcnt(0) lgkmcnt(0)
	buffer_gl1_inv
	buffer_gl0_inv
	v_cmp_eq_u32_e32 vcc_lo, 0, v2
	s_and_b32 s12, vcc_lo, exec_lo
	s_delay_alu instid0(SALU_CYCLE_1)
	s_or_b32 s10, s10, s12
	s_branch .LBB6_3532
.LBB6_3537:
	s_trap 2
	s_sendmsg_rtn_b32 s0, sendmsg(MSG_RTN_GET_DOORBELL)
	s_mov_b32 ttmp2, m0
	s_waitcnt lgkmcnt(0)
	s_and_b32 s0, s0, 0x3ff
	s_delay_alu instid0(SALU_CYCLE_1) | instskip(NEXT) | instid1(SALU_CYCLE_1)
	s_bitset1_b32 s0, 10
	s_mov_b32 m0, s0
	s_sendmsg sendmsg(MSG_INTERRUPT)
	s_mov_b32 m0, ttmp2
.LBB6_3538:                             ; =>This Inner Loop Header: Depth=1
	s_sethalt 5
	s_branch .LBB6_3538
.LBB6_3539:
	s_trap 2
	s_sendmsg_rtn_b32 s0, sendmsg(MSG_RTN_GET_DOORBELL)
	s_mov_b32 ttmp2, m0
	s_waitcnt lgkmcnt(0)
	s_and_b32 s0, s0, 0x3ff
	s_delay_alu instid0(SALU_CYCLE_1) | instskip(NEXT) | instid1(SALU_CYCLE_1)
	s_bitset1_b32 s0, 10
	s_mov_b32 m0, s0
	s_sendmsg sendmsg(MSG_INTERRUPT)
	s_mov_b32 m0, ttmp2
.LBB6_3540:                             ; =>This Inner Loop Header: Depth=1
	s_sethalt 5
	s_branch .LBB6_3540
.LBB6_3541:
	s_trap 2
	s_sendmsg_rtn_b32 s0, sendmsg(MSG_RTN_GET_DOORBELL)
	s_mov_b32 ttmp2, m0
	s_waitcnt lgkmcnt(0)
	s_and_b32 s0, s0, 0x3ff
	s_delay_alu instid0(SALU_CYCLE_1) | instskip(NEXT) | instid1(SALU_CYCLE_1)
	s_bitset1_b32 s0, 10
	s_mov_b32 m0, s0
	s_sendmsg sendmsg(MSG_INTERRUPT)
	s_mov_b32 m0, ttmp2
.LBB6_3542:                             ; =>This Inner Loop Header: Depth=1
	s_sethalt 5
	s_branch .LBB6_3542
.LBB6_3543:
	s_trap 2
	s_sendmsg_rtn_b32 s0, sendmsg(MSG_RTN_GET_DOORBELL)
	s_mov_b32 ttmp2, m0
	s_waitcnt lgkmcnt(0)
	s_and_b32 s0, s0, 0x3ff
	s_delay_alu instid0(SALU_CYCLE_1) | instskip(NEXT) | instid1(SALU_CYCLE_1)
	s_bitset1_b32 s0, 10
	s_mov_b32 m0, s0
	s_sendmsg sendmsg(MSG_INTERRUPT)
	s_mov_b32 m0, ttmp2
.LBB6_3544:                             ; =>This Inner Loop Header: Depth=1
	s_sethalt 5
	s_branch .LBB6_3544
.LBB6_3545:
	s_trap 2
	s_sendmsg_rtn_b32 s0, sendmsg(MSG_RTN_GET_DOORBELL)
	s_mov_b32 ttmp2, m0
	s_waitcnt lgkmcnt(0)
	s_and_b32 s0, s0, 0x3ff
	s_delay_alu instid0(SALU_CYCLE_1) | instskip(NEXT) | instid1(SALU_CYCLE_1)
	s_bitset1_b32 s0, 10
	s_mov_b32 m0, s0
	s_sendmsg sendmsg(MSG_INTERRUPT)
	s_mov_b32 m0, ttmp2
.LBB6_3546:                             ; =>This Inner Loop Header: Depth=1
	s_sethalt 5
	s_branch .LBB6_3546
.LBB6_3547:
	s_trap 2
	s_sendmsg_rtn_b32 s0, sendmsg(MSG_RTN_GET_DOORBELL)
	s_mov_b32 ttmp2, m0
	s_waitcnt lgkmcnt(0)
	s_and_b32 s0, s0, 0x3ff
	s_delay_alu instid0(SALU_CYCLE_1) | instskip(NEXT) | instid1(SALU_CYCLE_1)
	s_bitset1_b32 s0, 10
	s_mov_b32 m0, s0
	s_sendmsg sendmsg(MSG_INTERRUPT)
	s_mov_b32 m0, ttmp2
.LBB6_3548:                             ; =>This Inner Loop Header: Depth=1
	s_sethalt 5
	s_branch .LBB6_3548
.LBB6_3549:
	s_trap 2
	s_sendmsg_rtn_b32 s0, sendmsg(MSG_RTN_GET_DOORBELL)
	s_mov_b32 ttmp2, m0
	s_waitcnt lgkmcnt(0)
	s_and_b32 s0, s0, 0x3ff
	s_delay_alu instid0(SALU_CYCLE_1) | instskip(NEXT) | instid1(SALU_CYCLE_1)
	s_bitset1_b32 s0, 10
	s_mov_b32 m0, s0
	s_sendmsg sendmsg(MSG_INTERRUPT)
	s_mov_b32 m0, ttmp2
.LBB6_3550:                             ; =>This Inner Loop Header: Depth=1
	s_sethalt 5
	s_branch .LBB6_3550
.LBB6_3551:
	s_trap 2
	s_sendmsg_rtn_b32 s0, sendmsg(MSG_RTN_GET_DOORBELL)
	s_mov_b32 ttmp2, m0
	s_waitcnt lgkmcnt(0)
	s_and_b32 s0, s0, 0x3ff
	s_delay_alu instid0(SALU_CYCLE_1) | instskip(NEXT) | instid1(SALU_CYCLE_1)
	s_bitset1_b32 s0, 10
	s_mov_b32 m0, s0
	s_sendmsg sendmsg(MSG_INTERRUPT)
	s_mov_b32 m0, ttmp2
.LBB6_3552:                             ; =>This Inner Loop Header: Depth=1
	s_sethalt 5
	s_branch .LBB6_3552
.LBB6_3553:
	s_trap 2
	s_sendmsg_rtn_b32 s0, sendmsg(MSG_RTN_GET_DOORBELL)
	s_mov_b32 ttmp2, m0
	s_waitcnt lgkmcnt(0)
	s_and_b32 s0, s0, 0x3ff
	s_delay_alu instid0(SALU_CYCLE_1) | instskip(NEXT) | instid1(SALU_CYCLE_1)
	s_bitset1_b32 s0, 10
	s_mov_b32 m0, s0
	s_sendmsg sendmsg(MSG_INTERRUPT)
	s_mov_b32 m0, ttmp2
.LBB6_3554:                             ; =>This Inner Loop Header: Depth=1
	s_sethalt 5
	s_branch .LBB6_3554
.LBB6_3555:
	s_trap 2
	s_sendmsg_rtn_b32 s0, sendmsg(MSG_RTN_GET_DOORBELL)
	s_mov_b32 ttmp2, m0
	s_waitcnt lgkmcnt(0)
	s_and_b32 s0, s0, 0x3ff
	s_delay_alu instid0(SALU_CYCLE_1) | instskip(NEXT) | instid1(SALU_CYCLE_1)
	s_bitset1_b32 s0, 10
	s_mov_b32 m0, s0
	s_sendmsg sendmsg(MSG_INTERRUPT)
	s_mov_b32 m0, ttmp2
.LBB6_3556:                             ; =>This Inner Loop Header: Depth=1
	s_sethalt 5
	s_branch .LBB6_3556
.LBB6_3557:
	s_trap 2
	s_sendmsg_rtn_b32 s0, sendmsg(MSG_RTN_GET_DOORBELL)
	s_mov_b32 ttmp2, m0
	s_waitcnt lgkmcnt(0)
	s_and_b32 s0, s0, 0x3ff
	s_delay_alu instid0(SALU_CYCLE_1) | instskip(NEXT) | instid1(SALU_CYCLE_1)
	s_bitset1_b32 s0, 10
	s_mov_b32 m0, s0
	s_sendmsg sendmsg(MSG_INTERRUPT)
	s_mov_b32 m0, ttmp2
.LBB6_3558:                             ; =>This Inner Loop Header: Depth=1
	s_sethalt 5
	s_branch .LBB6_3558
.LBB6_3559:
	s_trap 2
	s_sendmsg_rtn_b32 s0, sendmsg(MSG_RTN_GET_DOORBELL)
	s_mov_b32 ttmp2, m0
	s_waitcnt lgkmcnt(0)
	s_and_b32 s0, s0, 0x3ff
	s_delay_alu instid0(SALU_CYCLE_1) | instskip(NEXT) | instid1(SALU_CYCLE_1)
	s_bitset1_b32 s0, 10
	s_mov_b32 m0, s0
	s_sendmsg sendmsg(MSG_INTERRUPT)
	s_mov_b32 m0, ttmp2
.LBB6_3560:                             ; =>This Inner Loop Header: Depth=1
	s_sethalt 5
	s_branch .LBB6_3560
.LBB6_3561:
	s_trap 2
	s_sendmsg_rtn_b32 s0, sendmsg(MSG_RTN_GET_DOORBELL)
	s_mov_b32 ttmp2, m0
	s_waitcnt lgkmcnt(0)
	s_and_b32 s0, s0, 0x3ff
	s_delay_alu instid0(SALU_CYCLE_1) | instskip(NEXT) | instid1(SALU_CYCLE_1)
	s_bitset1_b32 s0, 10
	s_mov_b32 m0, s0
	s_sendmsg sendmsg(MSG_INTERRUPT)
	s_mov_b32 m0, ttmp2
.LBB6_3562:                             ; =>This Inner Loop Header: Depth=1
	s_sethalt 5
	s_branch .LBB6_3562
.LBB6_3563:
	s_trap 2
	s_sendmsg_rtn_b32 s0, sendmsg(MSG_RTN_GET_DOORBELL)
	s_mov_b32 ttmp2, m0
	s_waitcnt lgkmcnt(0)
	s_and_b32 s0, s0, 0x3ff
	s_delay_alu instid0(SALU_CYCLE_1) | instskip(NEXT) | instid1(SALU_CYCLE_1)
	s_bitset1_b32 s0, 10
	s_mov_b32 m0, s0
	s_sendmsg sendmsg(MSG_INTERRUPT)
	s_mov_b32 m0, ttmp2
.LBB6_3564:                             ; =>This Inner Loop Header: Depth=1
	s_sethalt 5
	s_branch .LBB6_3564
.LBB6_3565:
	s_trap 2
	s_sendmsg_rtn_b32 s0, sendmsg(MSG_RTN_GET_DOORBELL)
	s_mov_b32 ttmp2, m0
	s_waitcnt lgkmcnt(0)
	s_and_b32 s0, s0, 0x3ff
	s_delay_alu instid0(SALU_CYCLE_1) | instskip(NEXT) | instid1(SALU_CYCLE_1)
	s_bitset1_b32 s0, 10
	s_mov_b32 m0, s0
	s_sendmsg sendmsg(MSG_INTERRUPT)
	s_mov_b32 m0, ttmp2
.LBB6_3566:                             ; =>This Inner Loop Header: Depth=1
	s_sethalt 5
	s_branch .LBB6_3566
.LBB6_3567:
	s_trap 2
	s_sendmsg_rtn_b32 s0, sendmsg(MSG_RTN_GET_DOORBELL)
	s_mov_b32 ttmp2, m0
	s_waitcnt lgkmcnt(0)
	s_and_b32 s0, s0, 0x3ff
	s_delay_alu instid0(SALU_CYCLE_1) | instskip(NEXT) | instid1(SALU_CYCLE_1)
	s_bitset1_b32 s0, 10
	s_mov_b32 m0, s0
	s_sendmsg sendmsg(MSG_INTERRUPT)
	s_mov_b32 m0, ttmp2
.LBB6_3568:                             ; =>This Inner Loop Header: Depth=1
	s_sethalt 5
	s_branch .LBB6_3568
.LBB6_3569:
	s_trap 2
	s_sendmsg_rtn_b32 s0, sendmsg(MSG_RTN_GET_DOORBELL)
	s_mov_b32 ttmp2, m0
	s_waitcnt lgkmcnt(0)
	s_and_b32 s0, s0, 0x3ff
	s_delay_alu instid0(SALU_CYCLE_1) | instskip(NEXT) | instid1(SALU_CYCLE_1)
	s_bitset1_b32 s0, 10
	s_mov_b32 m0, s0
	s_sendmsg sendmsg(MSG_INTERRUPT)
	s_mov_b32 m0, ttmp2
.LBB6_3570:                             ; =>This Inner Loop Header: Depth=1
	s_sethalt 5
	s_branch .LBB6_3570
.LBB6_3571:
	s_trap 2
	s_sendmsg_rtn_b32 s0, sendmsg(MSG_RTN_GET_DOORBELL)
	s_mov_b32 ttmp2, m0
	s_waitcnt lgkmcnt(0)
	s_and_b32 s0, s0, 0x3ff
	s_delay_alu instid0(SALU_CYCLE_1) | instskip(NEXT) | instid1(SALU_CYCLE_1)
	s_bitset1_b32 s0, 10
	s_mov_b32 m0, s0
	s_sendmsg sendmsg(MSG_INTERRUPT)
	s_mov_b32 m0, ttmp2
.LBB6_3572:                             ; =>This Inner Loop Header: Depth=1
	s_sethalt 5
	s_branch .LBB6_3572
.LBB6_3573:
	s_trap 2
	s_sendmsg_rtn_b32 s0, sendmsg(MSG_RTN_GET_DOORBELL)
	s_mov_b32 ttmp2, m0
	s_waitcnt lgkmcnt(0)
	s_and_b32 s0, s0, 0x3ff
	s_delay_alu instid0(SALU_CYCLE_1) | instskip(NEXT) | instid1(SALU_CYCLE_1)
	s_bitset1_b32 s0, 10
	s_mov_b32 m0, s0
	s_sendmsg sendmsg(MSG_INTERRUPT)
	s_mov_b32 m0, ttmp2
.LBB6_3574:                             ; =>This Inner Loop Header: Depth=1
	s_sethalt 5
	s_branch .LBB6_3574
.LBB6_3575:
	s_trap 2
	s_sendmsg_rtn_b32 s0, sendmsg(MSG_RTN_GET_DOORBELL)
	s_mov_b32 ttmp2, m0
	s_waitcnt lgkmcnt(0)
	s_and_b32 s0, s0, 0x3ff
	s_delay_alu instid0(SALU_CYCLE_1) | instskip(NEXT) | instid1(SALU_CYCLE_1)
	s_bitset1_b32 s0, 10
	s_mov_b32 m0, s0
	s_sendmsg sendmsg(MSG_INTERRUPT)
	s_mov_b32 m0, ttmp2
.LBB6_3576:                             ; =>This Inner Loop Header: Depth=1
	s_sethalt 5
	s_branch .LBB6_3576
.LBB6_3577:
	s_trap 2
	s_sendmsg_rtn_b32 s0, sendmsg(MSG_RTN_GET_DOORBELL)
	s_mov_b32 ttmp2, m0
	s_waitcnt lgkmcnt(0)
	s_and_b32 s0, s0, 0x3ff
	s_delay_alu instid0(SALU_CYCLE_1) | instskip(NEXT) | instid1(SALU_CYCLE_1)
	s_bitset1_b32 s0, 10
	s_mov_b32 m0, s0
	s_sendmsg sendmsg(MSG_INTERRUPT)
	s_mov_b32 m0, ttmp2
.LBB6_3578:                             ; =>This Inner Loop Header: Depth=1
	s_sethalt 5
	s_branch .LBB6_3578
.LBB6_3579:
	s_trap 2
	s_sendmsg_rtn_b32 s0, sendmsg(MSG_RTN_GET_DOORBELL)
	s_mov_b32 ttmp2, m0
	s_waitcnt lgkmcnt(0)
	s_and_b32 s0, s0, 0x3ff
	s_delay_alu instid0(SALU_CYCLE_1) | instskip(NEXT) | instid1(SALU_CYCLE_1)
	s_bitset1_b32 s0, 10
	s_mov_b32 m0, s0
	s_sendmsg sendmsg(MSG_INTERRUPT)
	s_mov_b32 m0, ttmp2
.LBB6_3580:                             ; =>This Inner Loop Header: Depth=1
	s_sethalt 5
	s_branch .LBB6_3580
.LBB6_3581:
	s_trap 2
	s_sendmsg_rtn_b32 s0, sendmsg(MSG_RTN_GET_DOORBELL)
	s_mov_b32 ttmp2, m0
	s_waitcnt lgkmcnt(0)
	s_and_b32 s0, s0, 0x3ff
	s_delay_alu instid0(SALU_CYCLE_1) | instskip(NEXT) | instid1(SALU_CYCLE_1)
	s_bitset1_b32 s0, 10
	s_mov_b32 m0, s0
	s_sendmsg sendmsg(MSG_INTERRUPT)
	s_mov_b32 m0, ttmp2
.LBB6_3582:                             ; =>This Inner Loop Header: Depth=1
	s_sethalt 5
	s_branch .LBB6_3582
.LBB6_3583:
	s_trap 2
	s_sendmsg_rtn_b32 s0, sendmsg(MSG_RTN_GET_DOORBELL)
	s_mov_b32 ttmp2, m0
	s_waitcnt lgkmcnt(0)
	s_and_b32 s0, s0, 0x3ff
	s_delay_alu instid0(SALU_CYCLE_1) | instskip(NEXT) | instid1(SALU_CYCLE_1)
	s_bitset1_b32 s0, 10
	s_mov_b32 m0, s0
	s_sendmsg sendmsg(MSG_INTERRUPT)
	s_mov_b32 m0, ttmp2
.LBB6_3584:                             ; =>This Inner Loop Header: Depth=1
	s_sethalt 5
	s_branch .LBB6_3584
.LBB6_3585:
	s_trap 2
	s_sendmsg_rtn_b32 s0, sendmsg(MSG_RTN_GET_DOORBELL)
	s_mov_b32 ttmp2, m0
	s_waitcnt lgkmcnt(0)
	s_and_b32 s0, s0, 0x3ff
	s_delay_alu instid0(SALU_CYCLE_1) | instskip(NEXT) | instid1(SALU_CYCLE_1)
	s_bitset1_b32 s0, 10
	s_mov_b32 m0, s0
	s_sendmsg sendmsg(MSG_INTERRUPT)
	s_mov_b32 m0, ttmp2
.LBB6_3586:                             ; =>This Inner Loop Header: Depth=1
	s_sethalt 5
	s_branch .LBB6_3586
.LBB6_3587:
	s_trap 2
	s_sendmsg_rtn_b32 s0, sendmsg(MSG_RTN_GET_DOORBELL)
	s_mov_b32 ttmp2, m0
	s_waitcnt lgkmcnt(0)
	s_and_b32 s0, s0, 0x3ff
	s_delay_alu instid0(SALU_CYCLE_1) | instskip(NEXT) | instid1(SALU_CYCLE_1)
	s_bitset1_b32 s0, 10
	s_mov_b32 m0, s0
	s_sendmsg sendmsg(MSG_INTERRUPT)
	s_mov_b32 m0, ttmp2
.LBB6_3588:                             ; =>This Inner Loop Header: Depth=1
	s_sethalt 5
	s_branch .LBB6_3588
.LBB6_3589:
	s_trap 2
	s_sendmsg_rtn_b32 s0, sendmsg(MSG_RTN_GET_DOORBELL)
	s_mov_b32 ttmp2, m0
	s_waitcnt lgkmcnt(0)
	s_and_b32 s0, s0, 0x3ff
	s_delay_alu instid0(SALU_CYCLE_1) | instskip(NEXT) | instid1(SALU_CYCLE_1)
	s_bitset1_b32 s0, 10
	s_mov_b32 m0, s0
	s_sendmsg sendmsg(MSG_INTERRUPT)
	s_mov_b32 m0, ttmp2
.LBB6_3590:                             ; =>This Inner Loop Header: Depth=1
	s_sethalt 5
	s_branch .LBB6_3590
.LBB6_3591:
	s_trap 2
	s_sendmsg_rtn_b32 s0, sendmsg(MSG_RTN_GET_DOORBELL)
	s_mov_b32 ttmp2, m0
	s_waitcnt lgkmcnt(0)
	s_and_b32 s0, s0, 0x3ff
	s_delay_alu instid0(SALU_CYCLE_1) | instskip(NEXT) | instid1(SALU_CYCLE_1)
	s_bitset1_b32 s0, 10
	s_mov_b32 m0, s0
	s_sendmsg sendmsg(MSG_INTERRUPT)
	s_mov_b32 m0, ttmp2
.LBB6_3592:                             ; =>This Inner Loop Header: Depth=1
	s_sethalt 5
	s_branch .LBB6_3592
.LBB6_3593:
	s_trap 2
	s_sendmsg_rtn_b32 s0, sendmsg(MSG_RTN_GET_DOORBELL)
	s_mov_b32 ttmp2, m0
	s_waitcnt lgkmcnt(0)
	s_and_b32 s0, s0, 0x3ff
	s_delay_alu instid0(SALU_CYCLE_1) | instskip(NEXT) | instid1(SALU_CYCLE_1)
	s_bitset1_b32 s0, 10
	s_mov_b32 m0, s0
	s_sendmsg sendmsg(MSG_INTERRUPT)
	s_mov_b32 m0, ttmp2
.LBB6_3594:                             ; =>This Inner Loop Header: Depth=1
	s_sethalt 5
	s_branch .LBB6_3594
.LBB6_3595:
	s_trap 2
	s_sendmsg_rtn_b32 s0, sendmsg(MSG_RTN_GET_DOORBELL)
	s_mov_b32 ttmp2, m0
	s_waitcnt lgkmcnt(0)
	s_and_b32 s0, s0, 0x3ff
	s_delay_alu instid0(SALU_CYCLE_1) | instskip(NEXT) | instid1(SALU_CYCLE_1)
	s_bitset1_b32 s0, 10
	s_mov_b32 m0, s0
	s_sendmsg sendmsg(MSG_INTERRUPT)
	s_mov_b32 m0, ttmp2
.LBB6_3596:                             ; =>This Inner Loop Header: Depth=1
	s_sethalt 5
	s_branch .LBB6_3596
.LBB6_3597:
	s_trap 2
	s_sendmsg_rtn_b32 s0, sendmsg(MSG_RTN_GET_DOORBELL)
	s_mov_b32 ttmp2, m0
	s_waitcnt lgkmcnt(0)
	s_and_b32 s0, s0, 0x3ff
	s_delay_alu instid0(SALU_CYCLE_1) | instskip(NEXT) | instid1(SALU_CYCLE_1)
	s_bitset1_b32 s0, 10
	s_mov_b32 m0, s0
	s_sendmsg sendmsg(MSG_INTERRUPT)
	s_mov_b32 m0, ttmp2
.LBB6_3598:                             ; =>This Inner Loop Header: Depth=1
	s_sethalt 5
	s_branch .LBB6_3598
.LBB6_3599:
	s_trap 2
	s_sendmsg_rtn_b32 s0, sendmsg(MSG_RTN_GET_DOORBELL)
	s_mov_b32 ttmp2, m0
	s_waitcnt lgkmcnt(0)
	s_and_b32 s0, s0, 0x3ff
	s_delay_alu instid0(SALU_CYCLE_1) | instskip(NEXT) | instid1(SALU_CYCLE_1)
	s_bitset1_b32 s0, 10
	s_mov_b32 m0, s0
	s_sendmsg sendmsg(MSG_INTERRUPT)
	s_mov_b32 m0, ttmp2
.LBB6_3600:                             ; =>This Inner Loop Header: Depth=1
	s_sethalt 5
	s_branch .LBB6_3600
.LBB6_3601:
	s_trap 2
	s_sendmsg_rtn_b32 s0, sendmsg(MSG_RTN_GET_DOORBELL)
	s_mov_b32 ttmp2, m0
	s_waitcnt lgkmcnt(0)
	s_and_b32 s0, s0, 0x3ff
	s_delay_alu instid0(SALU_CYCLE_1) | instskip(NEXT) | instid1(SALU_CYCLE_1)
	s_bitset1_b32 s0, 10
	s_mov_b32 m0, s0
	s_sendmsg sendmsg(MSG_INTERRUPT)
	s_mov_b32 m0, ttmp2
.LBB6_3602:                             ; =>This Inner Loop Header: Depth=1
	s_sethalt 5
	s_branch .LBB6_3602
.LBB6_3603:
	s_trap 2
	s_sendmsg_rtn_b32 s0, sendmsg(MSG_RTN_GET_DOORBELL)
	s_mov_b32 ttmp2, m0
	s_waitcnt lgkmcnt(0)
	s_and_b32 s0, s0, 0x3ff
	s_delay_alu instid0(SALU_CYCLE_1) | instskip(NEXT) | instid1(SALU_CYCLE_1)
	s_bitset1_b32 s0, 10
	s_mov_b32 m0, s0
	s_sendmsg sendmsg(MSG_INTERRUPT)
	s_mov_b32 m0, ttmp2
.LBB6_3604:                             ; =>This Inner Loop Header: Depth=1
	s_sethalt 5
	s_branch .LBB6_3604
.LBB6_3605:
	s_trap 2
	s_sendmsg_rtn_b32 s0, sendmsg(MSG_RTN_GET_DOORBELL)
	s_mov_b32 ttmp2, m0
	s_waitcnt lgkmcnt(0)
	s_and_b32 s0, s0, 0x3ff
	s_delay_alu instid0(SALU_CYCLE_1) | instskip(NEXT) | instid1(SALU_CYCLE_1)
	s_bitset1_b32 s0, 10
	s_mov_b32 m0, s0
	s_sendmsg sendmsg(MSG_INTERRUPT)
	s_mov_b32 m0, ttmp2
.LBB6_3606:                             ; =>This Inner Loop Header: Depth=1
	s_sethalt 5
	s_branch .LBB6_3606
.LBB6_3607:
	s_trap 2
	s_sendmsg_rtn_b32 s0, sendmsg(MSG_RTN_GET_DOORBELL)
	s_mov_b32 ttmp2, m0
	s_waitcnt lgkmcnt(0)
	s_and_b32 s0, s0, 0x3ff
	s_delay_alu instid0(SALU_CYCLE_1) | instskip(NEXT) | instid1(SALU_CYCLE_1)
	s_bitset1_b32 s0, 10
	s_mov_b32 m0, s0
	s_sendmsg sendmsg(MSG_INTERRUPT)
	s_mov_b32 m0, ttmp2
.LBB6_3608:                             ; =>This Inner Loop Header: Depth=1
	s_sethalt 5
	s_branch .LBB6_3608
.LBB6_3609:
	s_trap 2
	s_sendmsg_rtn_b32 s0, sendmsg(MSG_RTN_GET_DOORBELL)
	s_mov_b32 ttmp2, m0
	s_waitcnt lgkmcnt(0)
	s_and_b32 s0, s0, 0x3ff
	s_delay_alu instid0(SALU_CYCLE_1) | instskip(NEXT) | instid1(SALU_CYCLE_1)
	s_bitset1_b32 s0, 10
	s_mov_b32 m0, s0
	s_sendmsg sendmsg(MSG_INTERRUPT)
	s_mov_b32 m0, ttmp2
.LBB6_3610:                             ; =>This Inner Loop Header: Depth=1
	s_sethalt 5
	s_branch .LBB6_3610
.LBB6_3611:
	s_trap 2
	s_sendmsg_rtn_b32 s0, sendmsg(MSG_RTN_GET_DOORBELL)
	s_mov_b32 ttmp2, m0
	s_waitcnt lgkmcnt(0)
	s_and_b32 s0, s0, 0x3ff
	s_delay_alu instid0(SALU_CYCLE_1) | instskip(NEXT) | instid1(SALU_CYCLE_1)
	s_bitset1_b32 s0, 10
	s_mov_b32 m0, s0
	s_sendmsg sendmsg(MSG_INTERRUPT)
	s_mov_b32 m0, ttmp2
.LBB6_3612:                             ; =>This Inner Loop Header: Depth=1
	s_sethalt 5
	s_branch .LBB6_3612
.LBB6_3613:
	s_trap 2
	s_sendmsg_rtn_b32 s0, sendmsg(MSG_RTN_GET_DOORBELL)
	s_mov_b32 ttmp2, m0
	s_waitcnt lgkmcnt(0)
	s_and_b32 s0, s0, 0x3ff
	s_delay_alu instid0(SALU_CYCLE_1) | instskip(NEXT) | instid1(SALU_CYCLE_1)
	s_bitset1_b32 s0, 10
	s_mov_b32 m0, s0
	s_sendmsg sendmsg(MSG_INTERRUPT)
	s_mov_b32 m0, ttmp2
.LBB6_3614:                             ; =>This Inner Loop Header: Depth=1
	s_sethalt 5
	s_branch .LBB6_3614
.LBB6_3615:
	s_trap 2
	s_sendmsg_rtn_b32 s0, sendmsg(MSG_RTN_GET_DOORBELL)
	s_mov_b32 ttmp2, m0
	s_waitcnt lgkmcnt(0)
	s_and_b32 s0, s0, 0x3ff
	s_delay_alu instid0(SALU_CYCLE_1) | instskip(NEXT) | instid1(SALU_CYCLE_1)
	s_bitset1_b32 s0, 10
	s_mov_b32 m0, s0
	s_sendmsg sendmsg(MSG_INTERRUPT)
	s_mov_b32 m0, ttmp2
.LBB6_3616:                             ; =>This Inner Loop Header: Depth=1
	s_sethalt 5
	s_branch .LBB6_3616
.LBB6_3617:
	s_trap 2
	s_sendmsg_rtn_b32 s0, sendmsg(MSG_RTN_GET_DOORBELL)
	s_mov_b32 ttmp2, m0
	s_waitcnt lgkmcnt(0)
	s_and_b32 s0, s0, 0x3ff
	s_delay_alu instid0(SALU_CYCLE_1) | instskip(NEXT) | instid1(SALU_CYCLE_1)
	s_bitset1_b32 s0, 10
	s_mov_b32 m0, s0
	s_sendmsg sendmsg(MSG_INTERRUPT)
	s_mov_b32 m0, ttmp2
.LBB6_3618:                             ; =>This Inner Loop Header: Depth=1
	s_sethalt 5
	s_branch .LBB6_3618
.LBB6_3619:
	s_trap 2
	s_sendmsg_rtn_b32 s0, sendmsg(MSG_RTN_GET_DOORBELL)
	s_mov_b32 ttmp2, m0
	s_waitcnt lgkmcnt(0)
	s_and_b32 s0, s0, 0x3ff
	s_delay_alu instid0(SALU_CYCLE_1) | instskip(NEXT) | instid1(SALU_CYCLE_1)
	s_bitset1_b32 s0, 10
	s_mov_b32 m0, s0
	s_sendmsg sendmsg(MSG_INTERRUPT)
	s_mov_b32 m0, ttmp2
.LBB6_3620:                             ; =>This Inner Loop Header: Depth=1
	s_sethalt 5
	s_branch .LBB6_3620
.LBB6_3621:
	s_trap 2
	s_sendmsg_rtn_b32 s0, sendmsg(MSG_RTN_GET_DOORBELL)
	s_mov_b32 ttmp2, m0
	s_waitcnt lgkmcnt(0)
	s_and_b32 s0, s0, 0x3ff
	s_delay_alu instid0(SALU_CYCLE_1) | instskip(NEXT) | instid1(SALU_CYCLE_1)
	s_bitset1_b32 s0, 10
	s_mov_b32 m0, s0
	s_sendmsg sendmsg(MSG_INTERRUPT)
	s_mov_b32 m0, ttmp2
.LBB6_3622:                             ; =>This Inner Loop Header: Depth=1
	s_sethalt 5
	s_branch .LBB6_3622
.LBB6_3623:
	s_trap 2
	s_sendmsg_rtn_b32 s0, sendmsg(MSG_RTN_GET_DOORBELL)
	s_mov_b32 ttmp2, m0
	s_waitcnt lgkmcnt(0)
	s_and_b32 s0, s0, 0x3ff
	s_delay_alu instid0(SALU_CYCLE_1) | instskip(NEXT) | instid1(SALU_CYCLE_1)
	s_bitset1_b32 s0, 10
	s_mov_b32 m0, s0
	s_sendmsg sendmsg(MSG_INTERRUPT)
	s_mov_b32 m0, ttmp2
.LBB6_3624:                             ; =>This Inner Loop Header: Depth=1
	s_sethalt 5
	s_branch .LBB6_3624
.LBB6_3625:
	s_trap 2
	s_sendmsg_rtn_b32 s0, sendmsg(MSG_RTN_GET_DOORBELL)
	s_mov_b32 ttmp2, m0
	s_waitcnt lgkmcnt(0)
	s_and_b32 s0, s0, 0x3ff
	s_delay_alu instid0(SALU_CYCLE_1) | instskip(NEXT) | instid1(SALU_CYCLE_1)
	s_bitset1_b32 s0, 10
	s_mov_b32 m0, s0
	s_sendmsg sendmsg(MSG_INTERRUPT)
	s_mov_b32 m0, ttmp2
.LBB6_3626:                             ; =>This Inner Loop Header: Depth=1
	s_sethalt 5
	s_branch .LBB6_3626
.LBB6_3627:
	s_trap 2
	s_sendmsg_rtn_b32 s0, sendmsg(MSG_RTN_GET_DOORBELL)
	s_mov_b32 ttmp2, m0
	s_waitcnt lgkmcnt(0)
	s_and_b32 s0, s0, 0x3ff
	s_delay_alu instid0(SALU_CYCLE_1) | instskip(NEXT) | instid1(SALU_CYCLE_1)
	s_bitset1_b32 s0, 10
	s_mov_b32 m0, s0
	s_sendmsg sendmsg(MSG_INTERRUPT)
	s_mov_b32 m0, ttmp2
.LBB6_3628:                             ; =>This Inner Loop Header: Depth=1
	s_sethalt 5
	s_branch .LBB6_3628
.LBB6_3629:
	s_trap 2
	s_sendmsg_rtn_b32 s0, sendmsg(MSG_RTN_GET_DOORBELL)
	s_mov_b32 ttmp2, m0
	s_waitcnt lgkmcnt(0)
	s_and_b32 s0, s0, 0x3ff
	s_delay_alu instid0(SALU_CYCLE_1) | instskip(NEXT) | instid1(SALU_CYCLE_1)
	s_bitset1_b32 s0, 10
	s_mov_b32 m0, s0
	s_sendmsg sendmsg(MSG_INTERRUPT)
	s_mov_b32 m0, ttmp2
.LBB6_3630:                             ; =>This Inner Loop Header: Depth=1
	s_sethalt 5
	s_branch .LBB6_3630
.LBB6_3631:
	s_trap 2
	s_sendmsg_rtn_b32 s0, sendmsg(MSG_RTN_GET_DOORBELL)
	s_mov_b32 ttmp2, m0
	s_waitcnt lgkmcnt(0)
	s_and_b32 s0, s0, 0x3ff
	s_delay_alu instid0(SALU_CYCLE_1) | instskip(NEXT) | instid1(SALU_CYCLE_1)
	s_bitset1_b32 s0, 10
	s_mov_b32 m0, s0
	s_sendmsg sendmsg(MSG_INTERRUPT)
	s_mov_b32 m0, ttmp2
.LBB6_3632:                             ; =>This Inner Loop Header: Depth=1
	s_sethalt 5
	s_branch .LBB6_3632
.LBB6_3633:
	s_trap 2
	s_sendmsg_rtn_b32 s0, sendmsg(MSG_RTN_GET_DOORBELL)
	s_mov_b32 ttmp2, m0
	s_waitcnt lgkmcnt(0)
	s_and_b32 s0, s0, 0x3ff
	s_delay_alu instid0(SALU_CYCLE_1) | instskip(NEXT) | instid1(SALU_CYCLE_1)
	s_bitset1_b32 s0, 10
	s_mov_b32 m0, s0
	s_sendmsg sendmsg(MSG_INTERRUPT)
	s_mov_b32 m0, ttmp2
.LBB6_3634:                             ; =>This Inner Loop Header: Depth=1
	s_sethalt 5
	s_branch .LBB6_3634
.LBB6_3635:
	s_trap 2
	s_sendmsg_rtn_b32 s0, sendmsg(MSG_RTN_GET_DOORBELL)
	s_mov_b32 ttmp2, m0
	s_waitcnt lgkmcnt(0)
	s_and_b32 s0, s0, 0x3ff
	s_delay_alu instid0(SALU_CYCLE_1) | instskip(NEXT) | instid1(SALU_CYCLE_1)
	s_bitset1_b32 s0, 10
	s_mov_b32 m0, s0
	s_sendmsg sendmsg(MSG_INTERRUPT)
	s_mov_b32 m0, ttmp2
.LBB6_3636:                             ; =>This Inner Loop Header: Depth=1
	s_sethalt 5
	s_branch .LBB6_3636
.LBB6_3637:
	s_trap 2
	s_sendmsg_rtn_b32 s0, sendmsg(MSG_RTN_GET_DOORBELL)
	s_mov_b32 ttmp2, m0
	s_waitcnt lgkmcnt(0)
	s_and_b32 s0, s0, 0x3ff
	s_delay_alu instid0(SALU_CYCLE_1) | instskip(NEXT) | instid1(SALU_CYCLE_1)
	s_bitset1_b32 s0, 10
	s_mov_b32 m0, s0
	s_sendmsg sendmsg(MSG_INTERRUPT)
	s_mov_b32 m0, ttmp2
.LBB6_3638:                             ; =>This Inner Loop Header: Depth=1
	s_sethalt 5
	s_branch .LBB6_3638
.LBB6_3639:
	s_trap 2
	s_sendmsg_rtn_b32 s0, sendmsg(MSG_RTN_GET_DOORBELL)
	s_mov_b32 ttmp2, m0
	s_waitcnt lgkmcnt(0)
	s_and_b32 s0, s0, 0x3ff
	s_delay_alu instid0(SALU_CYCLE_1) | instskip(NEXT) | instid1(SALU_CYCLE_1)
	s_bitset1_b32 s0, 10
	s_mov_b32 m0, s0
	s_sendmsg sendmsg(MSG_INTERRUPT)
	s_mov_b32 m0, ttmp2
.LBB6_3640:                             ; =>This Inner Loop Header: Depth=1
	s_sethalt 5
	s_branch .LBB6_3640
.LBB6_3641:
	s_trap 2
	s_sendmsg_rtn_b32 s0, sendmsg(MSG_RTN_GET_DOORBELL)
	s_mov_b32 ttmp2, m0
	s_waitcnt lgkmcnt(0)
	s_and_b32 s0, s0, 0x3ff
	s_delay_alu instid0(SALU_CYCLE_1) | instskip(NEXT) | instid1(SALU_CYCLE_1)
	s_bitset1_b32 s0, 10
	s_mov_b32 m0, s0
	s_sendmsg sendmsg(MSG_INTERRUPT)
	s_mov_b32 m0, ttmp2
.LBB6_3642:                             ; =>This Inner Loop Header: Depth=1
	s_sethalt 5
	s_branch .LBB6_3642
.LBB6_3643:
	s_trap 2
	s_sendmsg_rtn_b32 s0, sendmsg(MSG_RTN_GET_DOORBELL)
	s_mov_b32 ttmp2, m0
	s_waitcnt lgkmcnt(0)
	s_and_b32 s0, s0, 0x3ff
	s_delay_alu instid0(SALU_CYCLE_1) | instskip(NEXT) | instid1(SALU_CYCLE_1)
	s_bitset1_b32 s0, 10
	s_mov_b32 m0, s0
	s_sendmsg sendmsg(MSG_INTERRUPT)
	s_mov_b32 m0, ttmp2
.LBB6_3644:                             ; =>This Inner Loop Header: Depth=1
	s_sethalt 5
	s_branch .LBB6_3644
.LBB6_3645:
	s_trap 2
	s_sendmsg_rtn_b32 s0, sendmsg(MSG_RTN_GET_DOORBELL)
	s_mov_b32 ttmp2, m0
	s_waitcnt lgkmcnt(0)
	s_and_b32 s0, s0, 0x3ff
	s_delay_alu instid0(SALU_CYCLE_1) | instskip(NEXT) | instid1(SALU_CYCLE_1)
	s_bitset1_b32 s0, 10
	s_mov_b32 m0, s0
	s_sendmsg sendmsg(MSG_INTERRUPT)
	s_mov_b32 m0, ttmp2
.LBB6_3646:                             ; =>This Inner Loop Header: Depth=1
	s_sethalt 5
	s_branch .LBB6_3646
.LBB6_3647:
	s_trap 2
	s_sendmsg_rtn_b32 s0, sendmsg(MSG_RTN_GET_DOORBELL)
	s_mov_b32 ttmp2, m0
	s_waitcnt lgkmcnt(0)
	s_and_b32 s0, s0, 0x3ff
	s_delay_alu instid0(SALU_CYCLE_1) | instskip(NEXT) | instid1(SALU_CYCLE_1)
	s_bitset1_b32 s0, 10
	s_mov_b32 m0, s0
	s_sendmsg sendmsg(MSG_INTERRUPT)
	s_mov_b32 m0, ttmp2
.LBB6_3648:                             ; =>This Inner Loop Header: Depth=1
	s_sethalt 5
	s_branch .LBB6_3648
.LBB6_3649:
	s_trap 2
	s_sendmsg_rtn_b32 s0, sendmsg(MSG_RTN_GET_DOORBELL)
	s_mov_b32 ttmp2, m0
	s_waitcnt lgkmcnt(0)
	s_and_b32 s0, s0, 0x3ff
	s_delay_alu instid0(SALU_CYCLE_1) | instskip(NEXT) | instid1(SALU_CYCLE_1)
	s_bitset1_b32 s0, 10
	s_mov_b32 m0, s0
	s_sendmsg sendmsg(MSG_INTERRUPT)
	s_mov_b32 m0, ttmp2
.LBB6_3650:                             ; =>This Inner Loop Header: Depth=1
	s_sethalt 5
	s_branch .LBB6_3650
.LBB6_3651:
	s_trap 2
	s_sendmsg_rtn_b32 s0, sendmsg(MSG_RTN_GET_DOORBELL)
	s_mov_b32 ttmp2, m0
	s_waitcnt lgkmcnt(0)
	s_and_b32 s0, s0, 0x3ff
	s_delay_alu instid0(SALU_CYCLE_1) | instskip(NEXT) | instid1(SALU_CYCLE_1)
	s_bitset1_b32 s0, 10
	s_mov_b32 m0, s0
	s_sendmsg sendmsg(MSG_INTERRUPT)
	s_mov_b32 m0, ttmp2
.LBB6_3652:                             ; =>This Inner Loop Header: Depth=1
	s_sethalt 5
	s_branch .LBB6_3652
.LBB6_3653:
	s_trap 2
	s_sendmsg_rtn_b32 s0, sendmsg(MSG_RTN_GET_DOORBELL)
	s_mov_b32 ttmp2, m0
	s_waitcnt lgkmcnt(0)
	s_and_b32 s0, s0, 0x3ff
	s_delay_alu instid0(SALU_CYCLE_1) | instskip(NEXT) | instid1(SALU_CYCLE_1)
	s_bitset1_b32 s0, 10
	s_mov_b32 m0, s0
	s_sendmsg sendmsg(MSG_INTERRUPT)
	s_mov_b32 m0, ttmp2
.LBB6_3654:                             ; =>This Inner Loop Header: Depth=1
	s_sethalt 5
	s_branch .LBB6_3654
.LBB6_3655:
	s_trap 2
	s_sendmsg_rtn_b32 s0, sendmsg(MSG_RTN_GET_DOORBELL)
	s_mov_b32 ttmp2, m0
	s_waitcnt lgkmcnt(0)
	s_and_b32 s0, s0, 0x3ff
	s_delay_alu instid0(SALU_CYCLE_1) | instskip(NEXT) | instid1(SALU_CYCLE_1)
	s_bitset1_b32 s0, 10
	s_mov_b32 m0, s0
	s_sendmsg sendmsg(MSG_INTERRUPT)
	s_mov_b32 m0, ttmp2
.LBB6_3656:                             ; =>This Inner Loop Header: Depth=1
	s_sethalt 5
	s_branch .LBB6_3656
.LBB6_3657:
	s_trap 2
	s_sendmsg_rtn_b32 s0, sendmsg(MSG_RTN_GET_DOORBELL)
	s_mov_b32 ttmp2, m0
	s_waitcnt lgkmcnt(0)
	s_and_b32 s0, s0, 0x3ff
	s_delay_alu instid0(SALU_CYCLE_1) | instskip(NEXT) | instid1(SALU_CYCLE_1)
	s_bitset1_b32 s0, 10
	s_mov_b32 m0, s0
	s_sendmsg sendmsg(MSG_INTERRUPT)
	s_mov_b32 m0, ttmp2
.LBB6_3658:                             ; =>This Inner Loop Header: Depth=1
	s_sethalt 5
	s_branch .LBB6_3658
.LBB6_3659:
	s_trap 2
	s_sendmsg_rtn_b32 s0, sendmsg(MSG_RTN_GET_DOORBELL)
	s_mov_b32 ttmp2, m0
	s_waitcnt lgkmcnt(0)
	s_and_b32 s0, s0, 0x3ff
	s_delay_alu instid0(SALU_CYCLE_1) | instskip(NEXT) | instid1(SALU_CYCLE_1)
	s_bitset1_b32 s0, 10
	s_mov_b32 m0, s0
	s_sendmsg sendmsg(MSG_INTERRUPT)
	s_mov_b32 m0, ttmp2
.LBB6_3660:                             ; =>This Inner Loop Header: Depth=1
	s_sethalt 5
	s_branch .LBB6_3660
.LBB6_3661:
	s_trap 2
	s_sendmsg_rtn_b32 s0, sendmsg(MSG_RTN_GET_DOORBELL)
	s_mov_b32 ttmp2, m0
	s_waitcnt lgkmcnt(0)
	s_and_b32 s0, s0, 0x3ff
	s_delay_alu instid0(SALU_CYCLE_1) | instskip(NEXT) | instid1(SALU_CYCLE_1)
	s_bitset1_b32 s0, 10
	s_mov_b32 m0, s0
	s_sendmsg sendmsg(MSG_INTERRUPT)
	s_mov_b32 m0, ttmp2
.LBB6_3662:                             ; =>This Inner Loop Header: Depth=1
	s_sethalt 5
	s_branch .LBB6_3662
.LBB6_3663:
	s_trap 2
	s_sendmsg_rtn_b32 s0, sendmsg(MSG_RTN_GET_DOORBELL)
	s_mov_b32 ttmp2, m0
	s_waitcnt lgkmcnt(0)
	s_and_b32 s0, s0, 0x3ff
	s_delay_alu instid0(SALU_CYCLE_1) | instskip(NEXT) | instid1(SALU_CYCLE_1)
	s_bitset1_b32 s0, 10
	s_mov_b32 m0, s0
	s_sendmsg sendmsg(MSG_INTERRUPT)
	s_mov_b32 m0, ttmp2
.LBB6_3664:                             ; =>This Inner Loop Header: Depth=1
	s_sethalt 5
	s_branch .LBB6_3664
.LBB6_3665:
	s_trap 2
	s_sendmsg_rtn_b32 s0, sendmsg(MSG_RTN_GET_DOORBELL)
	s_mov_b32 ttmp2, m0
	s_waitcnt lgkmcnt(0)
	s_and_b32 s0, s0, 0x3ff
	s_delay_alu instid0(SALU_CYCLE_1) | instskip(NEXT) | instid1(SALU_CYCLE_1)
	s_bitset1_b32 s0, 10
	s_mov_b32 m0, s0
	s_sendmsg sendmsg(MSG_INTERRUPT)
	s_mov_b32 m0, ttmp2
.LBB6_3666:                             ; =>This Inner Loop Header: Depth=1
	s_sethalt 5
	s_branch .LBB6_3666
.LBB6_3667:
	s_trap 2
	s_sendmsg_rtn_b32 s0, sendmsg(MSG_RTN_GET_DOORBELL)
	s_mov_b32 ttmp2, m0
	s_waitcnt lgkmcnt(0)
	s_and_b32 s0, s0, 0x3ff
	s_delay_alu instid0(SALU_CYCLE_1) | instskip(NEXT) | instid1(SALU_CYCLE_1)
	s_bitset1_b32 s0, 10
	s_mov_b32 m0, s0
	s_sendmsg sendmsg(MSG_INTERRUPT)
	s_mov_b32 m0, ttmp2
.LBB6_3668:                             ; =>This Inner Loop Header: Depth=1
	s_sethalt 5
	s_branch .LBB6_3668
.LBB6_3669:
	s_trap 2
	s_sendmsg_rtn_b32 s0, sendmsg(MSG_RTN_GET_DOORBELL)
	s_mov_b32 ttmp2, m0
	s_waitcnt lgkmcnt(0)
	s_and_b32 s0, s0, 0x3ff
	s_delay_alu instid0(SALU_CYCLE_1) | instskip(NEXT) | instid1(SALU_CYCLE_1)
	s_bitset1_b32 s0, 10
	s_mov_b32 m0, s0
	s_sendmsg sendmsg(MSG_INTERRUPT)
	s_mov_b32 m0, ttmp2
.LBB6_3670:                             ; =>This Inner Loop Header: Depth=1
	s_sethalt 5
	s_branch .LBB6_3670
.LBB6_3671:
	s_trap 2
	s_sendmsg_rtn_b32 s0, sendmsg(MSG_RTN_GET_DOORBELL)
	s_mov_b32 ttmp2, m0
	s_waitcnt lgkmcnt(0)
	s_and_b32 s0, s0, 0x3ff
	s_delay_alu instid0(SALU_CYCLE_1) | instskip(NEXT) | instid1(SALU_CYCLE_1)
	s_bitset1_b32 s0, 10
	s_mov_b32 m0, s0
	s_sendmsg sendmsg(MSG_INTERRUPT)
	s_mov_b32 m0, ttmp2
.LBB6_3672:                             ; =>This Inner Loop Header: Depth=1
	s_sethalt 5
	s_branch .LBB6_3672
.LBB6_3673:
	s_trap 2
	s_sendmsg_rtn_b32 s0, sendmsg(MSG_RTN_GET_DOORBELL)
	s_mov_b32 ttmp2, m0
	s_waitcnt lgkmcnt(0)
	s_and_b32 s0, s0, 0x3ff
	s_delay_alu instid0(SALU_CYCLE_1) | instskip(NEXT) | instid1(SALU_CYCLE_1)
	s_bitset1_b32 s0, 10
	s_mov_b32 m0, s0
	s_sendmsg sendmsg(MSG_INTERRUPT)
	s_mov_b32 m0, ttmp2
.LBB6_3674:                             ; =>This Inner Loop Header: Depth=1
	s_sethalt 5
	s_branch .LBB6_3674
.LBB6_3675:
	s_trap 2
	s_sendmsg_rtn_b32 s0, sendmsg(MSG_RTN_GET_DOORBELL)
	s_mov_b32 ttmp2, m0
	s_waitcnt lgkmcnt(0)
	s_and_b32 s0, s0, 0x3ff
	s_delay_alu instid0(SALU_CYCLE_1) | instskip(NEXT) | instid1(SALU_CYCLE_1)
	s_bitset1_b32 s0, 10
	s_mov_b32 m0, s0
	s_sendmsg sendmsg(MSG_INTERRUPT)
	s_mov_b32 m0, ttmp2
.LBB6_3676:                             ; =>This Inner Loop Header: Depth=1
	s_sethalt 5
	s_branch .LBB6_3676
.LBB6_3677:
	s_trap 2
	s_sendmsg_rtn_b32 s0, sendmsg(MSG_RTN_GET_DOORBELL)
	s_mov_b32 ttmp2, m0
	s_waitcnt lgkmcnt(0)
	s_and_b32 s0, s0, 0x3ff
	s_delay_alu instid0(SALU_CYCLE_1) | instskip(NEXT) | instid1(SALU_CYCLE_1)
	s_bitset1_b32 s0, 10
	s_mov_b32 m0, s0
	s_sendmsg sendmsg(MSG_INTERRUPT)
	s_mov_b32 m0, ttmp2
.LBB6_3678:                             ; =>This Inner Loop Header: Depth=1
	s_sethalt 5
	s_branch .LBB6_3678
.LBB6_3679:
	s_trap 2
	s_sendmsg_rtn_b32 s0, sendmsg(MSG_RTN_GET_DOORBELL)
	s_mov_b32 ttmp2, m0
	s_waitcnt lgkmcnt(0)
	s_and_b32 s0, s0, 0x3ff
	s_delay_alu instid0(SALU_CYCLE_1) | instskip(NEXT) | instid1(SALU_CYCLE_1)
	s_bitset1_b32 s0, 10
	s_mov_b32 m0, s0
	s_sendmsg sendmsg(MSG_INTERRUPT)
	s_mov_b32 m0, ttmp2
.LBB6_3680:                             ; =>This Inner Loop Header: Depth=1
	s_sethalt 5
	s_branch .LBB6_3680
.LBB6_3681:
	s_trap 2
	s_sendmsg_rtn_b32 s0, sendmsg(MSG_RTN_GET_DOORBELL)
	s_mov_b32 ttmp2, m0
	s_waitcnt lgkmcnt(0)
	s_and_b32 s0, s0, 0x3ff
	s_delay_alu instid0(SALU_CYCLE_1) | instskip(NEXT) | instid1(SALU_CYCLE_1)
	s_bitset1_b32 s0, 10
	s_mov_b32 m0, s0
	s_sendmsg sendmsg(MSG_INTERRUPT)
	s_mov_b32 m0, ttmp2
.LBB6_3682:                             ; =>This Inner Loop Header: Depth=1
	s_sethalt 5
	s_branch .LBB6_3682
.LBB6_3683:
	s_trap 2
	s_sendmsg_rtn_b32 s0, sendmsg(MSG_RTN_GET_DOORBELL)
	s_mov_b32 ttmp2, m0
	s_waitcnt lgkmcnt(0)
	s_and_b32 s0, s0, 0x3ff
	s_delay_alu instid0(SALU_CYCLE_1) | instskip(NEXT) | instid1(SALU_CYCLE_1)
	s_bitset1_b32 s0, 10
	s_mov_b32 m0, s0
	s_sendmsg sendmsg(MSG_INTERRUPT)
	s_mov_b32 m0, ttmp2
.LBB6_3684:                             ; =>This Inner Loop Header: Depth=1
	s_sethalt 5
	s_branch .LBB6_3684
.LBB6_3685:
	s_trap 2
	s_sendmsg_rtn_b32 s0, sendmsg(MSG_RTN_GET_DOORBELL)
	s_mov_b32 ttmp2, m0
	s_waitcnt lgkmcnt(0)
	s_and_b32 s0, s0, 0x3ff
	s_delay_alu instid0(SALU_CYCLE_1) | instskip(NEXT) | instid1(SALU_CYCLE_1)
	s_bitset1_b32 s0, 10
	s_mov_b32 m0, s0
	s_sendmsg sendmsg(MSG_INTERRUPT)
	s_mov_b32 m0, ttmp2
.LBB6_3686:                             ; =>This Inner Loop Header: Depth=1
	s_sethalt 5
	s_branch .LBB6_3686
.LBB6_3687:
	s_trap 2
	s_sendmsg_rtn_b32 s0, sendmsg(MSG_RTN_GET_DOORBELL)
	s_mov_b32 ttmp2, m0
	s_waitcnt lgkmcnt(0)
	s_and_b32 s0, s0, 0x3ff
	s_delay_alu instid0(SALU_CYCLE_1) | instskip(NEXT) | instid1(SALU_CYCLE_1)
	s_bitset1_b32 s0, 10
	s_mov_b32 m0, s0
	s_sendmsg sendmsg(MSG_INTERRUPT)
	s_mov_b32 m0, ttmp2
.LBB6_3688:                             ; =>This Inner Loop Header: Depth=1
	s_sethalt 5
	s_branch .LBB6_3688
.LBB6_3689:
	s_trap 2
	s_sendmsg_rtn_b32 s0, sendmsg(MSG_RTN_GET_DOORBELL)
	s_mov_b32 ttmp2, m0
	s_waitcnt lgkmcnt(0)
	s_and_b32 s0, s0, 0x3ff
	s_delay_alu instid0(SALU_CYCLE_1) | instskip(NEXT) | instid1(SALU_CYCLE_1)
	s_bitset1_b32 s0, 10
	s_mov_b32 m0, s0
	s_sendmsg sendmsg(MSG_INTERRUPT)
	s_mov_b32 m0, ttmp2
.LBB6_3690:                             ; =>This Inner Loop Header: Depth=1
	s_sethalt 5
	s_branch .LBB6_3690
.LBB6_3691:
	s_trap 2
	s_sendmsg_rtn_b32 s0, sendmsg(MSG_RTN_GET_DOORBELL)
	s_mov_b32 ttmp2, m0
	s_waitcnt lgkmcnt(0)
	s_and_b32 s0, s0, 0x3ff
	s_delay_alu instid0(SALU_CYCLE_1) | instskip(NEXT) | instid1(SALU_CYCLE_1)
	s_bitset1_b32 s0, 10
	s_mov_b32 m0, s0
	s_sendmsg sendmsg(MSG_INTERRUPT)
	s_mov_b32 m0, ttmp2
.LBB6_3692:                             ; =>This Inner Loop Header: Depth=1
	s_sethalt 5
	s_branch .LBB6_3692
.LBB6_3693:
	s_trap 2
	s_sendmsg_rtn_b32 s0, sendmsg(MSG_RTN_GET_DOORBELL)
	s_mov_b32 ttmp2, m0
	s_waitcnt lgkmcnt(0)
	s_and_b32 s0, s0, 0x3ff
	s_delay_alu instid0(SALU_CYCLE_1) | instskip(NEXT) | instid1(SALU_CYCLE_1)
	s_bitset1_b32 s0, 10
	s_mov_b32 m0, s0
	s_sendmsg sendmsg(MSG_INTERRUPT)
	s_mov_b32 m0, ttmp2
.LBB6_3694:                             ; =>This Inner Loop Header: Depth=1
	s_sethalt 5
	s_branch .LBB6_3694
.LBB6_3695:
	s_trap 2
	s_sendmsg_rtn_b32 s0, sendmsg(MSG_RTN_GET_DOORBELL)
	s_mov_b32 ttmp2, m0
	s_waitcnt lgkmcnt(0)
	s_and_b32 s0, s0, 0x3ff
	s_delay_alu instid0(SALU_CYCLE_1) | instskip(NEXT) | instid1(SALU_CYCLE_1)
	s_bitset1_b32 s0, 10
	s_mov_b32 m0, s0
	s_sendmsg sendmsg(MSG_INTERRUPT)
	s_mov_b32 m0, ttmp2
.LBB6_3696:                             ; =>This Inner Loop Header: Depth=1
	s_sethalt 5
	s_branch .LBB6_3696
.LBB6_3697:
	s_or_b32 exec_lo, exec_lo, s4
	s_and_saveexec_b32 s4, s5
	s_delay_alu instid0(SALU_CYCLE_1)
	s_xor_b32 s4, exec_lo, s4
	s_cbranch_execz .LBB6_3699
; %bb.3698:
	v_mov_b32_e32 v0, 1
	ds_store_b32 v0, v0
	s_cbranch_execnz .LBB6_3787
.LBB6_3699:
	s_or_b32 exec_lo, exec_lo, s3
	;;#ASMSTART
	s_wakeup
	;;#ASMEND
.LBB6_3700:
	s_or_b32 exec_lo, exec_lo, s2
.LBB6_3701:
	s_and_not1_saveexec_b32 s1, s1
	s_cbranch_execz .LBB6_3703
; %bb.3702:
	s_waitcnt lgkmcnt(0)
	s_waitcnt_vscnt null, 0x0
	buffer_gl1_inv
	buffer_gl0_inv
	s_barrier
.LBB6_3703:
	s_or_b32 exec_lo, exec_lo, s0
.LBB6_3704:
	s_and_not1_saveexec_b32 s21, s18
	s_cbranch_execz .LBB6_3706
; %bb.3705:
	s_getpc_b64 s[0:1]
	s_add_u32 s0, s0, __PRETTY_FUNCTION__._ZN10PrimitivesI6__half10FuncMinMaxIS0_E12FanSymmetricILi1EELi0E11ProtoSimpleILi2ELi2ELi0ELi4ELi0ELi0EELi0ELb0ELi0ELi0ELi0EEC2EiiPKiS9_PKvPvmhhhP15ncclDevWorkCollP14ncclDevWorkP2pii@rel32@lo+4
	s_addc_u32 s1, s1, __PRETTY_FUNCTION__._ZN10PrimitivesI6__half10FuncMinMaxIS0_E12FanSymmetricILi1EELi0E11ProtoSimpleILi2ELi2ELi0ELi4ELi0ELi0EELi0ELb0ELi0ELi0ELi0EEC2EiiPKiS9_PKvPvmhhhP15ncclDevWorkCollP14ncclDevWorkP2pii@rel32@hi+12
	s_delay_alu instid0(SALU_CYCLE_1) | instskip(SKIP_3) | instid1(SALU_CYCLE_1)
	v_dual_mov_b32 v0, s0 :: v_dual_mov_b32 v1, s1
	s_getpc_b64 s[2:3]
	s_add_u32 s2, s2, __assert_fail@rel32@lo+4
	s_addc_u32 s3, s3, __assert_fail@rel32@hi+12
	s_swappc_b64 s[30:31], s[2:3]
	; divergent unreachable
.LBB6_3706:
	s_or_b32 exec_lo, exec_lo, s21
	s_clause 0x6
	scratch_load_b32 v46, off, s33
	scratch_load_b32 v45, off, s33 offset:4
	scratch_load_b32 v44, off, s33 offset:8
	;; [unrolled: 1-line block ×6, first 2 shown]
	v_readlane_b32 s30, v47, 12
	v_readlane_b32 s31, v47, 13
	;; [unrolled: 1-line block ×15, first 2 shown]
	s_or_saveexec_b32 s1, -1
	s_clause 0x1
	scratch_load_b32 v47, off, s33 offset:28
	scratch_load_b32 v56, off, s33 offset:32
	s_mov_b32 exec_lo, s1
	s_addk_i32 s32, 0xffd0
	s_mov_b32 s33, s0
	s_waitcnt vmcnt(0) lgkmcnt(0)
	s_setpc_b64 s[30:31]
.LBB6_3707:
	s_trap 2
	s_sendmsg_rtn_b32 s0, sendmsg(MSG_RTN_GET_DOORBELL)
	s_mov_b32 ttmp2, m0
	s_waitcnt lgkmcnt(0)
	s_and_b32 s0, s0, 0x3ff
	s_delay_alu instid0(SALU_CYCLE_1) | instskip(NEXT) | instid1(SALU_CYCLE_1)
	s_bitset1_b32 s0, 10
	s_mov_b32 m0, s0
	s_sendmsg sendmsg(MSG_INTERRUPT)
	s_mov_b32 m0, ttmp2
.LBB6_3708:                             ; =>This Inner Loop Header: Depth=1
	s_sethalt 5
	s_branch .LBB6_3708
.LBB6_3709:
	s_trap 2
	s_sendmsg_rtn_b32 s0, sendmsg(MSG_RTN_GET_DOORBELL)
	s_mov_b32 ttmp2, m0
	s_waitcnt lgkmcnt(0)
	s_and_b32 s0, s0, 0x3ff
	s_delay_alu instid0(SALU_CYCLE_1) | instskip(NEXT) | instid1(SALU_CYCLE_1)
	s_bitset1_b32 s0, 10
	s_mov_b32 m0, s0
	s_sendmsg sendmsg(MSG_INTERRUPT)
	s_mov_b32 m0, ttmp2
.LBB6_3710:                             ; =>This Inner Loop Header: Depth=1
	s_sethalt 5
	s_branch .LBB6_3710
.LBB6_3711:
	s_trap 2
	s_sendmsg_rtn_b32 s0, sendmsg(MSG_RTN_GET_DOORBELL)
	s_mov_b32 ttmp2, m0
	s_waitcnt lgkmcnt(0)
	s_and_b32 s0, s0, 0x3ff
	s_delay_alu instid0(SALU_CYCLE_1) | instskip(NEXT) | instid1(SALU_CYCLE_1)
	s_bitset1_b32 s0, 10
	s_mov_b32 m0, s0
	s_sendmsg sendmsg(MSG_INTERRUPT)
	s_mov_b32 m0, ttmp2
.LBB6_3712:                             ; =>This Inner Loop Header: Depth=1
	s_sethalt 5
	s_branch .LBB6_3712
.LBB6_3713:
	s_trap 2
	s_sendmsg_rtn_b32 s0, sendmsg(MSG_RTN_GET_DOORBELL)
	s_mov_b32 ttmp2, m0
	s_waitcnt lgkmcnt(0)
	s_and_b32 s0, s0, 0x3ff
	s_delay_alu instid0(SALU_CYCLE_1) | instskip(NEXT) | instid1(SALU_CYCLE_1)
	s_bitset1_b32 s0, 10
	s_mov_b32 m0, s0
	s_sendmsg sendmsg(MSG_INTERRUPT)
	s_mov_b32 m0, ttmp2
.LBB6_3714:                             ; =>This Inner Loop Header: Depth=1
	s_sethalt 5
	s_branch .LBB6_3714
.LBB6_3715:
	s_trap 2
	s_sendmsg_rtn_b32 s0, sendmsg(MSG_RTN_GET_DOORBELL)
	s_mov_b32 ttmp2, m0
	s_waitcnt lgkmcnt(0)
	s_and_b32 s0, s0, 0x3ff
	s_delay_alu instid0(SALU_CYCLE_1) | instskip(NEXT) | instid1(SALU_CYCLE_1)
	s_bitset1_b32 s0, 10
	s_mov_b32 m0, s0
	s_sendmsg sendmsg(MSG_INTERRUPT)
	s_mov_b32 m0, ttmp2
.LBB6_3716:                             ; =>This Inner Loop Header: Depth=1
	s_sethalt 5
	s_branch .LBB6_3716
.LBB6_3717:
	s_trap 2
	s_sendmsg_rtn_b32 s0, sendmsg(MSG_RTN_GET_DOORBELL)
	s_mov_b32 ttmp2, m0
	s_waitcnt lgkmcnt(0)
	s_and_b32 s0, s0, 0x3ff
	s_delay_alu instid0(SALU_CYCLE_1) | instskip(NEXT) | instid1(SALU_CYCLE_1)
	s_bitset1_b32 s0, 10
	s_mov_b32 m0, s0
	s_sendmsg sendmsg(MSG_INTERRUPT)
	s_mov_b32 m0, ttmp2
.LBB6_3718:                             ; =>This Inner Loop Header: Depth=1
	s_sethalt 5
	s_branch .LBB6_3718
.LBB6_3719:
	s_trap 2
	s_sendmsg_rtn_b32 s0, sendmsg(MSG_RTN_GET_DOORBELL)
	s_mov_b32 ttmp2, m0
	s_waitcnt lgkmcnt(0)
	s_and_b32 s0, s0, 0x3ff
	s_delay_alu instid0(SALU_CYCLE_1) | instskip(NEXT) | instid1(SALU_CYCLE_1)
	s_bitset1_b32 s0, 10
	s_mov_b32 m0, s0
	s_sendmsg sendmsg(MSG_INTERRUPT)
	s_mov_b32 m0, ttmp2
.LBB6_3720:                             ; =>This Inner Loop Header: Depth=1
	s_sethalt 5
	s_branch .LBB6_3720
.LBB6_3721:
	s_trap 2
	s_sendmsg_rtn_b32 s0, sendmsg(MSG_RTN_GET_DOORBELL)
	s_mov_b32 ttmp2, m0
	s_waitcnt lgkmcnt(0)
	s_and_b32 s0, s0, 0x3ff
	s_delay_alu instid0(SALU_CYCLE_1) | instskip(NEXT) | instid1(SALU_CYCLE_1)
	s_bitset1_b32 s0, 10
	s_mov_b32 m0, s0
	s_sendmsg sendmsg(MSG_INTERRUPT)
	s_mov_b32 m0, ttmp2
.LBB6_3722:                             ; =>This Inner Loop Header: Depth=1
	s_sethalt 5
	s_branch .LBB6_3722
.LBB6_3723:
	s_trap 2
	s_sendmsg_rtn_b32 s0, sendmsg(MSG_RTN_GET_DOORBELL)
	s_mov_b32 ttmp2, m0
	s_waitcnt lgkmcnt(0)
	s_and_b32 s0, s0, 0x3ff
	s_delay_alu instid0(SALU_CYCLE_1) | instskip(NEXT) | instid1(SALU_CYCLE_1)
	s_bitset1_b32 s0, 10
	s_mov_b32 m0, s0
	s_sendmsg sendmsg(MSG_INTERRUPT)
	s_mov_b32 m0, ttmp2
.LBB6_3724:                             ; =>This Inner Loop Header: Depth=1
	s_sethalt 5
	s_branch .LBB6_3724
.LBB6_3725:
	s_trap 2
	s_sendmsg_rtn_b32 s0, sendmsg(MSG_RTN_GET_DOORBELL)
	s_mov_b32 ttmp2, m0
	s_waitcnt lgkmcnt(0)
	s_and_b32 s0, s0, 0x3ff
	s_delay_alu instid0(SALU_CYCLE_1) | instskip(NEXT) | instid1(SALU_CYCLE_1)
	s_bitset1_b32 s0, 10
	s_mov_b32 m0, s0
	s_sendmsg sendmsg(MSG_INTERRUPT)
	s_mov_b32 m0, ttmp2
.LBB6_3726:                             ; =>This Inner Loop Header: Depth=1
	s_sethalt 5
	s_branch .LBB6_3726
.LBB6_3727:
	s_trap 2
	s_sendmsg_rtn_b32 s0, sendmsg(MSG_RTN_GET_DOORBELL)
	s_mov_b32 ttmp2, m0
	s_waitcnt lgkmcnt(0)
	s_and_b32 s0, s0, 0x3ff
	s_delay_alu instid0(SALU_CYCLE_1) | instskip(NEXT) | instid1(SALU_CYCLE_1)
	s_bitset1_b32 s0, 10
	s_mov_b32 m0, s0
	s_sendmsg sendmsg(MSG_INTERRUPT)
	s_mov_b32 m0, ttmp2
.LBB6_3728:                             ; =>This Inner Loop Header: Depth=1
	s_sethalt 5
	s_branch .LBB6_3728
.LBB6_3729:
	s_trap 2
	s_sendmsg_rtn_b32 s0, sendmsg(MSG_RTN_GET_DOORBELL)
	s_mov_b32 ttmp2, m0
	s_waitcnt lgkmcnt(0)
	s_and_b32 s0, s0, 0x3ff
	s_delay_alu instid0(SALU_CYCLE_1) | instskip(NEXT) | instid1(SALU_CYCLE_1)
	s_bitset1_b32 s0, 10
	s_mov_b32 m0, s0
	s_sendmsg sendmsg(MSG_INTERRUPT)
	s_mov_b32 m0, ttmp2
.LBB6_3730:                             ; =>This Inner Loop Header: Depth=1
	s_sethalt 5
	s_branch .LBB6_3730
.LBB6_3731:
	s_trap 2
	s_sendmsg_rtn_b32 s0, sendmsg(MSG_RTN_GET_DOORBELL)
	s_mov_b32 ttmp2, m0
	s_waitcnt lgkmcnt(0)
	s_and_b32 s0, s0, 0x3ff
	s_delay_alu instid0(SALU_CYCLE_1) | instskip(NEXT) | instid1(SALU_CYCLE_1)
	s_bitset1_b32 s0, 10
	s_mov_b32 m0, s0
	s_sendmsg sendmsg(MSG_INTERRUPT)
	s_mov_b32 m0, ttmp2
.LBB6_3732:                             ; =>This Inner Loop Header: Depth=1
	s_sethalt 5
	s_branch .LBB6_3732
.LBB6_3733:
	s_trap 2
	s_sendmsg_rtn_b32 s0, sendmsg(MSG_RTN_GET_DOORBELL)
	s_mov_b32 ttmp2, m0
	s_waitcnt lgkmcnt(0)
	s_and_b32 s0, s0, 0x3ff
	s_delay_alu instid0(SALU_CYCLE_1) | instskip(NEXT) | instid1(SALU_CYCLE_1)
	s_bitset1_b32 s0, 10
	s_mov_b32 m0, s0
	s_sendmsg sendmsg(MSG_INTERRUPT)
	s_mov_b32 m0, ttmp2
.LBB6_3734:                             ; =>This Inner Loop Header: Depth=1
	s_sethalt 5
	s_branch .LBB6_3734
.LBB6_3735:
	s_trap 2
	s_sendmsg_rtn_b32 s0, sendmsg(MSG_RTN_GET_DOORBELL)
	s_mov_b32 ttmp2, m0
	s_waitcnt lgkmcnt(0)
	s_and_b32 s0, s0, 0x3ff
	s_delay_alu instid0(SALU_CYCLE_1) | instskip(NEXT) | instid1(SALU_CYCLE_1)
	s_bitset1_b32 s0, 10
	s_mov_b32 m0, s0
	s_sendmsg sendmsg(MSG_INTERRUPT)
	s_mov_b32 m0, ttmp2
.LBB6_3736:                             ; =>This Inner Loop Header: Depth=1
	s_sethalt 5
	s_branch .LBB6_3736
.LBB6_3737:
	s_trap 2
	s_sendmsg_rtn_b32 s0, sendmsg(MSG_RTN_GET_DOORBELL)
	s_mov_b32 ttmp2, m0
	s_waitcnt lgkmcnt(0)
	s_and_b32 s0, s0, 0x3ff
	s_delay_alu instid0(SALU_CYCLE_1) | instskip(NEXT) | instid1(SALU_CYCLE_1)
	s_bitset1_b32 s0, 10
	s_mov_b32 m0, s0
	s_sendmsg sendmsg(MSG_INTERRUPT)
	s_mov_b32 m0, ttmp2
.LBB6_3738:                             ; =>This Inner Loop Header: Depth=1
	s_sethalt 5
	s_branch .LBB6_3738
.LBB6_3739:
	s_trap 2
	s_sendmsg_rtn_b32 s0, sendmsg(MSG_RTN_GET_DOORBELL)
	s_mov_b32 ttmp2, m0
	s_waitcnt lgkmcnt(0)
	s_and_b32 s0, s0, 0x3ff
	s_delay_alu instid0(SALU_CYCLE_1) | instskip(NEXT) | instid1(SALU_CYCLE_1)
	s_bitset1_b32 s0, 10
	s_mov_b32 m0, s0
	s_sendmsg sendmsg(MSG_INTERRUPT)
	s_mov_b32 m0, ttmp2
.LBB6_3740:                             ; =>This Inner Loop Header: Depth=1
	s_sethalt 5
	s_branch .LBB6_3740
.LBB6_3741:
	s_trap 2
	s_sendmsg_rtn_b32 s0, sendmsg(MSG_RTN_GET_DOORBELL)
	s_mov_b32 ttmp2, m0
	s_waitcnt lgkmcnt(0)
	s_and_b32 s0, s0, 0x3ff
	s_delay_alu instid0(SALU_CYCLE_1) | instskip(NEXT) | instid1(SALU_CYCLE_1)
	s_bitset1_b32 s0, 10
	s_mov_b32 m0, s0
	s_sendmsg sendmsg(MSG_INTERRUPT)
	s_mov_b32 m0, ttmp2
.LBB6_3742:                             ; =>This Inner Loop Header: Depth=1
	s_sethalt 5
	s_branch .LBB6_3742
.LBB6_3743:
	s_trap 2
	s_sendmsg_rtn_b32 s0, sendmsg(MSG_RTN_GET_DOORBELL)
	s_mov_b32 ttmp2, m0
	s_waitcnt lgkmcnt(0)
	s_and_b32 s0, s0, 0x3ff
	s_delay_alu instid0(SALU_CYCLE_1) | instskip(NEXT) | instid1(SALU_CYCLE_1)
	s_bitset1_b32 s0, 10
	s_mov_b32 m0, s0
	s_sendmsg sendmsg(MSG_INTERRUPT)
	s_mov_b32 m0, ttmp2
.LBB6_3744:                             ; =>This Inner Loop Header: Depth=1
	s_sethalt 5
	s_branch .LBB6_3744
.LBB6_3745:
	s_trap 2
	s_sendmsg_rtn_b32 s0, sendmsg(MSG_RTN_GET_DOORBELL)
	s_mov_b32 ttmp2, m0
	s_waitcnt lgkmcnt(0)
	s_and_b32 s0, s0, 0x3ff
	s_delay_alu instid0(SALU_CYCLE_1) | instskip(NEXT) | instid1(SALU_CYCLE_1)
	s_bitset1_b32 s0, 10
	s_mov_b32 m0, s0
	s_sendmsg sendmsg(MSG_INTERRUPT)
	s_mov_b32 m0, ttmp2
.LBB6_3746:                             ; =>This Inner Loop Header: Depth=1
	s_sethalt 5
	s_branch .LBB6_3746
.LBB6_3747:
	s_trap 2
	s_sendmsg_rtn_b32 s0, sendmsg(MSG_RTN_GET_DOORBELL)
	s_mov_b32 ttmp2, m0
	s_waitcnt lgkmcnt(0)
	s_and_b32 s0, s0, 0x3ff
	s_delay_alu instid0(SALU_CYCLE_1) | instskip(NEXT) | instid1(SALU_CYCLE_1)
	s_bitset1_b32 s0, 10
	s_mov_b32 m0, s0
	s_sendmsg sendmsg(MSG_INTERRUPT)
	s_mov_b32 m0, ttmp2
.LBB6_3748:                             ; =>This Inner Loop Header: Depth=1
	s_sethalt 5
	s_branch .LBB6_3748
.LBB6_3749:
	s_trap 2
	s_sendmsg_rtn_b32 s0, sendmsg(MSG_RTN_GET_DOORBELL)
	s_mov_b32 ttmp2, m0
	s_waitcnt lgkmcnt(0)
	s_and_b32 s0, s0, 0x3ff
	s_delay_alu instid0(SALU_CYCLE_1) | instskip(NEXT) | instid1(SALU_CYCLE_1)
	s_bitset1_b32 s0, 10
	s_mov_b32 m0, s0
	s_sendmsg sendmsg(MSG_INTERRUPT)
	s_mov_b32 m0, ttmp2
.LBB6_3750:                             ; =>This Inner Loop Header: Depth=1
	s_sethalt 5
	s_branch .LBB6_3750
.LBB6_3751:
	s_trap 2
	s_sendmsg_rtn_b32 s0, sendmsg(MSG_RTN_GET_DOORBELL)
	s_mov_b32 ttmp2, m0
	s_waitcnt lgkmcnt(0)
	s_and_b32 s0, s0, 0x3ff
	s_delay_alu instid0(SALU_CYCLE_1) | instskip(NEXT) | instid1(SALU_CYCLE_1)
	s_bitset1_b32 s0, 10
	s_mov_b32 m0, s0
	s_sendmsg sendmsg(MSG_INTERRUPT)
	s_mov_b32 m0, ttmp2
.LBB6_3752:                             ; =>This Inner Loop Header: Depth=1
	s_sethalt 5
	s_branch .LBB6_3752
.LBB6_3753:
	s_trap 2
	s_sendmsg_rtn_b32 s0, sendmsg(MSG_RTN_GET_DOORBELL)
	s_mov_b32 ttmp2, m0
	s_waitcnt lgkmcnt(0)
	s_and_b32 s0, s0, 0x3ff
	s_delay_alu instid0(SALU_CYCLE_1) | instskip(NEXT) | instid1(SALU_CYCLE_1)
	s_bitset1_b32 s0, 10
	s_mov_b32 m0, s0
	s_sendmsg sendmsg(MSG_INTERRUPT)
	s_mov_b32 m0, ttmp2
.LBB6_3754:                             ; =>This Inner Loop Header: Depth=1
	s_sethalt 5
	s_branch .LBB6_3754
.LBB6_3755:
	s_trap 2
	s_sendmsg_rtn_b32 s0, sendmsg(MSG_RTN_GET_DOORBELL)
	s_mov_b32 ttmp2, m0
	s_waitcnt lgkmcnt(0)
	s_and_b32 s0, s0, 0x3ff
	s_delay_alu instid0(SALU_CYCLE_1) | instskip(NEXT) | instid1(SALU_CYCLE_1)
	s_bitset1_b32 s0, 10
	s_mov_b32 m0, s0
	s_sendmsg sendmsg(MSG_INTERRUPT)
	s_mov_b32 m0, ttmp2
.LBB6_3756:                             ; =>This Inner Loop Header: Depth=1
	s_sethalt 5
	s_branch .LBB6_3756
.LBB6_3757:
	s_trap 2
	s_sendmsg_rtn_b32 s0, sendmsg(MSG_RTN_GET_DOORBELL)
	s_mov_b32 ttmp2, m0
	s_waitcnt lgkmcnt(0)
	s_and_b32 s0, s0, 0x3ff
	s_delay_alu instid0(SALU_CYCLE_1) | instskip(NEXT) | instid1(SALU_CYCLE_1)
	s_bitset1_b32 s0, 10
	s_mov_b32 m0, s0
	s_sendmsg sendmsg(MSG_INTERRUPT)
	s_mov_b32 m0, ttmp2
.LBB6_3758:                             ; =>This Inner Loop Header: Depth=1
	s_sethalt 5
	s_branch .LBB6_3758
.LBB6_3759:
	s_trap 2
	s_sendmsg_rtn_b32 s0, sendmsg(MSG_RTN_GET_DOORBELL)
	s_mov_b32 ttmp2, m0
	s_waitcnt lgkmcnt(0)
	s_and_b32 s0, s0, 0x3ff
	s_delay_alu instid0(SALU_CYCLE_1) | instskip(NEXT) | instid1(SALU_CYCLE_1)
	s_bitset1_b32 s0, 10
	s_mov_b32 m0, s0
	s_sendmsg sendmsg(MSG_INTERRUPT)
	s_mov_b32 m0, ttmp2
.LBB6_3760:                             ; =>This Inner Loop Header: Depth=1
	s_sethalt 5
	s_branch .LBB6_3760
.LBB6_3761:
	s_trap 2
	s_sendmsg_rtn_b32 s0, sendmsg(MSG_RTN_GET_DOORBELL)
	s_mov_b32 ttmp2, m0
	s_waitcnt lgkmcnt(0)
	s_and_b32 s0, s0, 0x3ff
	s_delay_alu instid0(SALU_CYCLE_1) | instskip(NEXT) | instid1(SALU_CYCLE_1)
	s_bitset1_b32 s0, 10
	s_mov_b32 m0, s0
	s_sendmsg sendmsg(MSG_INTERRUPT)
	s_mov_b32 m0, ttmp2
.LBB6_3762:                             ; =>This Inner Loop Header: Depth=1
	s_sethalt 5
	s_branch .LBB6_3762
.LBB6_3763:
	s_trap 2
	s_sendmsg_rtn_b32 s0, sendmsg(MSG_RTN_GET_DOORBELL)
	s_mov_b32 ttmp2, m0
	s_waitcnt lgkmcnt(0)
	s_and_b32 s0, s0, 0x3ff
	s_delay_alu instid0(SALU_CYCLE_1) | instskip(NEXT) | instid1(SALU_CYCLE_1)
	s_bitset1_b32 s0, 10
	s_mov_b32 m0, s0
	s_sendmsg sendmsg(MSG_INTERRUPT)
	s_mov_b32 m0, ttmp2
.LBB6_3764:                             ; =>This Inner Loop Header: Depth=1
	s_sethalt 5
	s_branch .LBB6_3764
.LBB6_3765:
	s_trap 2
	s_sendmsg_rtn_b32 s0, sendmsg(MSG_RTN_GET_DOORBELL)
	s_mov_b32 ttmp2, m0
	s_waitcnt lgkmcnt(0)
	s_and_b32 s0, s0, 0x3ff
	s_delay_alu instid0(SALU_CYCLE_1) | instskip(NEXT) | instid1(SALU_CYCLE_1)
	s_bitset1_b32 s0, 10
	s_mov_b32 m0, s0
	s_sendmsg sendmsg(MSG_INTERRUPT)
	s_mov_b32 m0, ttmp2
.LBB6_3766:                             ; =>This Inner Loop Header: Depth=1
	s_sethalt 5
	s_branch .LBB6_3766
.LBB6_3767:
	s_trap 2
	s_sendmsg_rtn_b32 s0, sendmsg(MSG_RTN_GET_DOORBELL)
	s_mov_b32 ttmp2, m0
	s_waitcnt lgkmcnt(0)
	s_and_b32 s0, s0, 0x3ff
	s_delay_alu instid0(SALU_CYCLE_1) | instskip(NEXT) | instid1(SALU_CYCLE_1)
	s_bitset1_b32 s0, 10
	s_mov_b32 m0, s0
	s_sendmsg sendmsg(MSG_INTERRUPT)
	s_mov_b32 m0, ttmp2
.LBB6_3768:                             ; =>This Inner Loop Header: Depth=1
	s_sethalt 5
	s_branch .LBB6_3768
.LBB6_3769:
	s_trap 2
	s_sendmsg_rtn_b32 s0, sendmsg(MSG_RTN_GET_DOORBELL)
	s_mov_b32 ttmp2, m0
	s_waitcnt lgkmcnt(0)
	s_and_b32 s0, s0, 0x3ff
	s_delay_alu instid0(SALU_CYCLE_1) | instskip(NEXT) | instid1(SALU_CYCLE_1)
	s_bitset1_b32 s0, 10
	s_mov_b32 m0, s0
	s_sendmsg sendmsg(MSG_INTERRUPT)
	s_mov_b32 m0, ttmp2
.LBB6_3770:                             ; =>This Inner Loop Header: Depth=1
	s_sethalt 5
	s_branch .LBB6_3770
.LBB6_3771:
	s_trap 2
	s_sendmsg_rtn_b32 s0, sendmsg(MSG_RTN_GET_DOORBELL)
	s_mov_b32 ttmp2, m0
	s_waitcnt lgkmcnt(0)
	s_and_b32 s0, s0, 0x3ff
	s_delay_alu instid0(SALU_CYCLE_1) | instskip(NEXT) | instid1(SALU_CYCLE_1)
	s_bitset1_b32 s0, 10
	s_mov_b32 m0, s0
	s_sendmsg sendmsg(MSG_INTERRUPT)
	s_mov_b32 m0, ttmp2
.LBB6_3772:                             ; =>This Inner Loop Header: Depth=1
	s_sethalt 5
	s_branch .LBB6_3772
.LBB6_3773:
	s_trap 2
	s_sendmsg_rtn_b32 s0, sendmsg(MSG_RTN_GET_DOORBELL)
	s_mov_b32 ttmp2, m0
	s_waitcnt lgkmcnt(0)
	s_and_b32 s0, s0, 0x3ff
	s_delay_alu instid0(SALU_CYCLE_1) | instskip(NEXT) | instid1(SALU_CYCLE_1)
	s_bitset1_b32 s0, 10
	s_mov_b32 m0, s0
	s_sendmsg sendmsg(MSG_INTERRUPT)
	s_mov_b32 m0, ttmp2
.LBB6_3774:                             ; =>This Inner Loop Header: Depth=1
	s_sethalt 5
	s_branch .LBB6_3774
.LBB6_3775:
	s_trap 2
	s_sendmsg_rtn_b32 s0, sendmsg(MSG_RTN_GET_DOORBELL)
	s_mov_b32 ttmp2, m0
	s_waitcnt lgkmcnt(0)
	s_and_b32 s0, s0, 0x3ff
	s_delay_alu instid0(SALU_CYCLE_1) | instskip(NEXT) | instid1(SALU_CYCLE_1)
	s_bitset1_b32 s0, 10
	s_mov_b32 m0, s0
	s_sendmsg sendmsg(MSG_INTERRUPT)
	s_mov_b32 m0, ttmp2
.LBB6_3776:                             ; =>This Inner Loop Header: Depth=1
	s_sethalt 5
	s_branch .LBB6_3776
.LBB6_3777:
	s_trap 2
	s_sendmsg_rtn_b32 s0, sendmsg(MSG_RTN_GET_DOORBELL)
	s_mov_b32 ttmp2, m0
	s_waitcnt lgkmcnt(0)
	s_and_b32 s0, s0, 0x3ff
	s_delay_alu instid0(SALU_CYCLE_1) | instskip(NEXT) | instid1(SALU_CYCLE_1)
	s_bitset1_b32 s0, 10
	s_mov_b32 m0, s0
	s_sendmsg sendmsg(MSG_INTERRUPT)
	s_mov_b32 m0, ttmp2
.LBB6_3778:                             ; =>This Inner Loop Header: Depth=1
	s_sethalt 5
	s_branch .LBB6_3778
.LBB6_3779:
	s_trap 2
	s_sendmsg_rtn_b32 s0, sendmsg(MSG_RTN_GET_DOORBELL)
	s_mov_b32 ttmp2, m0
	s_waitcnt lgkmcnt(0)
	s_and_b32 s0, s0, 0x3ff
	s_delay_alu instid0(SALU_CYCLE_1) | instskip(NEXT) | instid1(SALU_CYCLE_1)
	s_bitset1_b32 s0, 10
	s_mov_b32 m0, s0
	s_sendmsg sendmsg(MSG_INTERRUPT)
	s_mov_b32 m0, ttmp2
.LBB6_3780:                             ; =>This Inner Loop Header: Depth=1
	s_sethalt 5
	s_branch .LBB6_3780
.LBB6_3781:
	s_trap 2
	s_sendmsg_rtn_b32 s0, sendmsg(MSG_RTN_GET_DOORBELL)
	s_mov_b32 ttmp2, m0
	s_waitcnt lgkmcnt(0)
	s_and_b32 s0, s0, 0x3ff
	s_delay_alu instid0(SALU_CYCLE_1) | instskip(NEXT) | instid1(SALU_CYCLE_1)
	s_bitset1_b32 s0, 10
	s_mov_b32 m0, s0
	s_sendmsg sendmsg(MSG_INTERRUPT)
	s_mov_b32 m0, ttmp2
.LBB6_3782:                             ; =>This Inner Loop Header: Depth=1
	s_sethalt 5
	s_branch .LBB6_3782
.LBB6_3783:
	s_trap 2
	s_sendmsg_rtn_b32 s0, sendmsg(MSG_RTN_GET_DOORBELL)
	s_mov_b32 ttmp2, m0
	s_waitcnt lgkmcnt(0)
	s_and_b32 s0, s0, 0x3ff
	s_delay_alu instid0(SALU_CYCLE_1) | instskip(NEXT) | instid1(SALU_CYCLE_1)
	s_bitset1_b32 s0, 10
	s_mov_b32 m0, s0
	s_sendmsg sendmsg(MSG_INTERRUPT)
	s_mov_b32 m0, ttmp2
.LBB6_3784:                             ; =>This Inner Loop Header: Depth=1
	s_sethalt 5
	s_branch .LBB6_3784
.LBB6_3785:
	s_trap 2
	s_sendmsg_rtn_b32 s0, sendmsg(MSG_RTN_GET_DOORBELL)
	s_mov_b32 ttmp2, m0
	s_waitcnt lgkmcnt(0)
	s_and_b32 s0, s0, 0x3ff
	s_delay_alu instid0(SALU_CYCLE_1) | instskip(NEXT) | instid1(SALU_CYCLE_1)
	s_bitset1_b32 s0, 10
	s_mov_b32 m0, s0
	s_sendmsg sendmsg(MSG_INTERRUPT)
	s_mov_b32 m0, ttmp2
.LBB6_3786:                             ; =>This Inner Loop Header: Depth=1
	s_sethalt 5
	s_branch .LBB6_3786
.LBB6_3787:
	s_trap 2
	s_sendmsg_rtn_b32 s0, sendmsg(MSG_RTN_GET_DOORBELL)
	s_mov_b32 ttmp2, m0
	s_waitcnt lgkmcnt(0)
	s_and_b32 s0, s0, 0x3ff
	s_delay_alu instid0(SALU_CYCLE_1) | instskip(NEXT) | instid1(SALU_CYCLE_1)
	s_bitset1_b32 s0, 10
	s_mov_b32 m0, s0
	s_sendmsg sendmsg(MSG_INTERRUPT)
	s_mov_b32 m0, ttmp2
.LBB6_3788:                             ; =>This Inner Loop Header: Depth=1
	s_sethalt 5
	s_branch .LBB6_3788
.LBB6_3789:
	s_trap 2
	s_sendmsg_rtn_b32 s0, sendmsg(MSG_RTN_GET_DOORBELL)
	s_mov_b32 ttmp2, m0
	s_waitcnt lgkmcnt(0)
	s_and_b32 s0, s0, 0x3ff
	s_delay_alu instid0(SALU_CYCLE_1) | instskip(NEXT) | instid1(SALU_CYCLE_1)
	s_bitset1_b32 s0, 10
	s_mov_b32 m0, s0
	s_sendmsg sendmsg(MSG_INTERRUPT)
	s_mov_b32 m0, ttmp2
.LBB6_3790:                             ; =>This Inner Loop Header: Depth=1
	s_sethalt 5
	s_branch .LBB6_3790
.LBB6_3791:
	s_trap 2
	s_sendmsg_rtn_b32 s0, sendmsg(MSG_RTN_GET_DOORBELL)
	s_mov_b32 ttmp2, m0
	s_waitcnt lgkmcnt(0)
	s_and_b32 s0, s0, 0x3ff
	s_delay_alu instid0(SALU_CYCLE_1) | instskip(NEXT) | instid1(SALU_CYCLE_1)
	s_bitset1_b32 s0, 10
	s_mov_b32 m0, s0
	s_sendmsg sendmsg(MSG_INTERRUPT)
	s_mov_b32 m0, ttmp2
.LBB6_3792:                             ; =>This Inner Loop Header: Depth=1
	s_sethalt 5
	s_branch .LBB6_3792
.LBB6_3793:
	s_trap 2
	s_sendmsg_rtn_b32 s0, sendmsg(MSG_RTN_GET_DOORBELL)
	s_mov_b32 ttmp2, m0
	s_waitcnt lgkmcnt(0)
	s_and_b32 s0, s0, 0x3ff
	s_delay_alu instid0(SALU_CYCLE_1) | instskip(NEXT) | instid1(SALU_CYCLE_1)
	s_bitset1_b32 s0, 10
	s_mov_b32 m0, s0
	s_sendmsg sendmsg(MSG_INTERRUPT)
	s_mov_b32 m0, ttmp2
.LBB6_3794:                             ; =>This Inner Loop Header: Depth=1
	s_sethalt 5
	s_branch .LBB6_3794
.LBB6_3795:
	s_trap 2
	s_sendmsg_rtn_b32 s0, sendmsg(MSG_RTN_GET_DOORBELL)
	s_mov_b32 ttmp2, m0
	s_waitcnt lgkmcnt(0)
	s_and_b32 s0, s0, 0x3ff
	s_delay_alu instid0(SALU_CYCLE_1) | instskip(NEXT) | instid1(SALU_CYCLE_1)
	s_bitset1_b32 s0, 10
	s_mov_b32 m0, s0
	s_sendmsg sendmsg(MSG_INTERRUPT)
	s_mov_b32 m0, ttmp2
.LBB6_3796:                             ; =>This Inner Loop Header: Depth=1
	s_sethalt 5
	s_branch .LBB6_3796
.LBB6_3797:
	s_trap 2
	s_sendmsg_rtn_b32 s0, sendmsg(MSG_RTN_GET_DOORBELL)
	s_mov_b32 ttmp2, m0
	s_waitcnt lgkmcnt(0)
	s_and_b32 s0, s0, 0x3ff
	s_delay_alu instid0(SALU_CYCLE_1) | instskip(NEXT) | instid1(SALU_CYCLE_1)
	s_bitset1_b32 s0, 10
	s_mov_b32 m0, s0
	s_sendmsg sendmsg(MSG_INTERRUPT)
	s_mov_b32 m0, ttmp2
.LBB6_3798:                             ; =>This Inner Loop Header: Depth=1
	s_sethalt 5
	s_branch .LBB6_3798
.LBB6_3799:
	s_trap 2
	s_sendmsg_rtn_b32 s0, sendmsg(MSG_RTN_GET_DOORBELL)
	s_mov_b32 ttmp2, m0
	s_waitcnt lgkmcnt(0)
	s_and_b32 s0, s0, 0x3ff
	s_delay_alu instid0(SALU_CYCLE_1) | instskip(NEXT) | instid1(SALU_CYCLE_1)
	s_bitset1_b32 s0, 10
	s_mov_b32 m0, s0
	s_sendmsg sendmsg(MSG_INTERRUPT)
	s_mov_b32 m0, ttmp2
.LBB6_3800:                             ; =>This Inner Loop Header: Depth=1
	s_sethalt 5
	s_branch .LBB6_3800
.LBB6_3801:
	s_trap 2
	s_sendmsg_rtn_b32 s0, sendmsg(MSG_RTN_GET_DOORBELL)
	s_mov_b32 ttmp2, m0
	s_waitcnt lgkmcnt(0)
	s_and_b32 s0, s0, 0x3ff
	s_delay_alu instid0(SALU_CYCLE_1) | instskip(NEXT) | instid1(SALU_CYCLE_1)
	s_bitset1_b32 s0, 10
	s_mov_b32 m0, s0
	s_sendmsg sendmsg(MSG_INTERRUPT)
	s_mov_b32 m0, ttmp2
.LBB6_3802:                             ; =>This Inner Loop Header: Depth=1
	s_sethalt 5
	s_branch .LBB6_3802
.LBB6_3803:
	s_trap 2
	s_sendmsg_rtn_b32 s0, sendmsg(MSG_RTN_GET_DOORBELL)
	s_mov_b32 ttmp2, m0
	s_waitcnt lgkmcnt(0)
	s_and_b32 s0, s0, 0x3ff
	s_delay_alu instid0(SALU_CYCLE_1) | instskip(NEXT) | instid1(SALU_CYCLE_1)
	s_bitset1_b32 s0, 10
	s_mov_b32 m0, s0
	s_sendmsg sendmsg(MSG_INTERRUPT)
	s_mov_b32 m0, ttmp2
.LBB6_3804:                             ; =>This Inner Loop Header: Depth=1
	s_sethalt 5
	s_branch .LBB6_3804
.LBB6_3805:
	s_trap 2
	s_sendmsg_rtn_b32 s0, sendmsg(MSG_RTN_GET_DOORBELL)
	s_mov_b32 ttmp2, m0
	s_waitcnt lgkmcnt(0)
	s_and_b32 s0, s0, 0x3ff
	s_delay_alu instid0(SALU_CYCLE_1) | instskip(NEXT) | instid1(SALU_CYCLE_1)
	s_bitset1_b32 s0, 10
	s_mov_b32 m0, s0
	s_sendmsg sendmsg(MSG_INTERRUPT)
	s_mov_b32 m0, ttmp2
.LBB6_3806:                             ; =>This Inner Loop Header: Depth=1
	s_sethalt 5
	s_branch .LBB6_3806
.LBB6_3807:
	s_trap 2
	s_sendmsg_rtn_b32 s0, sendmsg(MSG_RTN_GET_DOORBELL)
	s_mov_b32 ttmp2, m0
	s_waitcnt lgkmcnt(0)
	s_and_b32 s0, s0, 0x3ff
	s_delay_alu instid0(SALU_CYCLE_1) | instskip(NEXT) | instid1(SALU_CYCLE_1)
	s_bitset1_b32 s0, 10
	s_mov_b32 m0, s0
	s_sendmsg sendmsg(MSG_INTERRUPT)
	s_mov_b32 m0, ttmp2
.LBB6_3808:                             ; =>This Inner Loop Header: Depth=1
	s_sethalt 5
	s_branch .LBB6_3808
.LBB6_3809:
	s_trap 2
	s_sendmsg_rtn_b32 s0, sendmsg(MSG_RTN_GET_DOORBELL)
	s_mov_b32 ttmp2, m0
	s_waitcnt lgkmcnt(0)
	s_and_b32 s0, s0, 0x3ff
	s_delay_alu instid0(SALU_CYCLE_1) | instskip(NEXT) | instid1(SALU_CYCLE_1)
	s_bitset1_b32 s0, 10
	s_mov_b32 m0, s0
	s_sendmsg sendmsg(MSG_INTERRUPT)
	s_mov_b32 m0, ttmp2
.LBB6_3810:                             ; =>This Inner Loop Header: Depth=1
	s_sethalt 5
	s_branch .LBB6_3810
.LBB6_3811:
	s_trap 2
	s_sendmsg_rtn_b32 s0, sendmsg(MSG_RTN_GET_DOORBELL)
	s_mov_b32 ttmp2, m0
	s_waitcnt lgkmcnt(0)
	s_and_b32 s0, s0, 0x3ff
	s_delay_alu instid0(SALU_CYCLE_1) | instskip(NEXT) | instid1(SALU_CYCLE_1)
	s_bitset1_b32 s0, 10
	s_mov_b32 m0, s0
	s_sendmsg sendmsg(MSG_INTERRUPT)
	s_mov_b32 m0, ttmp2
.LBB6_3812:                             ; =>This Inner Loop Header: Depth=1
	s_sethalt 5
	s_branch .LBB6_3812
.LBB6_3813:
	s_trap 2
	s_sendmsg_rtn_b32 s0, sendmsg(MSG_RTN_GET_DOORBELL)
	s_mov_b32 ttmp2, m0
	s_waitcnt lgkmcnt(0)
	s_and_b32 s0, s0, 0x3ff
	s_delay_alu instid0(SALU_CYCLE_1) | instskip(NEXT) | instid1(SALU_CYCLE_1)
	s_bitset1_b32 s0, 10
	s_mov_b32 m0, s0
	s_sendmsg sendmsg(MSG_INTERRUPT)
	s_mov_b32 m0, ttmp2
.LBB6_3814:                             ; =>This Inner Loop Header: Depth=1
	s_sethalt 5
	s_branch .LBB6_3814
.LBB6_3815:
	s_trap 2
	s_sendmsg_rtn_b32 s0, sendmsg(MSG_RTN_GET_DOORBELL)
	s_mov_b32 ttmp2, m0
	s_waitcnt lgkmcnt(0)
	s_and_b32 s0, s0, 0x3ff
	s_delay_alu instid0(SALU_CYCLE_1) | instskip(NEXT) | instid1(SALU_CYCLE_1)
	s_bitset1_b32 s0, 10
	s_mov_b32 m0, s0
	s_sendmsg sendmsg(MSG_INTERRUPT)
	s_mov_b32 m0, ttmp2
.LBB6_3816:                             ; =>This Inner Loop Header: Depth=1
	s_sethalt 5
	s_branch .LBB6_3816
.LBB6_3817:
	s_trap 2
	s_sendmsg_rtn_b32 s0, sendmsg(MSG_RTN_GET_DOORBELL)
	s_mov_b32 ttmp2, m0
	s_waitcnt lgkmcnt(0)
	s_and_b32 s0, s0, 0x3ff
	s_delay_alu instid0(SALU_CYCLE_1) | instskip(NEXT) | instid1(SALU_CYCLE_1)
	s_bitset1_b32 s0, 10
	s_mov_b32 m0, s0
	s_sendmsg sendmsg(MSG_INTERRUPT)
	s_mov_b32 m0, ttmp2
.LBB6_3818:                             ; =>This Inner Loop Header: Depth=1
	s_sethalt 5
	s_branch .LBB6_3818
.LBB6_3819:
	s_trap 2
	s_sendmsg_rtn_b32 s0, sendmsg(MSG_RTN_GET_DOORBELL)
	s_mov_b32 ttmp2, m0
	s_waitcnt lgkmcnt(0)
	s_and_b32 s0, s0, 0x3ff
	s_delay_alu instid0(SALU_CYCLE_1) | instskip(NEXT) | instid1(SALU_CYCLE_1)
	s_bitset1_b32 s0, 10
	s_mov_b32 m0, s0
	s_sendmsg sendmsg(MSG_INTERRUPT)
	s_mov_b32 m0, ttmp2
.LBB6_3820:                             ; =>This Inner Loop Header: Depth=1
	s_sethalt 5
	s_branch .LBB6_3820
.LBB6_3821:
	s_trap 2
	s_sendmsg_rtn_b32 s0, sendmsg(MSG_RTN_GET_DOORBELL)
	s_mov_b32 ttmp2, m0
	s_waitcnt lgkmcnt(0)
	s_and_b32 s0, s0, 0x3ff
	s_delay_alu instid0(SALU_CYCLE_1) | instskip(NEXT) | instid1(SALU_CYCLE_1)
	s_bitset1_b32 s0, 10
	s_mov_b32 m0, s0
	s_sendmsg sendmsg(MSG_INTERRUPT)
	s_mov_b32 m0, ttmp2
.LBB6_3822:                             ; =>This Inner Loop Header: Depth=1
	s_sethalt 5
	s_branch .LBB6_3822
.LBB6_3823:
	s_trap 2
	s_sendmsg_rtn_b32 s0, sendmsg(MSG_RTN_GET_DOORBELL)
	s_mov_b32 ttmp2, m0
	s_waitcnt lgkmcnt(0)
	s_and_b32 s0, s0, 0x3ff
	s_delay_alu instid0(SALU_CYCLE_1) | instskip(NEXT) | instid1(SALU_CYCLE_1)
	s_bitset1_b32 s0, 10
	s_mov_b32 m0, s0
	s_sendmsg sendmsg(MSG_INTERRUPT)
	s_mov_b32 m0, ttmp2
.LBB6_3824:                             ; =>This Inner Loop Header: Depth=1
	s_sethalt 5
	s_branch .LBB6_3824
.LBB6_3825:
	s_trap 2
	s_sendmsg_rtn_b32 s0, sendmsg(MSG_RTN_GET_DOORBELL)
	s_mov_b32 ttmp2, m0
	s_waitcnt lgkmcnt(0)
	s_and_b32 s0, s0, 0x3ff
	s_delay_alu instid0(SALU_CYCLE_1) | instskip(NEXT) | instid1(SALU_CYCLE_1)
	s_bitset1_b32 s0, 10
	s_mov_b32 m0, s0
	s_sendmsg sendmsg(MSG_INTERRUPT)
	s_mov_b32 m0, ttmp2
.LBB6_3826:                             ; =>This Inner Loop Header: Depth=1
	s_sethalt 5
	s_branch .LBB6_3826
.LBB6_3827:
	s_trap 2
	s_sendmsg_rtn_b32 s0, sendmsg(MSG_RTN_GET_DOORBELL)
	s_mov_b32 ttmp2, m0
	s_waitcnt lgkmcnt(0)
	s_and_b32 s0, s0, 0x3ff
	s_delay_alu instid0(SALU_CYCLE_1) | instskip(NEXT) | instid1(SALU_CYCLE_1)
	s_bitset1_b32 s0, 10
	s_mov_b32 m0, s0
	s_sendmsg sendmsg(MSG_INTERRUPT)
	s_mov_b32 m0, ttmp2
.LBB6_3828:                             ; =>This Inner Loop Header: Depth=1
	s_sethalt 5
	s_branch .LBB6_3828
.LBB6_3829:
	s_trap 2
	s_sendmsg_rtn_b32 s0, sendmsg(MSG_RTN_GET_DOORBELL)
	s_mov_b32 ttmp2, m0
	s_waitcnt lgkmcnt(0)
	s_and_b32 s0, s0, 0x3ff
	s_delay_alu instid0(SALU_CYCLE_1) | instskip(NEXT) | instid1(SALU_CYCLE_1)
	s_bitset1_b32 s0, 10
	s_mov_b32 m0, s0
	s_sendmsg sendmsg(MSG_INTERRUPT)
	s_mov_b32 m0, ttmp2
.LBB6_3830:                             ; =>This Inner Loop Header: Depth=1
	s_sethalt 5
	s_branch .LBB6_3830
.LBB6_3831:
	s_trap 2
	s_sendmsg_rtn_b32 s0, sendmsg(MSG_RTN_GET_DOORBELL)
	s_mov_b32 ttmp2, m0
	s_waitcnt lgkmcnt(0)
	s_and_b32 s0, s0, 0x3ff
	s_delay_alu instid0(SALU_CYCLE_1) | instskip(NEXT) | instid1(SALU_CYCLE_1)
	s_bitset1_b32 s0, 10
	s_mov_b32 m0, s0
	s_sendmsg sendmsg(MSG_INTERRUPT)
	s_mov_b32 m0, ttmp2
.LBB6_3832:                             ; =>This Inner Loop Header: Depth=1
	s_sethalt 5
	s_branch .LBB6_3832
.LBB6_3833:
	s_trap 2
	s_sendmsg_rtn_b32 s0, sendmsg(MSG_RTN_GET_DOORBELL)
	s_mov_b32 ttmp2, m0
	s_waitcnt lgkmcnt(0)
	s_and_b32 s0, s0, 0x3ff
	s_delay_alu instid0(SALU_CYCLE_1) | instskip(NEXT) | instid1(SALU_CYCLE_1)
	s_bitset1_b32 s0, 10
	s_mov_b32 m0, s0
	s_sendmsg sendmsg(MSG_INTERRUPT)
	s_mov_b32 m0, ttmp2
.LBB6_3834:                             ; =>This Inner Loop Header: Depth=1
	s_sethalt 5
	s_branch .LBB6_3834
.LBB6_3835:
	s_trap 2
	s_sendmsg_rtn_b32 s0, sendmsg(MSG_RTN_GET_DOORBELL)
	s_mov_b32 ttmp2, m0
	s_waitcnt lgkmcnt(0)
	s_and_b32 s0, s0, 0x3ff
	s_delay_alu instid0(SALU_CYCLE_1) | instskip(NEXT) | instid1(SALU_CYCLE_1)
	s_bitset1_b32 s0, 10
	s_mov_b32 m0, s0
	s_sendmsg sendmsg(MSG_INTERRUPT)
	s_mov_b32 m0, ttmp2
.LBB6_3836:                             ; =>This Inner Loop Header: Depth=1
	s_sethalt 5
	s_branch .LBB6_3836
.LBB6_3837:
	s_trap 2
	s_sendmsg_rtn_b32 s0, sendmsg(MSG_RTN_GET_DOORBELL)
	s_mov_b32 ttmp2, m0
	s_waitcnt lgkmcnt(0)
	s_and_b32 s0, s0, 0x3ff
	s_delay_alu instid0(SALU_CYCLE_1) | instskip(NEXT) | instid1(SALU_CYCLE_1)
	s_bitset1_b32 s0, 10
	s_mov_b32 m0, s0
	s_sendmsg sendmsg(MSG_INTERRUPT)
	s_mov_b32 m0, ttmp2
.LBB6_3838:                             ; =>This Inner Loop Header: Depth=1
	s_sethalt 5
	s_branch .LBB6_3838
.LBB6_3839:
	s_trap 2
	s_sendmsg_rtn_b32 s0, sendmsg(MSG_RTN_GET_DOORBELL)
	s_mov_b32 ttmp2, m0
	s_waitcnt lgkmcnt(0)
	s_and_b32 s0, s0, 0x3ff
	s_delay_alu instid0(SALU_CYCLE_1) | instskip(NEXT) | instid1(SALU_CYCLE_1)
	s_bitset1_b32 s0, 10
	s_mov_b32 m0, s0
	s_sendmsg sendmsg(MSG_INTERRUPT)
	s_mov_b32 m0, ttmp2
.LBB6_3840:                             ; =>This Inner Loop Header: Depth=1
	s_sethalt 5
	s_branch .LBB6_3840
.LBB6_3841:
	s_trap 2
	s_sendmsg_rtn_b32 s0, sendmsg(MSG_RTN_GET_DOORBELL)
	s_mov_b32 ttmp2, m0
	s_waitcnt lgkmcnt(0)
	s_and_b32 s0, s0, 0x3ff
	s_delay_alu instid0(SALU_CYCLE_1) | instskip(NEXT) | instid1(SALU_CYCLE_1)
	s_bitset1_b32 s0, 10
	s_mov_b32 m0, s0
	s_sendmsg sendmsg(MSG_INTERRUPT)
	s_mov_b32 m0, ttmp2
.LBB6_3842:                             ; =>This Inner Loop Header: Depth=1
	s_sethalt 5
	s_branch .LBB6_3842
.LBB6_3843:
	s_trap 2
	s_sendmsg_rtn_b32 s0, sendmsg(MSG_RTN_GET_DOORBELL)
	s_mov_b32 ttmp2, m0
	s_waitcnt lgkmcnt(0)
	s_and_b32 s0, s0, 0x3ff
	s_delay_alu instid0(SALU_CYCLE_1) | instskip(NEXT) | instid1(SALU_CYCLE_1)
	s_bitset1_b32 s0, 10
	s_mov_b32 m0, s0
	s_sendmsg sendmsg(MSG_INTERRUPT)
	s_mov_b32 m0, ttmp2
.LBB6_3844:                             ; =>This Inner Loop Header: Depth=1
	s_sethalt 5
	s_branch .LBB6_3844
.LBB6_3845:
	s_trap 2
	s_sendmsg_rtn_b32 s0, sendmsg(MSG_RTN_GET_DOORBELL)
	s_mov_b32 ttmp2, m0
	s_waitcnt lgkmcnt(0)
	s_and_b32 s0, s0, 0x3ff
	s_delay_alu instid0(SALU_CYCLE_1) | instskip(NEXT) | instid1(SALU_CYCLE_1)
	s_bitset1_b32 s0, 10
	s_mov_b32 m0, s0
	s_sendmsg sendmsg(MSG_INTERRUPT)
	s_mov_b32 m0, ttmp2
.LBB6_3846:                             ; =>This Inner Loop Header: Depth=1
	s_sethalt 5
	s_branch .LBB6_3846
.LBB6_3847:
	s_trap 2
	s_sendmsg_rtn_b32 s0, sendmsg(MSG_RTN_GET_DOORBELL)
	s_mov_b32 ttmp2, m0
	s_waitcnt lgkmcnt(0)
	s_and_b32 s0, s0, 0x3ff
	s_delay_alu instid0(SALU_CYCLE_1) | instskip(NEXT) | instid1(SALU_CYCLE_1)
	s_bitset1_b32 s0, 10
	s_mov_b32 m0, s0
	s_sendmsg sendmsg(MSG_INTERRUPT)
	s_mov_b32 m0, ttmp2
.LBB6_3848:                             ; =>This Inner Loop Header: Depth=1
	s_sethalt 5
	s_branch .LBB6_3848
.LBB6_3849:
	s_trap 2
	s_sendmsg_rtn_b32 s0, sendmsg(MSG_RTN_GET_DOORBELL)
	s_mov_b32 ttmp2, m0
	s_waitcnt lgkmcnt(0)
	s_and_b32 s0, s0, 0x3ff
	s_delay_alu instid0(SALU_CYCLE_1) | instskip(NEXT) | instid1(SALU_CYCLE_1)
	s_bitset1_b32 s0, 10
	s_mov_b32 m0, s0
	s_sendmsg sendmsg(MSG_INTERRUPT)
	s_mov_b32 m0, ttmp2
.LBB6_3850:                             ; =>This Inner Loop Header: Depth=1
	s_sethalt 5
	s_branch .LBB6_3850
.LBB6_3851:
	s_trap 2
	s_sendmsg_rtn_b32 s0, sendmsg(MSG_RTN_GET_DOORBELL)
	s_mov_b32 ttmp2, m0
	s_waitcnt lgkmcnt(0)
	s_and_b32 s0, s0, 0x3ff
	s_delay_alu instid0(SALU_CYCLE_1) | instskip(NEXT) | instid1(SALU_CYCLE_1)
	s_bitset1_b32 s0, 10
	s_mov_b32 m0, s0
	s_sendmsg sendmsg(MSG_INTERRUPT)
	s_mov_b32 m0, ttmp2
.LBB6_3852:                             ; =>This Inner Loop Header: Depth=1
	s_sethalt 5
	s_branch .LBB6_3852
.LBB6_3853:
	s_trap 2
	s_sendmsg_rtn_b32 s0, sendmsg(MSG_RTN_GET_DOORBELL)
	s_mov_b32 ttmp2, m0
	s_waitcnt lgkmcnt(0)
	s_and_b32 s0, s0, 0x3ff
	s_delay_alu instid0(SALU_CYCLE_1) | instskip(NEXT) | instid1(SALU_CYCLE_1)
	s_bitset1_b32 s0, 10
	s_mov_b32 m0, s0
	s_sendmsg sendmsg(MSG_INTERRUPT)
	s_mov_b32 m0, ttmp2
.LBB6_3854:                             ; =>This Inner Loop Header: Depth=1
	s_sethalt 5
	s_branch .LBB6_3854
.LBB6_3855:
	s_trap 2
	s_sendmsg_rtn_b32 s0, sendmsg(MSG_RTN_GET_DOORBELL)
	s_mov_b32 ttmp2, m0
	s_waitcnt lgkmcnt(0)
	s_and_b32 s0, s0, 0x3ff
	s_delay_alu instid0(SALU_CYCLE_1) | instskip(NEXT) | instid1(SALU_CYCLE_1)
	s_bitset1_b32 s0, 10
	s_mov_b32 m0, s0
	s_sendmsg sendmsg(MSG_INTERRUPT)
	s_mov_b32 m0, ttmp2
.LBB6_3856:                             ; =>This Inner Loop Header: Depth=1
	s_sethalt 5
	s_branch .LBB6_3856
.LBB6_3857:
	s_trap 2
	s_sendmsg_rtn_b32 s0, sendmsg(MSG_RTN_GET_DOORBELL)
	s_mov_b32 ttmp2, m0
	s_waitcnt lgkmcnt(0)
	s_and_b32 s0, s0, 0x3ff
	s_delay_alu instid0(SALU_CYCLE_1) | instskip(NEXT) | instid1(SALU_CYCLE_1)
	s_bitset1_b32 s0, 10
	s_mov_b32 m0, s0
	s_sendmsg sendmsg(MSG_INTERRUPT)
	s_mov_b32 m0, ttmp2
.LBB6_3858:                             ; =>This Inner Loop Header: Depth=1
	s_sethalt 5
	s_branch .LBB6_3858
.LBB6_3859:
	s_trap 2
	s_sendmsg_rtn_b32 s0, sendmsg(MSG_RTN_GET_DOORBELL)
	s_mov_b32 ttmp2, m0
	s_waitcnt lgkmcnt(0)
	s_and_b32 s0, s0, 0x3ff
	s_delay_alu instid0(SALU_CYCLE_1) | instskip(NEXT) | instid1(SALU_CYCLE_1)
	s_bitset1_b32 s0, 10
	s_mov_b32 m0, s0
	s_sendmsg sendmsg(MSG_INTERRUPT)
	s_mov_b32 m0, ttmp2
.LBB6_3860:                             ; =>This Inner Loop Header: Depth=1
	s_sethalt 5
	s_branch .LBB6_3860
.LBB6_3861:
	s_trap 2
	s_sendmsg_rtn_b32 s0, sendmsg(MSG_RTN_GET_DOORBELL)
	s_mov_b32 ttmp2, m0
	s_waitcnt lgkmcnt(0)
	s_and_b32 s0, s0, 0x3ff
	s_delay_alu instid0(SALU_CYCLE_1) | instskip(NEXT) | instid1(SALU_CYCLE_1)
	s_bitset1_b32 s0, 10
	s_mov_b32 m0, s0
	s_sendmsg sendmsg(MSG_INTERRUPT)
	s_mov_b32 m0, ttmp2
.LBB6_3862:                             ; =>This Inner Loop Header: Depth=1
	s_sethalt 5
	s_branch .LBB6_3862
.LBB6_3863:
	s_trap 2
	s_sendmsg_rtn_b32 s0, sendmsg(MSG_RTN_GET_DOORBELL)
	s_mov_b32 ttmp2, m0
	s_waitcnt lgkmcnt(0)
	s_and_b32 s0, s0, 0x3ff
	s_delay_alu instid0(SALU_CYCLE_1) | instskip(NEXT) | instid1(SALU_CYCLE_1)
	s_bitset1_b32 s0, 10
	s_mov_b32 m0, s0
	s_sendmsg sendmsg(MSG_INTERRUPT)
	s_mov_b32 m0, ttmp2
.LBB6_3864:                             ; =>This Inner Loop Header: Depth=1
	s_sethalt 5
	s_branch .LBB6_3864
.LBB6_3865:
	s_trap 2
	s_sendmsg_rtn_b32 s0, sendmsg(MSG_RTN_GET_DOORBELL)
	s_mov_b32 ttmp2, m0
	s_waitcnt lgkmcnt(0)
	s_and_b32 s0, s0, 0x3ff
	s_delay_alu instid0(SALU_CYCLE_1) | instskip(NEXT) | instid1(SALU_CYCLE_1)
	s_bitset1_b32 s0, 10
	s_mov_b32 m0, s0
	s_sendmsg sendmsg(MSG_INTERRUPT)
	s_mov_b32 m0, ttmp2
.LBB6_3866:                             ; =>This Inner Loop Header: Depth=1
	s_sethalt 5
	s_branch .LBB6_3866
.LBB6_3867:
	s_trap 2
	s_sendmsg_rtn_b32 s0, sendmsg(MSG_RTN_GET_DOORBELL)
	s_mov_b32 ttmp2, m0
	s_waitcnt lgkmcnt(0)
	s_and_b32 s0, s0, 0x3ff
	s_delay_alu instid0(SALU_CYCLE_1) | instskip(NEXT) | instid1(SALU_CYCLE_1)
	s_bitset1_b32 s0, 10
	s_mov_b32 m0, s0
	s_sendmsg sendmsg(MSG_INTERRUPT)
	s_mov_b32 m0, ttmp2
.LBB6_3868:                             ; =>This Inner Loop Header: Depth=1
	s_sethalt 5
	s_branch .LBB6_3868
.LBB6_3869:
	s_trap 2
	s_sendmsg_rtn_b32 s0, sendmsg(MSG_RTN_GET_DOORBELL)
	s_mov_b32 ttmp2, m0
	s_waitcnt lgkmcnt(0)
	s_and_b32 s0, s0, 0x3ff
	s_delay_alu instid0(SALU_CYCLE_1) | instskip(NEXT) | instid1(SALU_CYCLE_1)
	s_bitset1_b32 s0, 10
	s_mov_b32 m0, s0
	s_sendmsg sendmsg(MSG_INTERRUPT)
	s_mov_b32 m0, ttmp2
.LBB6_3870:                             ; =>This Inner Loop Header: Depth=1
	s_sethalt 5
	s_branch .LBB6_3870
.LBB6_3871:
	s_trap 2
	s_sendmsg_rtn_b32 s0, sendmsg(MSG_RTN_GET_DOORBELL)
	s_mov_b32 ttmp2, m0
	s_waitcnt lgkmcnt(0)
	s_and_b32 s0, s0, 0x3ff
	s_delay_alu instid0(SALU_CYCLE_1) | instskip(NEXT) | instid1(SALU_CYCLE_1)
	s_bitset1_b32 s0, 10
	s_mov_b32 m0, s0
	s_sendmsg sendmsg(MSG_INTERRUPT)
	s_mov_b32 m0, ttmp2
.LBB6_3872:                             ; =>This Inner Loop Header: Depth=1
	s_sethalt 5
	s_branch .LBB6_3872
.LBB6_3873:
	s_trap 2
	s_sendmsg_rtn_b32 s0, sendmsg(MSG_RTN_GET_DOORBELL)
	s_mov_b32 ttmp2, m0
	s_waitcnt lgkmcnt(0)
	s_and_b32 s0, s0, 0x3ff
	s_delay_alu instid0(SALU_CYCLE_1) | instskip(NEXT) | instid1(SALU_CYCLE_1)
	s_bitset1_b32 s0, 10
	s_mov_b32 m0, s0
	s_sendmsg sendmsg(MSG_INTERRUPT)
	s_mov_b32 m0, ttmp2
.LBB6_3874:                             ; =>This Inner Loop Header: Depth=1
	s_sethalt 5
	s_branch .LBB6_3874
.LBB6_3875:
	s_trap 2
	s_sendmsg_rtn_b32 s0, sendmsg(MSG_RTN_GET_DOORBELL)
	s_mov_b32 ttmp2, m0
	s_waitcnt lgkmcnt(0)
	s_and_b32 s0, s0, 0x3ff
	s_delay_alu instid0(SALU_CYCLE_1) | instskip(NEXT) | instid1(SALU_CYCLE_1)
	s_bitset1_b32 s0, 10
	s_mov_b32 m0, s0
	s_sendmsg sendmsg(MSG_INTERRUPT)
	s_mov_b32 m0, ttmp2
.LBB6_3876:                             ; =>This Inner Loop Header: Depth=1
	s_sethalt 5
	s_branch .LBB6_3876
.LBB6_3877:
	s_trap 2
	s_sendmsg_rtn_b32 s0, sendmsg(MSG_RTN_GET_DOORBELL)
	s_mov_b32 ttmp2, m0
	s_waitcnt lgkmcnt(0)
	s_and_b32 s0, s0, 0x3ff
	s_delay_alu instid0(SALU_CYCLE_1) | instskip(NEXT) | instid1(SALU_CYCLE_1)
	s_bitset1_b32 s0, 10
	s_mov_b32 m0, s0
	s_sendmsg sendmsg(MSG_INTERRUPT)
	s_mov_b32 m0, ttmp2
.LBB6_3878:                             ; =>This Inner Loop Header: Depth=1
	s_sethalt 5
	s_branch .LBB6_3878
.LBB6_3879:
	s_trap 2
	s_sendmsg_rtn_b32 s0, sendmsg(MSG_RTN_GET_DOORBELL)
	s_mov_b32 ttmp2, m0
	s_waitcnt lgkmcnt(0)
	s_and_b32 s0, s0, 0x3ff
	s_delay_alu instid0(SALU_CYCLE_1) | instskip(NEXT) | instid1(SALU_CYCLE_1)
	s_bitset1_b32 s0, 10
	s_mov_b32 m0, s0
	s_sendmsg sendmsg(MSG_INTERRUPT)
	s_mov_b32 m0, ttmp2
.LBB6_3880:                             ; =>This Inner Loop Header: Depth=1
	s_sethalt 5
	s_branch .LBB6_3880
.LBB6_3881:
	s_trap 2
	s_sendmsg_rtn_b32 s0, sendmsg(MSG_RTN_GET_DOORBELL)
	s_mov_b32 ttmp2, m0
	s_waitcnt lgkmcnt(0)
	s_and_b32 s0, s0, 0x3ff
	s_delay_alu instid0(SALU_CYCLE_1) | instskip(NEXT) | instid1(SALU_CYCLE_1)
	s_bitset1_b32 s0, 10
	s_mov_b32 m0, s0
	s_sendmsg sendmsg(MSG_INTERRUPT)
	s_mov_b32 m0, ttmp2
.LBB6_3882:                             ; =>This Inner Loop Header: Depth=1
	s_sethalt 5
	s_branch .LBB6_3882
.LBB6_3883:
	s_trap 2
	s_sendmsg_rtn_b32 s0, sendmsg(MSG_RTN_GET_DOORBELL)
	s_mov_b32 ttmp2, m0
	s_waitcnt lgkmcnt(0)
	s_and_b32 s0, s0, 0x3ff
	s_delay_alu instid0(SALU_CYCLE_1) | instskip(NEXT) | instid1(SALU_CYCLE_1)
	s_bitset1_b32 s0, 10
	s_mov_b32 m0, s0
	s_sendmsg sendmsg(MSG_INTERRUPT)
	s_mov_b32 m0, ttmp2
.LBB6_3884:                             ; =>This Inner Loop Header: Depth=1
	s_sethalt 5
	s_branch .LBB6_3884
.LBB6_3885:
	s_trap 2
	s_sendmsg_rtn_b32 s0, sendmsg(MSG_RTN_GET_DOORBELL)
	s_mov_b32 ttmp2, m0
	s_waitcnt lgkmcnt(0)
	s_and_b32 s0, s0, 0x3ff
	s_delay_alu instid0(SALU_CYCLE_1) | instskip(NEXT) | instid1(SALU_CYCLE_1)
	s_bitset1_b32 s0, 10
	s_mov_b32 m0, s0
	s_sendmsg sendmsg(MSG_INTERRUPT)
	s_mov_b32 m0, ttmp2
.LBB6_3886:                             ; =>This Inner Loop Header: Depth=1
	s_sethalt 5
	s_branch .LBB6_3886
.LBB6_3887:
	s_trap 2
	s_sendmsg_rtn_b32 s0, sendmsg(MSG_RTN_GET_DOORBELL)
	s_mov_b32 ttmp2, m0
	s_waitcnt lgkmcnt(0)
	s_and_b32 s0, s0, 0x3ff
	s_delay_alu instid0(SALU_CYCLE_1) | instskip(NEXT) | instid1(SALU_CYCLE_1)
	s_bitset1_b32 s0, 10
	s_mov_b32 m0, s0
	s_sendmsg sendmsg(MSG_INTERRUPT)
	s_mov_b32 m0, ttmp2
.LBB6_3888:                             ; =>This Inner Loop Header: Depth=1
	s_sethalt 5
	s_branch .LBB6_3888
.LBB6_3889:
	s_trap 2
	s_sendmsg_rtn_b32 s0, sendmsg(MSG_RTN_GET_DOORBELL)
	s_mov_b32 ttmp2, m0
	s_waitcnt lgkmcnt(0)
	s_and_b32 s0, s0, 0x3ff
	s_delay_alu instid0(SALU_CYCLE_1) | instskip(NEXT) | instid1(SALU_CYCLE_1)
	s_bitset1_b32 s0, 10
	s_mov_b32 m0, s0
	s_sendmsg sendmsg(MSG_INTERRUPT)
	s_mov_b32 m0, ttmp2
.LBB6_3890:                             ; =>This Inner Loop Header: Depth=1
	s_sethalt 5
	s_branch .LBB6_3890
.LBB6_3891:
	s_trap 2
	s_sendmsg_rtn_b32 s0, sendmsg(MSG_RTN_GET_DOORBELL)
	s_mov_b32 ttmp2, m0
	s_waitcnt lgkmcnt(0)
	s_and_b32 s0, s0, 0x3ff
	s_delay_alu instid0(SALU_CYCLE_1) | instskip(NEXT) | instid1(SALU_CYCLE_1)
	s_bitset1_b32 s0, 10
	s_mov_b32 m0, s0
	s_sendmsg sendmsg(MSG_INTERRUPT)
	s_mov_b32 m0, ttmp2
.LBB6_3892:                             ; =>This Inner Loop Header: Depth=1
	s_sethalt 5
	s_branch .LBB6_3892
.LBB6_3893:
	s_trap 2
	s_sendmsg_rtn_b32 s0, sendmsg(MSG_RTN_GET_DOORBELL)
	s_mov_b32 ttmp2, m0
	s_waitcnt lgkmcnt(0)
	s_and_b32 s0, s0, 0x3ff
	s_delay_alu instid0(SALU_CYCLE_1) | instskip(NEXT) | instid1(SALU_CYCLE_1)
	s_bitset1_b32 s0, 10
	s_mov_b32 m0, s0
	s_sendmsg sendmsg(MSG_INTERRUPT)
	s_mov_b32 m0, ttmp2
.LBB6_3894:                             ; =>This Inner Loop Header: Depth=1
	s_sethalt 5
	s_branch .LBB6_3894
.LBB6_3895:
	s_trap 2
	s_sendmsg_rtn_b32 s0, sendmsg(MSG_RTN_GET_DOORBELL)
	s_mov_b32 ttmp2, m0
	s_waitcnt lgkmcnt(0)
	s_and_b32 s0, s0, 0x3ff
	s_delay_alu instid0(SALU_CYCLE_1) | instskip(NEXT) | instid1(SALU_CYCLE_1)
	s_bitset1_b32 s0, 10
	s_mov_b32 m0, s0
	s_sendmsg sendmsg(MSG_INTERRUPT)
	s_mov_b32 m0, ttmp2
.LBB6_3896:                             ; =>This Inner Loop Header: Depth=1
	s_sethalt 5
	s_branch .LBB6_3896
.LBB6_3897:
	s_trap 2
	s_sendmsg_rtn_b32 s0, sendmsg(MSG_RTN_GET_DOORBELL)
	s_mov_b32 ttmp2, m0
	s_waitcnt lgkmcnt(0)
	s_and_b32 s0, s0, 0x3ff
	s_delay_alu instid0(SALU_CYCLE_1) | instskip(NEXT) | instid1(SALU_CYCLE_1)
	s_bitset1_b32 s0, 10
	s_mov_b32 m0, s0
	s_sendmsg sendmsg(MSG_INTERRUPT)
	s_mov_b32 m0, ttmp2
.LBB6_3898:                             ; =>This Inner Loop Header: Depth=1
	s_sethalt 5
	s_branch .LBB6_3898
.LBB6_3899:
	s_trap 2
	s_sendmsg_rtn_b32 s0, sendmsg(MSG_RTN_GET_DOORBELL)
	s_mov_b32 ttmp2, m0
	s_waitcnt lgkmcnt(0)
	s_and_b32 s0, s0, 0x3ff
	s_delay_alu instid0(SALU_CYCLE_1) | instskip(NEXT) | instid1(SALU_CYCLE_1)
	s_bitset1_b32 s0, 10
	s_mov_b32 m0, s0
	s_sendmsg sendmsg(MSG_INTERRUPT)
	s_mov_b32 m0, ttmp2
.LBB6_3900:                             ; =>This Inner Loop Header: Depth=1
	s_sethalt 5
	s_branch .LBB6_3900
.LBB6_3901:
	s_trap 2
	s_sendmsg_rtn_b32 s0, sendmsg(MSG_RTN_GET_DOORBELL)
	s_mov_b32 ttmp2, m0
	s_waitcnt lgkmcnt(0)
	s_and_b32 s0, s0, 0x3ff
	s_delay_alu instid0(SALU_CYCLE_1) | instskip(NEXT) | instid1(SALU_CYCLE_1)
	s_bitset1_b32 s0, 10
	s_mov_b32 m0, s0
	s_sendmsg sendmsg(MSG_INTERRUPT)
	s_mov_b32 m0, ttmp2
.LBB6_3902:                             ; =>This Inner Loop Header: Depth=1
	s_sethalt 5
	s_branch .LBB6_3902
.LBB6_3903:
	s_trap 2
	s_sendmsg_rtn_b32 s0, sendmsg(MSG_RTN_GET_DOORBELL)
	s_mov_b32 ttmp2, m0
	s_waitcnt lgkmcnt(0)
	s_and_b32 s0, s0, 0x3ff
	s_delay_alu instid0(SALU_CYCLE_1) | instskip(NEXT) | instid1(SALU_CYCLE_1)
	s_bitset1_b32 s0, 10
	s_mov_b32 m0, s0
	s_sendmsg sendmsg(MSG_INTERRUPT)
	s_mov_b32 m0, ttmp2
.LBB6_3904:                             ; =>This Inner Loop Header: Depth=1
	s_sethalt 5
	s_branch .LBB6_3904
.LBB6_3905:
	s_trap 2
	s_sendmsg_rtn_b32 s0, sendmsg(MSG_RTN_GET_DOORBELL)
	s_mov_b32 ttmp2, m0
	s_waitcnt lgkmcnt(0)
	s_and_b32 s0, s0, 0x3ff
	s_delay_alu instid0(SALU_CYCLE_1) | instskip(NEXT) | instid1(SALU_CYCLE_1)
	s_bitset1_b32 s0, 10
	s_mov_b32 m0, s0
	s_sendmsg sendmsg(MSG_INTERRUPT)
	s_mov_b32 m0, ttmp2
.LBB6_3906:                             ; =>This Inner Loop Header: Depth=1
	s_sethalt 5
	s_branch .LBB6_3906
.LBB6_3907:
	s_trap 2
	s_sendmsg_rtn_b32 s0, sendmsg(MSG_RTN_GET_DOORBELL)
	s_mov_b32 ttmp2, m0
	s_waitcnt lgkmcnt(0)
	s_and_b32 s0, s0, 0x3ff
	s_delay_alu instid0(SALU_CYCLE_1) | instskip(NEXT) | instid1(SALU_CYCLE_1)
	s_bitset1_b32 s0, 10
	s_mov_b32 m0, s0
	s_sendmsg sendmsg(MSG_INTERRUPT)
	s_mov_b32 m0, ttmp2
.LBB6_3908:                             ; =>This Inner Loop Header: Depth=1
	s_sethalt 5
	s_branch .LBB6_3908
.LBB6_3909:
	s_trap 2
	s_sendmsg_rtn_b32 s0, sendmsg(MSG_RTN_GET_DOORBELL)
	s_mov_b32 ttmp2, m0
	s_waitcnt lgkmcnt(0)
	s_and_b32 s0, s0, 0x3ff
	s_delay_alu instid0(SALU_CYCLE_1) | instskip(NEXT) | instid1(SALU_CYCLE_1)
	s_bitset1_b32 s0, 10
	s_mov_b32 m0, s0
	s_sendmsg sendmsg(MSG_INTERRUPT)
	s_mov_b32 m0, ttmp2
.LBB6_3910:                             ; =>This Inner Loop Header: Depth=1
	s_sethalt 5
	s_branch .LBB6_3910
.LBB6_3911:
	s_trap 2
	s_sendmsg_rtn_b32 s0, sendmsg(MSG_RTN_GET_DOORBELL)
	s_mov_b32 ttmp2, m0
	s_waitcnt lgkmcnt(0)
	s_and_b32 s0, s0, 0x3ff
	s_delay_alu instid0(SALU_CYCLE_1) | instskip(NEXT) | instid1(SALU_CYCLE_1)
	s_bitset1_b32 s0, 10
	s_mov_b32 m0, s0
	s_sendmsg sendmsg(MSG_INTERRUPT)
	s_mov_b32 m0, ttmp2
.LBB6_3912:                             ; =>This Inner Loop Header: Depth=1
	s_sethalt 5
	s_branch .LBB6_3912
.LBB6_3913:
	s_trap 2
	s_sendmsg_rtn_b32 s0, sendmsg(MSG_RTN_GET_DOORBELL)
	s_mov_b32 ttmp2, m0
	s_waitcnt lgkmcnt(0)
	s_and_b32 s0, s0, 0x3ff
	s_delay_alu instid0(SALU_CYCLE_1) | instskip(NEXT) | instid1(SALU_CYCLE_1)
	s_bitset1_b32 s0, 10
	s_mov_b32 m0, s0
	s_sendmsg sendmsg(MSG_INTERRUPT)
	s_mov_b32 m0, ttmp2
.LBB6_3914:                             ; =>This Inner Loop Header: Depth=1
	s_sethalt 5
	s_branch .LBB6_3914
.LBB6_3915:
	s_trap 2
	s_sendmsg_rtn_b32 s0, sendmsg(MSG_RTN_GET_DOORBELL)
	s_mov_b32 ttmp2, m0
	s_waitcnt lgkmcnt(0)
	s_and_b32 s0, s0, 0x3ff
	s_delay_alu instid0(SALU_CYCLE_1) | instskip(NEXT) | instid1(SALU_CYCLE_1)
	s_bitset1_b32 s0, 10
	s_mov_b32 m0, s0
	s_sendmsg sendmsg(MSG_INTERRUPT)
	s_mov_b32 m0, ttmp2
.LBB6_3916:                             ; =>This Inner Loop Header: Depth=1
	s_sethalt 5
	s_branch .LBB6_3916
.LBB6_3917:
	s_trap 2
	s_sendmsg_rtn_b32 s0, sendmsg(MSG_RTN_GET_DOORBELL)
	s_mov_b32 ttmp2, m0
	s_waitcnt lgkmcnt(0)
	s_and_b32 s0, s0, 0x3ff
	s_delay_alu instid0(SALU_CYCLE_1) | instskip(NEXT) | instid1(SALU_CYCLE_1)
	s_bitset1_b32 s0, 10
	s_mov_b32 m0, s0
	s_sendmsg sendmsg(MSG_INTERRUPT)
	s_mov_b32 m0, ttmp2
.LBB6_3918:                             ; =>This Inner Loop Header: Depth=1
	s_sethalt 5
	s_branch .LBB6_3918
.LBB6_3919:
	s_trap 2
	s_sendmsg_rtn_b32 s0, sendmsg(MSG_RTN_GET_DOORBELL)
	s_mov_b32 ttmp2, m0
	s_waitcnt lgkmcnt(0)
	s_and_b32 s0, s0, 0x3ff
	s_delay_alu instid0(SALU_CYCLE_1) | instskip(NEXT) | instid1(SALU_CYCLE_1)
	s_bitset1_b32 s0, 10
	s_mov_b32 m0, s0
	s_sendmsg sendmsg(MSG_INTERRUPT)
	s_mov_b32 m0, ttmp2
.LBB6_3920:                             ; =>This Inner Loop Header: Depth=1
	s_sethalt 5
	s_branch .LBB6_3920
.LBB6_3921:
	s_trap 2
	s_sendmsg_rtn_b32 s0, sendmsg(MSG_RTN_GET_DOORBELL)
	s_mov_b32 ttmp2, m0
	s_waitcnt lgkmcnt(0)
	s_and_b32 s0, s0, 0x3ff
	s_delay_alu instid0(SALU_CYCLE_1) | instskip(NEXT) | instid1(SALU_CYCLE_1)
	s_bitset1_b32 s0, 10
	s_mov_b32 m0, s0
	s_sendmsg sendmsg(MSG_INTERRUPT)
	s_mov_b32 m0, ttmp2
.LBB6_3922:                             ; =>This Inner Loop Header: Depth=1
	s_sethalt 5
	s_branch .LBB6_3922
.LBB6_3923:
	s_trap 2
	s_sendmsg_rtn_b32 s0, sendmsg(MSG_RTN_GET_DOORBELL)
	s_mov_b32 ttmp2, m0
	s_waitcnt lgkmcnt(0)
	s_and_b32 s0, s0, 0x3ff
	s_delay_alu instid0(SALU_CYCLE_1) | instskip(NEXT) | instid1(SALU_CYCLE_1)
	s_bitset1_b32 s0, 10
	s_mov_b32 m0, s0
	s_sendmsg sendmsg(MSG_INTERRUPT)
	s_mov_b32 m0, ttmp2
.LBB6_3924:                             ; =>This Inner Loop Header: Depth=1
	s_sethalt 5
	s_branch .LBB6_3924
.LBB6_3925:
	s_trap 2
	s_sendmsg_rtn_b32 s0, sendmsg(MSG_RTN_GET_DOORBELL)
	s_mov_b32 ttmp2, m0
	s_waitcnt lgkmcnt(0)
	s_and_b32 s0, s0, 0x3ff
	s_delay_alu instid0(SALU_CYCLE_1) | instskip(NEXT) | instid1(SALU_CYCLE_1)
	s_bitset1_b32 s0, 10
	s_mov_b32 m0, s0
	s_sendmsg sendmsg(MSG_INTERRUPT)
	s_mov_b32 m0, ttmp2
.LBB6_3926:                             ; =>This Inner Loop Header: Depth=1
	s_sethalt 5
	s_branch .LBB6_3926
.LBB6_3927:
	s_trap 2
	s_sendmsg_rtn_b32 s0, sendmsg(MSG_RTN_GET_DOORBELL)
	s_mov_b32 ttmp2, m0
	s_waitcnt lgkmcnt(0)
	s_and_b32 s0, s0, 0x3ff
	s_delay_alu instid0(SALU_CYCLE_1) | instskip(NEXT) | instid1(SALU_CYCLE_1)
	s_bitset1_b32 s0, 10
	s_mov_b32 m0, s0
	s_sendmsg sendmsg(MSG_INTERRUPT)
	s_mov_b32 m0, ttmp2
.LBB6_3928:                             ; =>This Inner Loop Header: Depth=1
	s_sethalt 5
	s_branch .LBB6_3928
.LBB6_3929:
	s_trap 2
	s_sendmsg_rtn_b32 s0, sendmsg(MSG_RTN_GET_DOORBELL)
	s_mov_b32 ttmp2, m0
	s_waitcnt lgkmcnt(0)
	s_and_b32 s0, s0, 0x3ff
	s_delay_alu instid0(SALU_CYCLE_1) | instskip(NEXT) | instid1(SALU_CYCLE_1)
	s_bitset1_b32 s0, 10
	s_mov_b32 m0, s0
	s_sendmsg sendmsg(MSG_INTERRUPT)
	s_mov_b32 m0, ttmp2
.LBB6_3930:                             ; =>This Inner Loop Header: Depth=1
	s_sethalt 5
	s_branch .LBB6_3930
.LBB6_3931:
	s_trap 2
	s_sendmsg_rtn_b32 s0, sendmsg(MSG_RTN_GET_DOORBELL)
	s_mov_b32 ttmp2, m0
	s_waitcnt lgkmcnt(0)
	s_and_b32 s0, s0, 0x3ff
	s_delay_alu instid0(SALU_CYCLE_1) | instskip(NEXT) | instid1(SALU_CYCLE_1)
	s_bitset1_b32 s0, 10
	s_mov_b32 m0, s0
	s_sendmsg sendmsg(MSG_INTERRUPT)
	s_mov_b32 m0, ttmp2
.LBB6_3932:                             ; =>This Inner Loop Header: Depth=1
	s_sethalt 5
	s_branch .LBB6_3932
.LBB6_3933:
	s_trap 2
	s_sendmsg_rtn_b32 s0, sendmsg(MSG_RTN_GET_DOORBELL)
	s_mov_b32 ttmp2, m0
	s_waitcnt lgkmcnt(0)
	s_and_b32 s0, s0, 0x3ff
	s_delay_alu instid0(SALU_CYCLE_1) | instskip(NEXT) | instid1(SALU_CYCLE_1)
	s_bitset1_b32 s0, 10
	s_mov_b32 m0, s0
	s_sendmsg sendmsg(MSG_INTERRUPT)
	s_mov_b32 m0, ttmp2
.LBB6_3934:                             ; =>This Inner Loop Header: Depth=1
	s_sethalt 5
	s_branch .LBB6_3934
.LBB6_3935:
	s_trap 2
	s_sendmsg_rtn_b32 s0, sendmsg(MSG_RTN_GET_DOORBELL)
	s_mov_b32 ttmp2, m0
	s_waitcnt lgkmcnt(0)
	s_and_b32 s0, s0, 0x3ff
	s_delay_alu instid0(SALU_CYCLE_1) | instskip(NEXT) | instid1(SALU_CYCLE_1)
	s_bitset1_b32 s0, 10
	s_mov_b32 m0, s0
	s_sendmsg sendmsg(MSG_INTERRUPT)
	s_mov_b32 m0, ttmp2
.LBB6_3936:                             ; =>This Inner Loop Header: Depth=1
	s_sethalt 5
	s_branch .LBB6_3936
.LBB6_3937:
	s_trap 2
	s_sendmsg_rtn_b32 s0, sendmsg(MSG_RTN_GET_DOORBELL)
	s_mov_b32 ttmp2, m0
	s_waitcnt lgkmcnt(0)
	s_and_b32 s0, s0, 0x3ff
	s_delay_alu instid0(SALU_CYCLE_1) | instskip(NEXT) | instid1(SALU_CYCLE_1)
	s_bitset1_b32 s0, 10
	s_mov_b32 m0, s0
	s_sendmsg sendmsg(MSG_INTERRUPT)
	s_mov_b32 m0, ttmp2
.LBB6_3938:                             ; =>This Inner Loop Header: Depth=1
	s_sethalt 5
	s_branch .LBB6_3938
.LBB6_3939:
	s_trap 2
	s_sendmsg_rtn_b32 s0, sendmsg(MSG_RTN_GET_DOORBELL)
	s_mov_b32 ttmp2, m0
	s_waitcnt lgkmcnt(0)
	s_and_b32 s0, s0, 0x3ff
	s_delay_alu instid0(SALU_CYCLE_1) | instskip(NEXT) | instid1(SALU_CYCLE_1)
	s_bitset1_b32 s0, 10
	s_mov_b32 m0, s0
	s_sendmsg sendmsg(MSG_INTERRUPT)
	s_mov_b32 m0, ttmp2
.LBB6_3940:                             ; =>This Inner Loop Header: Depth=1
	s_sethalt 5
	s_branch .LBB6_3940
.LBB6_3941:
	s_trap 2
	s_sendmsg_rtn_b32 s0, sendmsg(MSG_RTN_GET_DOORBELL)
	s_mov_b32 ttmp2, m0
	s_waitcnt lgkmcnt(0)
	s_and_b32 s0, s0, 0x3ff
	s_delay_alu instid0(SALU_CYCLE_1) | instskip(NEXT) | instid1(SALU_CYCLE_1)
	s_bitset1_b32 s0, 10
	s_mov_b32 m0, s0
	s_sendmsg sendmsg(MSG_INTERRUPT)
	s_mov_b32 m0, ttmp2
.LBB6_3942:                             ; =>This Inner Loop Header: Depth=1
	s_sethalt 5
	s_branch .LBB6_3942
.LBB6_3943:
	s_trap 2
	s_sendmsg_rtn_b32 s0, sendmsg(MSG_RTN_GET_DOORBELL)
	s_mov_b32 ttmp2, m0
	s_waitcnt lgkmcnt(0)
	s_and_b32 s0, s0, 0x3ff
	s_delay_alu instid0(SALU_CYCLE_1) | instskip(NEXT) | instid1(SALU_CYCLE_1)
	s_bitset1_b32 s0, 10
	s_mov_b32 m0, s0
	s_sendmsg sendmsg(MSG_INTERRUPT)
	s_mov_b32 m0, ttmp2
.LBB6_3944:                             ; =>This Inner Loop Header: Depth=1
	s_sethalt 5
	s_branch .LBB6_3944
.LBB6_3945:
	s_trap 2
	s_sendmsg_rtn_b32 s0, sendmsg(MSG_RTN_GET_DOORBELL)
	s_mov_b32 ttmp2, m0
	s_waitcnt lgkmcnt(0)
	s_and_b32 s0, s0, 0x3ff
	s_delay_alu instid0(SALU_CYCLE_1) | instskip(NEXT) | instid1(SALU_CYCLE_1)
	s_bitset1_b32 s0, 10
	s_mov_b32 m0, s0
	s_sendmsg sendmsg(MSG_INTERRUPT)
	s_mov_b32 m0, ttmp2
.LBB6_3946:                             ; =>This Inner Loop Header: Depth=1
	s_sethalt 5
	s_branch .LBB6_3946
.LBB6_3947:
	s_trap 2
	s_sendmsg_rtn_b32 s0, sendmsg(MSG_RTN_GET_DOORBELL)
	s_mov_b32 ttmp2, m0
	s_waitcnt lgkmcnt(0)
	s_and_b32 s0, s0, 0x3ff
	s_delay_alu instid0(SALU_CYCLE_1) | instskip(NEXT) | instid1(SALU_CYCLE_1)
	s_bitset1_b32 s0, 10
	s_mov_b32 m0, s0
	s_sendmsg sendmsg(MSG_INTERRUPT)
	s_mov_b32 m0, ttmp2
.LBB6_3948:                             ; =>This Inner Loop Header: Depth=1
	s_sethalt 5
	s_branch .LBB6_3948
.LBB6_3949:
	s_trap 2
	s_sendmsg_rtn_b32 s0, sendmsg(MSG_RTN_GET_DOORBELL)
	s_mov_b32 ttmp2, m0
	s_waitcnt lgkmcnt(0)
	s_and_b32 s0, s0, 0x3ff
	s_delay_alu instid0(SALU_CYCLE_1) | instskip(NEXT) | instid1(SALU_CYCLE_1)
	s_bitset1_b32 s0, 10
	s_mov_b32 m0, s0
	s_sendmsg sendmsg(MSG_INTERRUPT)
	s_mov_b32 m0, ttmp2
.LBB6_3950:                             ; =>This Inner Loop Header: Depth=1
	s_sethalt 5
	s_branch .LBB6_3950
.LBB6_3951:
	s_trap 2
	s_sendmsg_rtn_b32 s0, sendmsg(MSG_RTN_GET_DOORBELL)
	s_mov_b32 ttmp2, m0
	s_waitcnt lgkmcnt(0)
	s_and_b32 s0, s0, 0x3ff
	s_delay_alu instid0(SALU_CYCLE_1) | instskip(NEXT) | instid1(SALU_CYCLE_1)
	s_bitset1_b32 s0, 10
	s_mov_b32 m0, s0
	s_sendmsg sendmsg(MSG_INTERRUPT)
	s_mov_b32 m0, ttmp2
.LBB6_3952:                             ; =>This Inner Loop Header: Depth=1
	s_sethalt 5
	s_branch .LBB6_3952
.LBB6_3953:
	s_trap 2
	s_sendmsg_rtn_b32 s0, sendmsg(MSG_RTN_GET_DOORBELL)
	s_mov_b32 ttmp2, m0
	s_waitcnt lgkmcnt(0)
	s_and_b32 s0, s0, 0x3ff
	s_delay_alu instid0(SALU_CYCLE_1) | instskip(NEXT) | instid1(SALU_CYCLE_1)
	s_bitset1_b32 s0, 10
	s_mov_b32 m0, s0
	s_sendmsg sendmsg(MSG_INTERRUPT)
	s_mov_b32 m0, ttmp2
.LBB6_3954:                             ; =>This Inner Loop Header: Depth=1
	s_sethalt 5
	s_branch .LBB6_3954
.LBB6_3955:
	s_trap 2
	s_sendmsg_rtn_b32 s0, sendmsg(MSG_RTN_GET_DOORBELL)
	s_mov_b32 ttmp2, m0
	s_waitcnt lgkmcnt(0)
	s_and_b32 s0, s0, 0x3ff
	s_delay_alu instid0(SALU_CYCLE_1) | instskip(NEXT) | instid1(SALU_CYCLE_1)
	s_bitset1_b32 s0, 10
	s_mov_b32 m0, s0
	s_sendmsg sendmsg(MSG_INTERRUPT)
	s_mov_b32 m0, ttmp2
.LBB6_3956:                             ; =>This Inner Loop Header: Depth=1
	s_sethalt 5
	s_branch .LBB6_3956
.LBB6_3957:
	s_trap 2
	s_sendmsg_rtn_b32 s0, sendmsg(MSG_RTN_GET_DOORBELL)
	s_mov_b32 ttmp2, m0
	s_waitcnt lgkmcnt(0)
	s_and_b32 s0, s0, 0x3ff
	s_delay_alu instid0(SALU_CYCLE_1) | instskip(NEXT) | instid1(SALU_CYCLE_1)
	s_bitset1_b32 s0, 10
	s_mov_b32 m0, s0
	s_sendmsg sendmsg(MSG_INTERRUPT)
	s_mov_b32 m0, ttmp2
.LBB6_3958:                             ; =>This Inner Loop Header: Depth=1
	s_sethalt 5
	s_branch .LBB6_3958
.LBB6_3959:
	s_trap 2
	s_sendmsg_rtn_b32 s0, sendmsg(MSG_RTN_GET_DOORBELL)
	s_mov_b32 ttmp2, m0
	s_waitcnt lgkmcnt(0)
	s_and_b32 s0, s0, 0x3ff
	s_delay_alu instid0(SALU_CYCLE_1) | instskip(NEXT) | instid1(SALU_CYCLE_1)
	s_bitset1_b32 s0, 10
	s_mov_b32 m0, s0
	s_sendmsg sendmsg(MSG_INTERRUPT)
	s_mov_b32 m0, ttmp2
.LBB6_3960:                             ; =>This Inner Loop Header: Depth=1
	s_sethalt 5
	s_branch .LBB6_3960
.LBB6_3961:
	s_trap 2
	s_sendmsg_rtn_b32 s0, sendmsg(MSG_RTN_GET_DOORBELL)
	s_mov_b32 ttmp2, m0
	s_waitcnt lgkmcnt(0)
	s_and_b32 s0, s0, 0x3ff
	s_delay_alu instid0(SALU_CYCLE_1) | instskip(NEXT) | instid1(SALU_CYCLE_1)
	s_bitset1_b32 s0, 10
	s_mov_b32 m0, s0
	s_sendmsg sendmsg(MSG_INTERRUPT)
	s_mov_b32 m0, ttmp2
.LBB6_3962:                             ; =>This Inner Loop Header: Depth=1
	s_sethalt 5
	s_branch .LBB6_3962
.LBB6_3963:
	s_trap 2
	s_sendmsg_rtn_b32 s0, sendmsg(MSG_RTN_GET_DOORBELL)
	s_mov_b32 ttmp2, m0
	s_waitcnt lgkmcnt(0)
	s_and_b32 s0, s0, 0x3ff
	s_delay_alu instid0(SALU_CYCLE_1) | instskip(NEXT) | instid1(SALU_CYCLE_1)
	s_bitset1_b32 s0, 10
	s_mov_b32 m0, s0
	s_sendmsg sendmsg(MSG_INTERRUPT)
	s_mov_b32 m0, ttmp2
.LBB6_3964:                             ; =>This Inner Loop Header: Depth=1
	s_sethalt 5
	s_branch .LBB6_3964
.LBB6_3965:
	s_trap 2
	s_sendmsg_rtn_b32 s0, sendmsg(MSG_RTN_GET_DOORBELL)
	s_mov_b32 ttmp2, m0
	s_waitcnt lgkmcnt(0)
	s_and_b32 s0, s0, 0x3ff
	s_delay_alu instid0(SALU_CYCLE_1) | instskip(NEXT) | instid1(SALU_CYCLE_1)
	s_bitset1_b32 s0, 10
	s_mov_b32 m0, s0
	s_sendmsg sendmsg(MSG_INTERRUPT)
	s_mov_b32 m0, ttmp2
.LBB6_3966:                             ; =>This Inner Loop Header: Depth=1
	s_sethalt 5
	s_branch .LBB6_3966
.LBB6_3967:
	s_trap 2
	s_sendmsg_rtn_b32 s0, sendmsg(MSG_RTN_GET_DOORBELL)
	s_mov_b32 ttmp2, m0
	s_waitcnt lgkmcnt(0)
	s_and_b32 s0, s0, 0x3ff
	s_delay_alu instid0(SALU_CYCLE_1) | instskip(NEXT) | instid1(SALU_CYCLE_1)
	s_bitset1_b32 s0, 10
	s_mov_b32 m0, s0
	s_sendmsg sendmsg(MSG_INTERRUPT)
	s_mov_b32 m0, ttmp2
.LBB6_3968:                             ; =>This Inner Loop Header: Depth=1
	s_sethalt 5
	s_branch .LBB6_3968
.LBB6_3969:
	s_trap 2
	s_sendmsg_rtn_b32 s0, sendmsg(MSG_RTN_GET_DOORBELL)
	s_mov_b32 ttmp2, m0
	s_waitcnt lgkmcnt(0)
	s_and_b32 s0, s0, 0x3ff
	s_delay_alu instid0(SALU_CYCLE_1) | instskip(NEXT) | instid1(SALU_CYCLE_1)
	s_bitset1_b32 s0, 10
	s_mov_b32 m0, s0
	s_sendmsg sendmsg(MSG_INTERRUPT)
	s_mov_b32 m0, ttmp2
.LBB6_3970:                             ; =>This Inner Loop Header: Depth=1
	s_sethalt 5
	s_branch .LBB6_3970
.LBB6_3971:
	s_trap 2
	s_sendmsg_rtn_b32 s0, sendmsg(MSG_RTN_GET_DOORBELL)
	s_mov_b32 ttmp2, m0
	s_waitcnt lgkmcnt(0)
	s_and_b32 s0, s0, 0x3ff
	s_delay_alu instid0(SALU_CYCLE_1) | instskip(NEXT) | instid1(SALU_CYCLE_1)
	s_bitset1_b32 s0, 10
	s_mov_b32 m0, s0
	s_sendmsg sendmsg(MSG_INTERRUPT)
	s_mov_b32 m0, ttmp2
.LBB6_3972:                             ; =>This Inner Loop Header: Depth=1
	s_sethalt 5
	s_branch .LBB6_3972
.LBB6_3973:
	s_trap 2
	s_sendmsg_rtn_b32 s0, sendmsg(MSG_RTN_GET_DOORBELL)
	s_mov_b32 ttmp2, m0
	s_waitcnt lgkmcnt(0)
	s_and_b32 s0, s0, 0x3ff
	s_delay_alu instid0(SALU_CYCLE_1) | instskip(NEXT) | instid1(SALU_CYCLE_1)
	s_bitset1_b32 s0, 10
	s_mov_b32 m0, s0
	s_sendmsg sendmsg(MSG_INTERRUPT)
	s_mov_b32 m0, ttmp2
.LBB6_3974:                             ; =>This Inner Loop Header: Depth=1
	s_sethalt 5
	s_branch .LBB6_3974
.LBB6_3975:
	s_trap 2
	s_sendmsg_rtn_b32 s0, sendmsg(MSG_RTN_GET_DOORBELL)
	s_mov_b32 ttmp2, m0
	s_waitcnt lgkmcnt(0)
	s_and_b32 s0, s0, 0x3ff
	s_delay_alu instid0(SALU_CYCLE_1) | instskip(NEXT) | instid1(SALU_CYCLE_1)
	s_bitset1_b32 s0, 10
	s_mov_b32 m0, s0
	s_sendmsg sendmsg(MSG_INTERRUPT)
	s_mov_b32 m0, ttmp2
.LBB6_3976:                             ; =>This Inner Loop Header: Depth=1
	s_sethalt 5
	s_branch .LBB6_3976
.LBB6_3977:
	s_trap 2
	s_sendmsg_rtn_b32 s0, sendmsg(MSG_RTN_GET_DOORBELL)
	s_mov_b32 ttmp2, m0
	s_waitcnt lgkmcnt(0)
	s_and_b32 s0, s0, 0x3ff
	s_delay_alu instid0(SALU_CYCLE_1) | instskip(NEXT) | instid1(SALU_CYCLE_1)
	s_bitset1_b32 s0, 10
	s_mov_b32 m0, s0
	s_sendmsg sendmsg(MSG_INTERRUPT)
	s_mov_b32 m0, ttmp2
.LBB6_3978:                             ; =>This Inner Loop Header: Depth=1
	s_sethalt 5
	s_branch .LBB6_3978
.LBB6_3979:
	s_trap 2
	s_sendmsg_rtn_b32 s0, sendmsg(MSG_RTN_GET_DOORBELL)
	s_mov_b32 ttmp2, m0
	s_waitcnt lgkmcnt(0)
	s_and_b32 s0, s0, 0x3ff
	s_delay_alu instid0(SALU_CYCLE_1) | instskip(NEXT) | instid1(SALU_CYCLE_1)
	s_bitset1_b32 s0, 10
	s_mov_b32 m0, s0
	s_sendmsg sendmsg(MSG_INTERRUPT)
	s_mov_b32 m0, ttmp2
.LBB6_3980:                             ; =>This Inner Loop Header: Depth=1
	s_sethalt 5
	s_branch .LBB6_3980
.LBB6_3981:
	s_trap 2
	s_sendmsg_rtn_b32 s0, sendmsg(MSG_RTN_GET_DOORBELL)
	s_mov_b32 ttmp2, m0
	s_waitcnt lgkmcnt(0)
	s_and_b32 s0, s0, 0x3ff
	s_delay_alu instid0(SALU_CYCLE_1) | instskip(NEXT) | instid1(SALU_CYCLE_1)
	s_bitset1_b32 s0, 10
	s_mov_b32 m0, s0
	s_sendmsg sendmsg(MSG_INTERRUPT)
	s_mov_b32 m0, ttmp2
.LBB6_3982:                             ; =>This Inner Loop Header: Depth=1
	s_sethalt 5
	s_branch .LBB6_3982
.LBB6_3983:
	s_trap 2
	s_sendmsg_rtn_b32 s0, sendmsg(MSG_RTN_GET_DOORBELL)
	s_mov_b32 ttmp2, m0
	s_waitcnt lgkmcnt(0)
	s_and_b32 s0, s0, 0x3ff
	s_delay_alu instid0(SALU_CYCLE_1) | instskip(NEXT) | instid1(SALU_CYCLE_1)
	s_bitset1_b32 s0, 10
	s_mov_b32 m0, s0
	s_sendmsg sendmsg(MSG_INTERRUPT)
	s_mov_b32 m0, ttmp2
.LBB6_3984:                             ; =>This Inner Loop Header: Depth=1
	s_sethalt 5
	s_branch .LBB6_3984
.LBB6_3985:
	s_trap 2
	s_sendmsg_rtn_b32 s0, sendmsg(MSG_RTN_GET_DOORBELL)
	s_mov_b32 ttmp2, m0
	s_waitcnt lgkmcnt(0)
	s_and_b32 s0, s0, 0x3ff
	s_delay_alu instid0(SALU_CYCLE_1) | instskip(NEXT) | instid1(SALU_CYCLE_1)
	s_bitset1_b32 s0, 10
	s_mov_b32 m0, s0
	s_sendmsg sendmsg(MSG_INTERRUPT)
	s_mov_b32 m0, ttmp2
.LBB6_3986:                             ; =>This Inner Loop Header: Depth=1
	s_sethalt 5
	s_branch .LBB6_3986
.LBB6_3987:
	s_trap 2
	s_sendmsg_rtn_b32 s0, sendmsg(MSG_RTN_GET_DOORBELL)
	s_mov_b32 ttmp2, m0
	s_waitcnt lgkmcnt(0)
	s_and_b32 s0, s0, 0x3ff
	s_delay_alu instid0(SALU_CYCLE_1) | instskip(NEXT) | instid1(SALU_CYCLE_1)
	s_bitset1_b32 s0, 10
	s_mov_b32 m0, s0
	s_sendmsg sendmsg(MSG_INTERRUPT)
	s_mov_b32 m0, ttmp2
.LBB6_3988:                             ; =>This Inner Loop Header: Depth=1
	s_sethalt 5
	s_branch .LBB6_3988
.LBB6_3989:
	s_trap 2
	s_sendmsg_rtn_b32 s0, sendmsg(MSG_RTN_GET_DOORBELL)
	s_mov_b32 ttmp2, m0
	s_waitcnt lgkmcnt(0)
	s_and_b32 s0, s0, 0x3ff
	s_delay_alu instid0(SALU_CYCLE_1) | instskip(NEXT) | instid1(SALU_CYCLE_1)
	s_bitset1_b32 s0, 10
	s_mov_b32 m0, s0
	s_sendmsg sendmsg(MSG_INTERRUPT)
	s_mov_b32 m0, ttmp2
.LBB6_3990:                             ; =>This Inner Loop Header: Depth=1
	s_sethalt 5
	s_branch .LBB6_3990
.Lfunc_end6:
	.size	_ZN12_GLOBAL__N_17runRingI6__half10FuncMinMaxIS1_E11ProtoSimpleILi2ELi2ELi0ELi4ELi0ELi0EELi0ELi0ELi4ELi0EEEviiP15ncclDevWorkColl, .Lfunc_end6-_ZN12_GLOBAL__N_17runRingI6__half10FuncMinMaxIS1_E11ProtoSimpleILi2ELi2ELi0ELi4ELi0ELi0EELi0ELi0ELi4ELi0EEEviiP15ncclDevWorkColl
                                        ; -- End function
	.section	.AMDGPU.csdata,"",@progbits
; Function info:
; codeLenInByte = 108696
; NumSgprs: 48
; NumVgprs: 184
; ScratchSize: 112
; MemoryBound: 1
	.text
	.p2align	2                               ; -- Begin function _Z50ncclDevFunc_AllReduce_RING_SIMPLE_MinMax_f16_0_0_4v
	.type	_Z50ncclDevFunc_AllReduce_RING_SIMPLE_MinMax_f16_0_0_4v,@function
_Z50ncclDevFunc_AllReduce_RING_SIMPLE_MinMax_f16_0_0_4v: ; @_Z50ncclDevFunc_AllReduce_RING_SIMPLE_MinMax_f16_0_0_4v
; %bb.0:
	s_waitcnt vmcnt(0) expcnt(0) lgkmcnt(0)
	s_mov_b32 s0, s33
	s_mov_b32 s33, s32
	s_or_saveexec_b32 s1, -1
	scratch_store_b32 off, v42, s33 offset:16 ; 4-byte Folded Spill
	s_mov_b32 exec_lo, s1
	v_writelane_b32 v42, s0, 20
	s_add_i32 s32, s32, 32
	s_clause 0x3
	scratch_store_b32 off, v40, s33 offset:12
	; meta instruction
	scratch_store_b32 off, v41, s33 offset:8
	; meta instruction
	;; [unrolled: 2-line block ×3, first 2 shown]
	scratch_store_b32 off, v56, s33
	v_writelane_b32 v42, s34, 0
	v_writelane_b32 v42, s35, 1
	;; [unrolled: 1-line block ×20, first 2 shown]
	s_cbranch_execnz .LBB7_7
; %bb.1:
	ds_load_b32 v0, v0
	v_and_b32_e32 v40, 0x3ff, v31
	s_mov_b32 s0, exec_lo
	s_waitcnt lgkmcnt(0)
	s_delay_alu instid0(VALU_DEP_1)
	v_cmpx_lt_i32_e64 v40, v0
	s_cbranch_execz .LBB7_9
; %bb.2:
	s_load_b32 s1, s[8:9], 0x0
	v_mov_b32_e32 v1, 0
	s_waitcnt lgkmcnt(0)
	s_cmp_lt_u32 s12, s1
	s_cselect_b32 s1, 12, 18
	s_delay_alu instid0(SALU_CYCLE_1)
	s_add_u32 s2, s8, s1
	s_addc_u32 s3, s9, 0
	s_mov_b32 s1, 0
	global_load_u16 v1, v1, s[2:3]
	s_cbranch_execnz .LBB7_24
; %bb.3:
	ds_load_b32 v2, v0
	v_mov_b32_e32 v3, v40
	s_mov_b32 s2, 0
                                        ; implicit-def: $vgpr4
	s_waitcnt vmcnt(0) lgkmcnt(0)
	v_mul_lo_u32 v2, v2, v1
	s_branch .LBB7_5
	.p2align	6
.LBB7_4:                                ;   in Loop: Header=BB7_5 Depth=1
	s_or_b32 exec_lo, exec_lo, s3
	v_add_nc_u32_e32 v3, v3, v1
	v_add_nc_u32_e32 v4, v4, v2
	s_delay_alu instid0(VALU_DEP_2) | instskip(SKIP_1) | instid1(SALU_CYCLE_1)
	v_cmp_ge_i32_e32 vcc_lo, v3, v0
	s_or_b32 s1, vcc_lo, s1
	s_and_not1_b32 exec_lo, exec_lo, s1
	s_cbranch_execz .LBB7_9
.LBB7_5:                                ; =>This Inner Loop Header: Depth=1
	ds_load_b32 v5, v4
	s_mov_b32 s3, exec_lo
	s_waitcnt lgkmcnt(0)
	v_and_b32_e32 v5, 0x1000000, v5
	s_delay_alu instid0(VALU_DEP_1)
	v_cmpx_ne_u32_e32 0, v5
	s_cbranch_execz .LBB7_4
; %bb.6:                                ;   in Loop: Header=BB7_5 Depth=1
	ds_load_b64 v[5:6], v4 offset:104
	s_waitcnt lgkmcnt(0)
	flat_load_u16 v5, v[5:6]
	s_waitcnt vmcnt(0) lgkmcnt(0)
	v_dual_mov_b32 v6, s2 :: v_dual_and_b32 v5, 0xffff, v5
	ds_store_b64 v4, v[5:6] offset:104
	s_branch .LBB7_4
.LBB7_7:
	s_trap 2
	s_sendmsg_rtn_b32 s0, sendmsg(MSG_RTN_GET_DOORBELL)
	s_mov_b32 ttmp2, m0
	s_waitcnt lgkmcnt(0)
	s_and_b32 s0, s0, 0x3ff
	s_delay_alu instid0(SALU_CYCLE_1) | instskip(NEXT) | instid1(SALU_CYCLE_1)
	s_bitset1_b32 s0, 10
	s_mov_b32 m0, s0
	s_sendmsg sendmsg(MSG_INTERRUPT)
	s_mov_b32 m0, ttmp2
.LBB7_8:                                ; =>This Inner Loop Header: Depth=1
	s_sethalt 5
	s_branch .LBB7_8
.LBB7_9:
	s_or_b32 exec_lo, exec_lo, s0
	s_waitcnt lgkmcnt(0)
	s_waitcnt_vscnt null, 0x0
	s_barrier
	buffer_gl0_inv
	s_cbranch_execnz .LBB7_22
; %bb.10:
	ds_load_b32 v0, v0
	s_waitcnt lgkmcnt(0)
	v_cmp_gt_i32_e32 vcc_lo, 1, v0
	s_cbranch_vccnz .LBB7_21
; %bb.11:
	s_mov_b32 s50, 0
	s_mov_b64 s[48:49], src_shared_base
.LBB7_12:                               ; =>This Inner Loop Header: Depth=1
	s_cbranch_execnz .LBB7_26
; %bb.13:                               ;   in Loop: Header=BB7_12 Depth=1
	ds_load_b32 v0, v0
	s_cmp_eq_u32 s50, 0
	s_cbranch_scc1 .LBB7_17
; %bb.14:                               ;   in Loop: Header=BB7_12 Depth=1
	s_cbranch_execnz .LBB7_30
; %bb.15:                               ;   in Loop: Header=BB7_12 Depth=1
	s_waitcnt lgkmcnt(0)
	ds_load_b32 v1, v0
	s_waitcnt lgkmcnt(0)
	v_xor_b32_e32 v1, v1, v0
	s_delay_alu instid0(VALU_DEP_1) | instskip(NEXT) | instid1(VALU_DEP_1)
	v_and_b32_e32 v1, 0xff0000, v1
	v_cmp_eq_u32_e32 vcc_lo, 0, v1
	s_cbranch_vccnz .LBB7_17
; %bb.16:                               ;   in Loop: Header=BB7_12 Depth=1
	s_waitcnt_vscnt null, 0x0
	s_barrier
	buffer_gl0_inv
	ds_load_b32 v0, v0
.LBB7_17:                               ;   in Loop: Header=BB7_12 Depth=1
	s_waitcnt lgkmcnt(0)
	v_lshrrev_b32_e32 v0, 11, v0
	s_mov_b32 s51, exec_lo
	s_delay_alu instid0(VALU_DEP_1) | instskip(NEXT) | instid1(VALU_DEP_1)
	v_and_b32_e32 v1, 0x1fe0, v0
	v_cmpx_lt_u32_e64 v40, v1
	s_cbranch_execz .LBB7_19
; %bb.18:                               ;   in Loop: Header=BB7_12 Depth=1
	v_dual_mov_b32 v41, v31 :: v_dual_mov_b32 v0, v40
	v_mov_b32_e32 v3, s49
	s_getpc_b64 s[0:1]
	s_add_u32 s0, s0, _ZN12_GLOBAL__N_17runRingI6__half10FuncMinMaxIS1_E11ProtoSimpleILi2ELi2ELi0ELi4ELi0ELi0EELi0ELi0ELi4ELi0EEEviiP15ncclDevWorkColl@rel32@lo+4
	s_addc_u32 s1, s1, _ZN12_GLOBAL__N_17runRingI6__half10FuncMinMaxIS1_E11ProtoSimpleILi2ELi2ELi0ELi4ELi0ELi0EELi0ELi0ELi4ELi0EEEviiP15ncclDevWorkColl@rel32@hi+12
	s_mov_b64 s[46:47], s[8:9]
	s_mov_b32 s48, s12
	s_swappc_b64 s[30:31], s[0:1]
	v_mov_b32_e32 v31, v41
	s_mov_b32 s12, s48
	s_mov_b64 s[8:9], s[46:47]
.LBB7_19:                               ;   in Loop: Header=BB7_12 Depth=1
	s_or_b32 exec_lo, exec_lo, s51
	s_cbranch_execnz .LBB7_28
; %bb.20:                               ;   in Loop: Header=BB7_12 Depth=1
	ds_load_b32 v0, v0
	s_add_i32 s50, s50, 1
	s_waitcnt lgkmcnt(0)
	v_cmp_lt_i32_e32 vcc_lo, s50, v0
	s_cbranch_vccnz .LBB7_12
.LBB7_21:
	s_clause 0x3
	scratch_load_b32 v56, off, s33
	scratch_load_b32 v47, off, s33 offset:4
	scratch_load_b32 v41, off, s33 offset:8
	;; [unrolled: 1-line block ×3, first 2 shown]
	v_readlane_b32 s30, v42, 18
	v_readlane_b32 s31, v42, 19
	;; [unrolled: 1-line block ×21, first 2 shown]
	s_or_saveexec_b32 s1, -1
	scratch_load_b32 v42, off, s33 offset:16 ; 4-byte Folded Reload
	s_mov_b32 exec_lo, s1
	s_addk_i32 s32, 0xffe0
	s_mov_b32 s33, s0
	s_waitcnt vmcnt(0)
	s_setpc_b64 s[30:31]
.LBB7_22:
	s_trap 2
	s_sendmsg_rtn_b32 s0, sendmsg(MSG_RTN_GET_DOORBELL)
	s_mov_b32 ttmp2, m0
	s_waitcnt lgkmcnt(0)
	s_and_b32 s0, s0, 0x3ff
	s_delay_alu instid0(SALU_CYCLE_1) | instskip(NEXT) | instid1(SALU_CYCLE_1)
	s_bitset1_b32 s0, 10
	s_mov_b32 m0, s0
	s_sendmsg sendmsg(MSG_INTERRUPT)
	s_mov_b32 m0, ttmp2
.LBB7_23:                               ; =>This Inner Loop Header: Depth=1
	s_sethalt 5
	s_branch .LBB7_23
.LBB7_24:
	s_trap 2
	s_sendmsg_rtn_b32 s0, sendmsg(MSG_RTN_GET_DOORBELL)
	s_mov_b32 ttmp2, m0
	s_waitcnt lgkmcnt(0)
	s_and_b32 s0, s0, 0x3ff
	s_delay_alu instid0(SALU_CYCLE_1) | instskip(NEXT) | instid1(SALU_CYCLE_1)
	s_bitset1_b32 s0, 10
	s_mov_b32 m0, s0
	s_sendmsg sendmsg(MSG_INTERRUPT)
	s_mov_b32 m0, ttmp2
.LBB7_25:                               ; =>This Inner Loop Header: Depth=1
	s_sethalt 5
	s_branch .LBB7_25
.LBB7_26:
	s_trap 2
	s_sendmsg_rtn_b32 s0, sendmsg(MSG_RTN_GET_DOORBELL)
	s_mov_b32 ttmp2, m0
	s_waitcnt lgkmcnt(0)
	s_and_b32 s0, s0, 0x3ff
	s_delay_alu instid0(SALU_CYCLE_1) | instskip(NEXT) | instid1(SALU_CYCLE_1)
	s_bitset1_b32 s0, 10
	s_mov_b32 m0, s0
	s_sendmsg sendmsg(MSG_INTERRUPT)
	s_mov_b32 m0, ttmp2
.LBB7_27:                               ; =>This Inner Loop Header: Depth=1
	s_sethalt 5
	s_branch .LBB7_27
.LBB7_28:
	s_trap 2
	s_sendmsg_rtn_b32 s0, sendmsg(MSG_RTN_GET_DOORBELL)
	s_mov_b32 ttmp2, m0
	s_waitcnt lgkmcnt(0)
	s_and_b32 s0, s0, 0x3ff
	s_delay_alu instid0(SALU_CYCLE_1) | instskip(NEXT) | instid1(SALU_CYCLE_1)
	s_bitset1_b32 s0, 10
	s_mov_b32 m0, s0
	s_sendmsg sendmsg(MSG_INTERRUPT)
	s_mov_b32 m0, ttmp2
.LBB7_29:                               ; =>This Inner Loop Header: Depth=1
	s_sethalt 5
	s_branch .LBB7_29
.LBB7_30:
	s_trap 2
	s_sendmsg_rtn_b32 s0, sendmsg(MSG_RTN_GET_DOORBELL)
	s_mov_b32 ttmp2, m0
	s_waitcnt lgkmcnt(0)
	s_and_b32 s0, s0, 0x3ff
	s_delay_alu instid0(SALU_CYCLE_1) | instskip(NEXT) | instid1(SALU_CYCLE_1)
	s_bitset1_b32 s0, 10
	s_mov_b32 m0, s0
	s_sendmsg sendmsg(MSG_INTERRUPT)
	s_mov_b32 m0, ttmp2
.LBB7_31:                               ; =>This Inner Loop Header: Depth=1
	s_sethalt 5
	s_branch .LBB7_31
.Lfunc_end7:
	.size	_Z50ncclDevFunc_AllReduce_RING_SIMPLE_MinMax_f16_0_0_4v, .Lfunc_end7-_Z50ncclDevFunc_AllReduce_RING_SIMPLE_MinMax_f16_0_0_4v
                                        ; -- End function
	.section	.AMDGPU.csdata,"",@progbits
; Function info:
; codeLenInByte = 1296
; NumSgprs: 54
; NumVgprs: 184
; ScratchSize: 144
; MemoryBound: 0
	.text
	.p2alignl 7, 3214868480
	.fill 96, 4, 3214868480
	.type	__const.__assert_fail.fmt,@object ; @__const.__assert_fail.fmt
	.section	.rodata.str1.16,"aMS",@progbits,1
	.p2align	4, 0x0
__const.__assert_fail.fmt:
	.asciz	"%s:%u: %s: Device-side assertion `%s' failed.\n"
	.size	__const.__assert_fail.fmt, 47

	.type	.str.1,@object                  ; @.str.1
	.section	.rodata.str1.1,"aMS",@progbits,1
.str.1:
	.asciz	"2*(nrecv+nsend) <= nthreads"
	.size	.str.1, 28

	.type	.str.2,@object                  ; @.str.2
.str.2:
	.asciz	"/root/src/amdgpu-assembly/repos/ROCm__rccl/hipify/src/device/prims_simple.h"
	.size	.str.2, 76

	.type	__PRETTY_FUNCTION__._ZN10PrimitivesI6__half10FuncMinMaxIS0_E12FanSymmetricILi1EELi0E11ProtoSimpleILi2ELi2ELi0ELi1ELi0ELi0EELi0ELb0ELi0ELi0ELi0EEC2EiiPKiS9_PKvPvmhhhP15ncclDevWorkCollP14ncclDevWorkP2pii,@object ; @__PRETTY_FUNCTION__._ZN10PrimitivesI6__half10FuncMinMaxIS0_E12FanSymmetricILi1EELi0E11ProtoSimpleILi2ELi2ELi0ELi1ELi0ELi0EELi0ELb0ELi0ELi0ELi0EEC2EiiPKiS9_PKvPvmhhhP15ncclDevWorkCollP14ncclDevWorkP2pii
__PRETTY_FUNCTION__._ZN10PrimitivesI6__half10FuncMinMaxIS0_E12FanSymmetricILi1EELi0E11ProtoSimpleILi2ELi2ELi0ELi1ELi0ELi0EELi0ELb0ELi0ELi0ELi0EEC2EiiPKiS9_PKvPvmhhhP15ncclDevWorkCollP14ncclDevWorkP2pii:
	.asciz	"Primitives<__half, FuncMinMax<__half>, FanSymmetric<1>, 0, ProtoSimple<2, 2, 0, 1>, 0>::Primitives(int, int, const int *, const int *, const void *, void *, uint64_t, uint8_t, uint8_t, uint8_t, struct ncclDevWorkColl *, struct ncclDevWorkP2p *, int, int) [T = __half, RedOp = FuncMinMax<__half>, Fan = FanSymmetric<1>, Direct = 0, Proto = ProtoSimple<2, 2, 0, 1>, P2p = 0, isNetOffload = false, Metadata = 0, Pipeline = 0, useAcc = 0]"
	.size	__PRETTY_FUNCTION__._ZN10PrimitivesI6__half10FuncMinMaxIS0_E12FanSymmetricILi1EELi0E11ProtoSimpleILi2ELi2ELi0ELi1ELi0ELi0EELi0ELb0ELi0ELi0ELi0EEC2EiiPKiS9_PKvPvmhhhP15ncclDevWorkCollP14ncclDevWorkP2pii, 435

	.type	__PRETTY_FUNCTION__._ZN10PrimitivesI6__half10FuncMinMaxIS0_E12FanSymmetricILi1EELi0E11ProtoSimpleILi2ELi2ELi0ELi2ELi0ELi0EELi0ELb0ELi0ELi0ELi0EEC2EiiPKiS9_PKvPvmhhhP15ncclDevWorkCollP14ncclDevWorkP2pii,@object ; @__PRETTY_FUNCTION__._ZN10PrimitivesI6__half10FuncMinMaxIS0_E12FanSymmetricILi1EELi0E11ProtoSimpleILi2ELi2ELi0ELi2ELi0ELi0EELi0ELb0ELi0ELi0ELi0EEC2EiiPKiS9_PKvPvmhhhP15ncclDevWorkCollP14ncclDevWorkP2pii
__PRETTY_FUNCTION__._ZN10PrimitivesI6__half10FuncMinMaxIS0_E12FanSymmetricILi1EELi0E11ProtoSimpleILi2ELi2ELi0ELi2ELi0ELi0EELi0ELb0ELi0ELi0ELi0EEC2EiiPKiS9_PKvPvmhhhP15ncclDevWorkCollP14ncclDevWorkP2pii:
	.asciz	"Primitives<__half, FuncMinMax<__half>, FanSymmetric<1>, 0, ProtoSimple<2, 2, 0, 2>, 0>::Primitives(int, int, const int *, const int *, const void *, void *, uint64_t, uint8_t, uint8_t, uint8_t, struct ncclDevWorkColl *, struct ncclDevWorkP2p *, int, int) [T = __half, RedOp = FuncMinMax<__half>, Fan = FanSymmetric<1>, Direct = 0, Proto = ProtoSimple<2, 2, 0, 2>, P2p = 0, isNetOffload = false, Metadata = 0, Pipeline = 0, useAcc = 0]"
	.size	__PRETTY_FUNCTION__._ZN10PrimitivesI6__half10FuncMinMaxIS0_E12FanSymmetricILi1EELi0E11ProtoSimpleILi2ELi2ELi0ELi2ELi0ELi0EELi0ELb0ELi0ELi0ELi0EEC2EiiPKiS9_PKvPvmhhhP15ncclDevWorkCollP14ncclDevWorkP2pii, 435

	.type	__PRETTY_FUNCTION__._ZN10PrimitivesI6__half10FuncMinMaxIS0_E12FanSymmetricILi1EELi0E11ProtoSimpleILi2ELi2ELi0ELi4ELi0ELi0EELi0ELb0ELi0ELi0ELi0EEC2EiiPKiS9_PKvPvmhhhP15ncclDevWorkCollP14ncclDevWorkP2pii,@object ; @__PRETTY_FUNCTION__._ZN10PrimitivesI6__half10FuncMinMaxIS0_E12FanSymmetricILi1EELi0E11ProtoSimpleILi2ELi2ELi0ELi4ELi0ELi0EELi0ELb0ELi0ELi0ELi0EEC2EiiPKiS9_PKvPvmhhhP15ncclDevWorkCollP14ncclDevWorkP2pii
__PRETTY_FUNCTION__._ZN10PrimitivesI6__half10FuncMinMaxIS0_E12FanSymmetricILi1EELi0E11ProtoSimpleILi2ELi2ELi0ELi4ELi0ELi0EELi0ELb0ELi0ELi0ELi0EEC2EiiPKiS9_PKvPvmhhhP15ncclDevWorkCollP14ncclDevWorkP2pii:
	.asciz	"Primitives<__half, FuncMinMax<__half>, FanSymmetric<1>, 0, ProtoSimple<2, 2, 0, 4>, 0>::Primitives(int, int, const int *, const int *, const void *, void *, uint64_t, uint8_t, uint8_t, uint8_t, struct ncclDevWorkColl *, struct ncclDevWorkP2p *, int, int) [T = __half, RedOp = FuncMinMax<__half>, Fan = FanSymmetric<1>, Direct = 0, Proto = ProtoSimple<2, 2, 0, 4>, P2p = 0, isNetOffload = false, Metadata = 0, Pipeline = 0, useAcc = 0]"
	.size	__PRETTY_FUNCTION__._ZN10PrimitivesI6__half10FuncMinMaxIS0_E12FanSymmetricILi1EELi0E11ProtoSimpleILi2ELi2ELi0ELi4ELi0ELi0EELi0ELb0ELi0ELi0ELi0EEC2EiiPKiS9_PKvPvmhhhP15ncclDevWorkCollP14ncclDevWorkP2pii, 435

	.type	__hip_cuid_b66ae277dc32cd21,@object ; @__hip_cuid_b66ae277dc32cd21
	.section	.bss,"aw",@nobits
	.globl	__hip_cuid_b66ae277dc32cd21
__hip_cuid_b66ae277dc32cd21:
	.byte	0                               ; 0x0
	.size	__hip_cuid_b66ae277dc32cd21, 1

	.ident	"AMD clang version 19.0.0git (https://github.com/RadeonOpenCompute/llvm-project roc-6.4.0 25133 c7fe45cf4b819c5991fe208aaa96edf142730f1d)"
	.section	".note.GNU-stack","",@progbits
	.addrsig
	.addrsig_sym _Z50ncclDevFunc_AllReduce_RING_SIMPLE_MinMax_f16_0_0_1v
	.addrsig_sym _Z50ncclDevFunc_AllReduce_RING_SIMPLE_MinMax_f16_0_0_2v
	.addrsig_sym _Z50ncclDevFunc_AllReduce_RING_SIMPLE_MinMax_f16_0_0_4v
	.addrsig_sym ncclShmem
	.addrsig_sym __hip_cuid_b66ae277dc32cd21
	.amdgpu_metadata
---
amdhsa.kernels:  []
amdhsa.target:   amdgcn-amd-amdhsa--gfx1100
amdhsa.version:
  - 1
  - 2
...

	.end_amdgpu_metadata
